;; amdgpu-corpus repo=pytorch/pytorch kind=compiled arch=gfx906 opt=O3
	.amdgcn_target "amdgcn-amd-amdhsa--gfx906"
	.amdhsa_code_object_version 6
	.section	.text._ZN2at6native29vectorized_elementwise_kernelILi16EZZZNS0_15sin_kernel_cudaERNS_18TensorIteratorBaseEENKUlvE0_clEvENKUlvE_clEvEUldE_St5arrayIPcLm2EEEEviT0_T1_,"axG",@progbits,_ZN2at6native29vectorized_elementwise_kernelILi16EZZZNS0_15sin_kernel_cudaERNS_18TensorIteratorBaseEENKUlvE0_clEvENKUlvE_clEvEUldE_St5arrayIPcLm2EEEEviT0_T1_,comdat
	.globl	_ZN2at6native29vectorized_elementwise_kernelILi16EZZZNS0_15sin_kernel_cudaERNS_18TensorIteratorBaseEENKUlvE0_clEvENKUlvE_clEvEUldE_St5arrayIPcLm2EEEEviT0_T1_ ; -- Begin function _ZN2at6native29vectorized_elementwise_kernelILi16EZZZNS0_15sin_kernel_cudaERNS_18TensorIteratorBaseEENKUlvE0_clEvENKUlvE_clEvEUldE_St5arrayIPcLm2EEEEviT0_T1_
	.p2align	8
	.type	_ZN2at6native29vectorized_elementwise_kernelILi16EZZZNS0_15sin_kernel_cudaERNS_18TensorIteratorBaseEENKUlvE0_clEvENKUlvE_clEvEUldE_St5arrayIPcLm2EEEEviT0_T1_,@function
_ZN2at6native29vectorized_elementwise_kernelILi16EZZZNS0_15sin_kernel_cudaERNS_18TensorIteratorBaseEENKUlvE0_clEvENKUlvE_clEvEUldE_St5arrayIPcLm2EEEEviT0_T1_: ; @_ZN2at6native29vectorized_elementwise_kernelILi16EZZZNS0_15sin_kernel_cudaERNS_18TensorIteratorBaseEENKUlvE0_clEvENKUlvE_clEvEUldE_St5arrayIPcLm2EEEEviT0_T1_
; %bb.0:
	s_load_dword s0, s[4:5], 0x0
	s_load_dwordx4 s[8:11], s[4:5], 0x8
	s_lshl_b32 s4, s6, 10
	s_waitcnt lgkmcnt(0)
	s_sub_i32 s28, s0, s4
	s_cmpk_gt_i32 s28, 0x3ff
	s_mov_b64 s[0:1], -1
	s_cbranch_scc0 .LBB0_18
; %bb.1:
	s_ashr_i32 s5, s4, 31
	s_lshl_b64 s[6:7], s[4:5], 3
	s_add_u32 s0, s10, s6
	s_addc_u32 s1, s11, s7
	v_lshlrev_b32_e32 v25, 5, v0
	global_load_dwordx4 v[5:8], v25, s[0:1]
	global_load_dwordx4 v[1:4], v25, s[0:1] offset:16
	s_mov_b32 s0, 0
	s_mov_b32 s1, 0x41d00000
	v_mov_b32_e32 v13, 0
                                        ; implicit-def: $vgpr26
                                        ; implicit-def: $vgpr9_vgpr10
                                        ; implicit-def: $vgpr11_vgpr12
	s_waitcnt vmcnt(1)
	v_cmp_nlt_f64_e64 s[0:1], |v[5:6]|, s[0:1]
	s_and_saveexec_b64 s[2:3], s[0:1]
	s_xor_b64 s[2:3], exec, s[2:3]
	s_cbranch_execz .LBB0_3
; %bb.2:
	v_trig_preop_f64 v[9:10], |v[5:6]|, 0
	s_mov_b32 s0, 0
	s_mov_b32 s1, 0x7b000000
	s_movk_i32 s5, 0xff80
	v_ldexp_f64 v[14:15], |v[5:6]|, s5
	v_cmp_ge_f64_e64 vcc, |v[5:6]|, s[0:1]
	v_trig_preop_f64 v[11:12], |v[5:6]|, 1
	v_and_b32_e32 v16, 0x7fffffff, v6
	v_trig_preop_f64 v[23:24], |v[5:6]|, 2
	s_mov_b32 s0, 0
	s_mov_b32 s1, 0x7ff00000
	;; [unrolled: 1-line block ×4, first 2 shown]
	v_cndmask_b32_e32 v16, v16, v15, vcc
	v_cndmask_b32_e32 v15, v5, v14, vcc
	v_mov_b32_e32 v14, 0x40100000
	v_mul_f64 v[17:18], v[9:10], v[15:16]
	v_mul_f64 v[19:20], v[11:12], v[15:16]
	;; [unrolled: 1-line block ×3, first 2 shown]
	v_fma_f64 v[9:10], v[9:10], v[15:16], -v[17:18]
	v_fma_f64 v[11:12], v[11:12], v[15:16], -v[19:20]
	v_add_f64 v[21:22], v[19:20], v[9:10]
	v_add_f64 v[26:27], v[21:22], -v[19:20]
	v_add_f64 v[32:33], v[17:18], v[21:22]
	v_add_f64 v[28:29], v[21:22], -v[26:27]
	v_add_f64 v[9:10], v[9:10], -v[26:27]
	v_add_f64 v[26:27], v[30:31], v[11:12]
	v_add_f64 v[17:18], v[32:33], -v[17:18]
	v_add_f64 v[19:20], v[19:20], -v[28:29]
	v_ldexp_f64 v[28:29], v[32:33], -2
	v_add_f64 v[34:35], v[26:27], -v[30:31]
	v_add_f64 v[17:18], v[21:22], -v[17:18]
	v_add_f64 v[9:10], v[9:10], v[19:20]
	v_fract_f64_e32 v[19:20], v[28:29]
	v_cmp_neq_f64_e64 vcc, |v[28:29]|, s[0:1]
	v_add_f64 v[11:12], v[11:12], -v[34:35]
	v_add_f64 v[21:22], v[26:27], v[9:10]
	v_ldexp_f64 v[19:20], v[19:20], 2
	v_add_f64 v[28:29], v[17:18], v[21:22]
	v_cndmask_b32_e32 v20, 0, v20, vcc
	v_cndmask_b32_e32 v19, 0, v19, vcc
	v_add_f64 v[36:37], v[21:22], -v[26:27]
	v_add_f64 v[32:33], v[28:29], v[19:20]
	v_add_f64 v[38:39], v[21:22], -v[36:37]
	v_add_f64 v[9:10], v[9:10], -v[36:37]
	v_cmp_gt_f64_e32 vcc, 0, v[32:33]
	v_add_f64 v[32:33], v[26:27], -v[34:35]
	v_add_f64 v[26:27], v[26:27], -v[38:39]
	v_cndmask_b32_e32 v14, 0, v14, vcc
	v_add_f64 v[19:20], v[19:20], v[13:14]
	v_add_f64 v[32:33], v[30:31], -v[32:33]
	v_add_f64 v[9:10], v[9:10], v[26:27]
	v_fma_f64 v[14:15], v[23:24], v[15:16], -v[30:31]
	v_add_f64 v[16:17], v[28:29], -v[17:18]
	v_add_f64 v[40:41], v[28:29], v[19:20]
	v_add_f64 v[11:12], v[11:12], v[32:33]
	v_add_f64 v[16:17], v[21:22], -v[16:17]
	v_cvt_i32_f64_e32 v36, v[40:41]
	v_add_f64 v[9:10], v[11:12], v[9:10]
	v_cvt_f64_i32_e32 v[34:35], v36
	v_add_f64 v[19:20], v[19:20], -v[34:35]
	v_add_f64 v[9:10], v[14:15], v[9:10]
	v_add_f64 v[11:12], v[28:29], v[19:20]
	;; [unrolled: 1-line block ×3, first 2 shown]
	v_add_f64 v[14:15], v[11:12], -v[19:20]
	v_cmp_le_f64_e32 vcc, 0.5, v[11:12]
	v_add_f64 v[15:16], v[28:29], -v[14:15]
	v_mov_b32_e32 v14, 0x3ff00000
	v_cndmask_b32_e32 v14, 0, v14, vcc
	v_add_f64 v[11:12], v[11:12], -v[13:14]
	v_addc_co_u32_e64 v26, s[0:1], 0, v36, vcc
	s_mov_b32 s0, 0x54442d18
	s_mov_b32 s1, 0x3ff921fb
	v_add_f64 v[9:10], v[9:10], v[15:16]
	v_add_f64 v[13:14], v[11:12], v[9:10]
	v_mul_f64 v[15:16], v[13:14], s[0:1]
	v_add_f64 v[11:12], v[13:14], -v[11:12]
	v_fma_f64 v[17:18], v[13:14], s[0:1], -v[15:16]
	v_add_f64 v[9:10], v[9:10], -v[11:12]
	v_fma_f64 v[11:12], v[13:14], s[12:13], v[17:18]
	v_fma_f64 v[11:12], v[9:10], s[0:1], v[11:12]
	v_add_f64 v[9:10], v[15:16], v[11:12]
	v_add_f64 v[13:14], v[9:10], -v[15:16]
	v_add_f64 v[11:12], v[11:12], -v[13:14]
.LBB0_3:
	s_andn2_saveexec_b64 s[0:1], s[2:3]
	s_cbranch_execz .LBB0_5
; %bb.4:
	s_mov_b32 s2, 0x6dc9c883
	s_mov_b32 s3, 0x3fe45f30
	v_mul_f64 v[9:10], |v[5:6]|, s[2:3]
	s_mov_b32 s2, 0x54442d18
	s_mov_b32 s3, 0xbff921fb
	s_mov_b32 s13, 0xbc91a626
	s_mov_b32 s12, 0x33145c00
	v_rndne_f64_e32 v[13:14], v[9:10]
	v_fma_f64 v[9:10], v[13:14], s[2:3], |v[5:6]|
	v_mul_f64 v[11:12], v[13:14], s[12:13]
	s_mov_b32 s2, 0x252049c0
	s_mov_b32 s3, 0xb97b839a
	v_cvt_i32_f64_e32 v26, v[13:14]
	v_fma_f64 v[19:20], v[13:14], s[12:13], v[9:10]
	v_add_f64 v[15:16], v[9:10], v[11:12]
	s_mov_b32 s13, 0x3c91a626
	v_add_f64 v[17:18], v[9:10], -v[15:16]
	v_add_f64 v[15:16], v[15:16], -v[19:20]
	v_add_f64 v[9:10], v[17:18], v[11:12]
	v_fma_f64 v[11:12], v[13:14], s[12:13], v[11:12]
	v_add_f64 v[9:10], v[15:16], v[9:10]
	v_add_f64 v[9:10], v[9:10], -v[11:12]
	v_fma_f64 v[11:12], v[13:14], s[2:3], v[9:10]
	v_add_f64 v[9:10], v[19:20], v[11:12]
	v_add_f64 v[15:16], v[9:10], -v[19:20]
	v_add_f64 v[11:12], v[11:12], -v[15:16]
.LBB0_5:
	s_or_b64 exec, exec, s[0:1]
	s_mov_b32 s0, 0
	s_mov_b32 s1, 0x41d00000
	v_cmp_nlt_f64_e64 s[0:1], |v[7:8]|, s[0:1]
                                        ; implicit-def: $vgpr27
                                        ; implicit-def: $vgpr13_vgpr14
                                        ; implicit-def: $vgpr15_vgpr16
	s_and_saveexec_b64 s[2:3], s[0:1]
	s_xor_b64 s[2:3], exec, s[2:3]
	s_cbranch_execz .LBB0_7
; %bb.6:
	v_trig_preop_f64 v[13:14], |v[7:8]|, 0
	s_mov_b32 s0, 0
	s_mov_b32 s1, 0x7b000000
	s_movk_i32 s5, 0xff80
	v_ldexp_f64 v[17:18], |v[7:8]|, s5
	v_cmp_ge_f64_e64 vcc, |v[7:8]|, s[0:1]
	v_trig_preop_f64 v[15:16], |v[7:8]|, 1
	v_and_b32_e32 v19, 0x7fffffff, v8
	v_trig_preop_f64 v[27:28], |v[7:8]|, 2
	s_mov_b32 s0, 0
	s_mov_b32 s1, 0x7ff00000
	v_mov_b32_e32 v38, 0x40100000
	v_mov_b32_e32 v37, 0
	v_cndmask_b32_e32 v18, v19, v18, vcc
	v_cndmask_b32_e32 v17, v7, v17, vcc
	s_mov_b32 s12, 0x33145c07
	v_mul_f64 v[19:20], v[13:14], v[17:18]
	s_mov_b32 s13, 0x3c91a626
	v_mul_f64 v[21:22], v[15:16], v[17:18]
	v_mul_f64 v[33:34], v[27:28], v[17:18]
	v_fma_f64 v[13:14], v[13:14], v[17:18], -v[19:20]
	v_fma_f64 v[15:16], v[15:16], v[17:18], -v[21:22]
	;; [unrolled: 1-line block ×3, first 2 shown]
	v_add_f64 v[23:24], v[21:22], v[13:14]
	v_add_f64 v[29:30], v[23:24], -v[21:22]
	v_add_f64 v[35:36], v[19:20], v[23:24]
	v_add_f64 v[31:32], v[23:24], -v[29:30]
	v_add_f64 v[13:14], v[13:14], -v[29:30]
	v_add_f64 v[29:30], v[33:34], v[15:16]
	v_add_f64 v[19:20], v[35:36], -v[19:20]
	v_add_f64 v[21:22], v[21:22], -v[31:32]
	v_ldexp_f64 v[31:32], v[35:36], -2
	v_add_f64 v[39:40], v[29:30], -v[33:34]
	v_add_f64 v[19:20], v[23:24], -v[19:20]
	v_add_f64 v[13:14], v[13:14], v[21:22]
	v_fract_f64_e32 v[21:22], v[31:32]
	v_cmp_neq_f64_e64 vcc, |v[31:32]|, s[0:1]
	v_add_f64 v[15:16], v[15:16], -v[39:40]
	v_add_f64 v[23:24], v[29:30], v[13:14]
	v_ldexp_f64 v[21:22], v[21:22], 2
	v_add_f64 v[31:32], v[19:20], v[23:24]
	v_cndmask_b32_e32 v22, 0, v22, vcc
	v_cndmask_b32_e32 v21, 0, v21, vcc
	v_add_f64 v[41:42], v[23:24], -v[29:30]
	v_add_f64 v[35:36], v[31:32], v[21:22]
	v_add_f64 v[19:20], v[31:32], -v[19:20]
	v_add_f64 v[43:44], v[23:24], -v[41:42]
	;; [unrolled: 1-line block ×3, first 2 shown]
	v_cmp_gt_f64_e32 vcc, 0, v[35:36]
	v_add_f64 v[35:36], v[29:30], -v[39:40]
	v_add_f64 v[19:20], v[23:24], -v[19:20]
	;; [unrolled: 1-line block ×3, first 2 shown]
	v_cndmask_b32_e32 v38, 0, v38, vcc
	v_add_f64 v[21:22], v[21:22], v[37:38]
	v_add_f64 v[35:36], v[33:34], -v[35:36]
	v_add_f64 v[13:14], v[13:14], v[29:30]
	v_add_f64 v[45:46], v[31:32], v[21:22]
	v_add_f64 v[15:16], v[15:16], v[35:36]
	v_cvt_i32_f64_e32 v40, v[45:46]
	v_add_f64 v[13:14], v[15:16], v[13:14]
	v_cvt_f64_i32_e32 v[38:39], v40
	v_add_f64 v[21:22], v[21:22], -v[38:39]
	v_add_f64 v[13:14], v[17:18], v[13:14]
	v_add_f64 v[15:16], v[31:32], v[21:22]
	;; [unrolled: 1-line block ×3, first 2 shown]
	v_mov_b32_e32 v19, 0x3ff00000
	v_add_f64 v[17:18], v[15:16], -v[21:22]
	v_cmp_le_f64_e32 vcc, 0.5, v[15:16]
	v_add_f64 v[17:18], v[31:32], -v[17:18]
	v_cndmask_b32_e32 v38, 0, v19, vcc
	v_add_f64 v[15:16], v[15:16], -v[37:38]
	v_addc_co_u32_e64 v27, s[0:1], 0, v40, vcc
	s_mov_b32 s0, 0x54442d18
	s_mov_b32 s1, 0x3ff921fb
	v_add_f64 v[13:14], v[13:14], v[17:18]
	v_add_f64 v[17:18], v[15:16], v[13:14]
	v_mul_f64 v[19:20], v[17:18], s[0:1]
	v_add_f64 v[15:16], v[17:18], -v[15:16]
	v_fma_f64 v[21:22], v[17:18], s[0:1], -v[19:20]
	v_add_f64 v[13:14], v[13:14], -v[15:16]
	v_fma_f64 v[15:16], v[17:18], s[12:13], v[21:22]
	v_fma_f64 v[15:16], v[13:14], s[0:1], v[15:16]
	v_add_f64 v[13:14], v[19:20], v[15:16]
	v_add_f64 v[17:18], v[13:14], -v[19:20]
	v_add_f64 v[15:16], v[15:16], -v[17:18]
.LBB0_7:
	s_andn2_saveexec_b64 s[0:1], s[2:3]
	s_cbranch_execz .LBB0_9
; %bb.8:
	s_mov_b32 s2, 0x6dc9c883
	s_mov_b32 s3, 0x3fe45f30
	v_mul_f64 v[13:14], |v[7:8]|, s[2:3]
	s_mov_b32 s2, 0x54442d18
	s_mov_b32 s3, 0xbff921fb
	;; [unrolled: 1-line block ×4, first 2 shown]
	v_rndne_f64_e32 v[17:18], v[13:14]
	v_fma_f64 v[13:14], v[17:18], s[2:3], |v[7:8]|
	v_mul_f64 v[15:16], v[17:18], s[12:13]
	s_mov_b32 s2, 0x252049c0
	s_mov_b32 s3, 0xb97b839a
	v_cvt_i32_f64_e32 v27, v[17:18]
	v_fma_f64 v[23:24], v[17:18], s[12:13], v[13:14]
	v_add_f64 v[19:20], v[13:14], v[15:16]
	s_mov_b32 s13, 0x3c91a626
	v_add_f64 v[21:22], v[13:14], -v[19:20]
	v_add_f64 v[19:20], v[19:20], -v[23:24]
	v_add_f64 v[13:14], v[21:22], v[15:16]
	v_fma_f64 v[15:16], v[17:18], s[12:13], v[15:16]
	v_add_f64 v[13:14], v[19:20], v[13:14]
	v_add_f64 v[13:14], v[13:14], -v[15:16]
	v_fma_f64 v[15:16], v[17:18], s[2:3], v[13:14]
	v_add_f64 v[13:14], v[23:24], v[15:16]
	v_add_f64 v[19:20], v[13:14], -v[23:24]
	v_add_f64 v[15:16], v[15:16], -v[19:20]
.LBB0_9:
	s_or_b64 exec, exec, s[0:1]
	s_mov_b32 s0, 0
	s_mov_b32 s1, 0x41d00000
	s_waitcnt vmcnt(0)
	v_cmp_nlt_f64_e64 s[0:1], |v[1:2]|, s[0:1]
                                        ; implicit-def: $vgpr28
                                        ; implicit-def: $vgpr17_vgpr18
                                        ; implicit-def: $vgpr19_vgpr20
	s_and_saveexec_b64 s[2:3], s[0:1]
	s_xor_b64 s[0:1], exec, s[2:3]
	s_cbranch_execz .LBB0_11
; %bb.10:
	v_trig_preop_f64 v[17:18], |v[1:2]|, 0
	s_mov_b32 s2, 0
	s_mov_b32 s3, 0x7b000000
	s_movk_i32 s5, 0xff80
	v_ldexp_f64 v[19:20], |v[1:2]|, s5
	v_cmp_ge_f64_e64 vcc, |v[1:2]|, s[2:3]
	v_trig_preop_f64 v[21:22], |v[1:2]|, 1
	v_and_b32_e32 v23, 0x7fffffff, v2
	v_trig_preop_f64 v[32:33], |v[1:2]|, 2
	s_mov_b32 s2, 0
	s_mov_b32 s3, 0x7ff00000
	v_mov_b32_e32 v43, 0x40100000
	v_mov_b32_e32 v42, 0
	v_cndmask_b32_e32 v20, v23, v20, vcc
	v_cndmask_b32_e32 v19, v1, v19, vcc
	s_mov_b32 s12, 0x33145c07
	v_mul_f64 v[23:24], v[17:18], v[19:20]
	s_mov_b32 s13, 0x3c91a626
	v_mul_f64 v[28:29], v[21:22], v[19:20]
	v_mul_f64 v[38:39], v[32:33], v[19:20]
	v_fma_f64 v[17:18], v[17:18], v[19:20], -v[23:24]
	v_fma_f64 v[21:22], v[21:22], v[19:20], -v[28:29]
	;; [unrolled: 1-line block ×3, first 2 shown]
	v_add_f64 v[30:31], v[28:29], v[17:18]
	v_add_f64 v[34:35], v[30:31], -v[28:29]
	v_add_f64 v[40:41], v[23:24], v[30:31]
	v_add_f64 v[36:37], v[30:31], -v[34:35]
	v_add_f64 v[17:18], v[17:18], -v[34:35]
	v_add_f64 v[34:35], v[38:39], v[21:22]
	v_add_f64 v[23:24], v[40:41], -v[23:24]
	v_add_f64 v[28:29], v[28:29], -v[36:37]
	v_ldexp_f64 v[36:37], v[40:41], -2
	v_add_f64 v[23:24], v[30:31], -v[23:24]
	v_add_f64 v[17:18], v[17:18], v[28:29]
	v_fract_f64_e32 v[28:29], v[36:37]
	v_cmp_neq_f64_e64 vcc, |v[36:37]|, s[2:3]
	s_mov_b32 s2, 0x54442d18
	s_mov_b32 s3, 0x3ff921fb
	v_add_f64 v[30:31], v[34:35], v[17:18]
	v_ldexp_f64 v[28:29], v[28:29], 2
	v_add_f64 v[36:37], v[23:24], v[30:31]
	v_cndmask_b32_e32 v29, 0, v29, vcc
	v_cndmask_b32_e32 v28, 0, v28, vcc
	v_add_f64 v[44:45], v[30:31], -v[34:35]
	v_add_f64 v[40:41], v[36:37], v[28:29]
	v_add_f64 v[23:24], v[36:37], -v[23:24]
	v_add_f64 v[48:49], v[30:31], -v[44:45]
	;; [unrolled: 1-line block ×3, first 2 shown]
	v_cmp_gt_f64_e32 vcc, 0, v[40:41]
	v_add_f64 v[40:41], v[34:35], -v[38:39]
	v_add_f64 v[23:24], v[30:31], -v[23:24]
	v_cndmask_b32_e32 v43, 0, v43, vcc
	v_add_f64 v[28:29], v[28:29], v[42:43]
	v_add_f64 v[46:47], v[34:35], -v[40:41]
	v_add_f64 v[21:22], v[21:22], -v[40:41]
	;; [unrolled: 1-line block ×3, first 2 shown]
	v_add_f64 v[50:51], v[36:37], v[28:29]
	v_add_f64 v[40:41], v[38:39], -v[46:47]
	v_add_f64 v[17:18], v[17:18], v[34:35]
	v_cvt_i32_f64_e32 v45, v[50:51]
	v_add_f64 v[21:22], v[21:22], v[40:41]
	v_cvt_f64_i32_e32 v[43:44], v45
	v_add_f64 v[28:29], v[28:29], -v[43:44]
	v_add_f64 v[17:18], v[21:22], v[17:18]
	v_add_f64 v[21:22], v[36:37], v[28:29]
	;; [unrolled: 1-line block ×3, first 2 shown]
	v_add_f64 v[19:20], v[21:22], -v[28:29]
	v_cmp_le_f64_e32 vcc, 0.5, v[21:22]
	v_add_f64 v[17:18], v[23:24], v[17:18]
	v_mov_b32_e32 v23, 0x3ff00000
	v_add_f64 v[19:20], v[36:37], -v[19:20]
	v_cndmask_b32_e32 v43, 0, v23, vcc
	v_add_f64 v[17:18], v[17:18], v[19:20]
	v_add_f64 v[19:20], v[21:22], -v[42:43]
	v_add_f64 v[21:22], v[19:20], v[17:18]
	v_mul_f64 v[23:24], v[21:22], s[2:3]
	v_add_f64 v[19:20], v[21:22], -v[19:20]
	v_fma_f64 v[28:29], v[21:22], s[2:3], -v[23:24]
	v_add_f64 v[17:18], v[17:18], -v[19:20]
	v_fma_f64 v[19:20], v[21:22], s[12:13], v[28:29]
	v_addc_co_u32_e32 v28, vcc, 0, v45, vcc
	v_fma_f64 v[19:20], v[17:18], s[2:3], v[19:20]
	v_add_f64 v[17:18], v[23:24], v[19:20]
	v_add_f64 v[21:22], v[17:18], -v[23:24]
	v_add_f64 v[19:20], v[19:20], -v[21:22]
.LBB0_11:
	s_andn2_saveexec_b64 s[0:1], s[0:1]
	s_cbranch_execz .LBB0_13
; %bb.12:
	s_mov_b32 s2, 0x6dc9c883
	s_mov_b32 s3, 0x3fe45f30
	v_mul_f64 v[17:18], |v[1:2]|, s[2:3]
	s_mov_b32 s2, 0x54442d18
	s_mov_b32 s3, 0xbff921fb
	;; [unrolled: 1-line block ×4, first 2 shown]
	v_rndne_f64_e32 v[21:22], v[17:18]
	v_fma_f64 v[17:18], v[21:22], s[2:3], |v[1:2]|
	v_mul_f64 v[19:20], v[21:22], s[12:13]
	s_mov_b32 s2, 0x252049c0
	s_mov_b32 s3, 0xb97b839a
	v_fma_f64 v[30:31], v[21:22], s[12:13], v[17:18]
	v_add_f64 v[23:24], v[17:18], v[19:20]
	s_mov_b32 s13, 0x3c91a626
	v_add_f64 v[28:29], v[17:18], -v[23:24]
	v_add_f64 v[23:24], v[23:24], -v[30:31]
	v_add_f64 v[17:18], v[28:29], v[19:20]
	v_fma_f64 v[19:20], v[21:22], s[12:13], v[19:20]
	v_cvt_i32_f64_e32 v28, v[21:22]
	v_add_f64 v[17:18], v[23:24], v[17:18]
	v_add_f64 v[17:18], v[17:18], -v[19:20]
	v_fma_f64 v[19:20], v[21:22], s[2:3], v[17:18]
	v_add_f64 v[17:18], v[30:31], v[19:20]
	v_add_f64 v[23:24], v[17:18], -v[30:31]
	v_add_f64 v[19:20], v[19:20], -v[23:24]
.LBB0_13:
	s_or_b64 exec, exec, s[0:1]
	s_mov_b32 s0, 0
	s_mov_b32 s1, 0x41d00000
	v_cmp_nlt_f64_e64 s[0:1], |v[3:4]|, s[0:1]
                                        ; implicit-def: $vgpr29
                                        ; implicit-def: $vgpr21_vgpr22
                                        ; implicit-def: $vgpr23_vgpr24
	s_and_saveexec_b64 s[2:3], s[0:1]
	s_xor_b64 s[2:3], exec, s[2:3]
	s_cbranch_execz .LBB0_15
; %bb.14:
	v_trig_preop_f64 v[21:22], |v[3:4]|, 0
	s_mov_b32 s0, 0
	s_mov_b32 s1, 0x7b000000
	s_movk_i32 s5, 0xff80
	v_ldexp_f64 v[29:30], |v[3:4]|, s5
	v_cmp_ge_f64_e64 vcc, |v[3:4]|, s[0:1]
	v_trig_preop_f64 v[23:24], |v[3:4]|, 1
	v_and_b32_e32 v31, 0x7fffffff, v4
	v_trig_preop_f64 v[37:38], |v[3:4]|, 2
	s_mov_b32 s0, 0
	s_mov_b32 s1, 0x7ff00000
	v_mov_b32_e32 v48, 0x40100000
	v_mov_b32_e32 v47, 0
	v_cndmask_b32_e32 v30, v31, v30, vcc
	v_cndmask_b32_e32 v29, v3, v29, vcc
	s_mov_b32 s12, 0x33145c07
	v_mul_f64 v[31:32], v[21:22], v[29:30]
	s_mov_b32 s13, 0x3c91a626
	v_mul_f64 v[33:34], v[23:24], v[29:30]
	v_mul_f64 v[43:44], v[37:38], v[29:30]
	v_fma_f64 v[21:22], v[21:22], v[29:30], -v[31:32]
	v_fma_f64 v[23:24], v[23:24], v[29:30], -v[33:34]
	;; [unrolled: 1-line block ×3, first 2 shown]
	v_add_f64 v[35:36], v[33:34], v[21:22]
	v_add_f64 v[39:40], v[35:36], -v[33:34]
	v_add_f64 v[45:46], v[31:32], v[35:36]
	v_add_f64 v[41:42], v[35:36], -v[39:40]
	v_add_f64 v[21:22], v[21:22], -v[39:40]
	v_add_f64 v[39:40], v[43:44], v[23:24]
	v_add_f64 v[31:32], v[45:46], -v[31:32]
	v_add_f64 v[33:34], v[33:34], -v[41:42]
	v_ldexp_f64 v[41:42], v[45:46], -2
	v_add_f64 v[49:50], v[39:40], -v[43:44]
	v_add_f64 v[31:32], v[35:36], -v[31:32]
	v_add_f64 v[21:22], v[21:22], v[33:34]
	v_fract_f64_e32 v[33:34], v[41:42]
	v_cmp_neq_f64_e64 vcc, |v[41:42]|, s[0:1]
	v_add_f64 v[23:24], v[23:24], -v[49:50]
	v_add_f64 v[35:36], v[39:40], v[21:22]
	v_ldexp_f64 v[33:34], v[33:34], 2
	v_add_f64 v[41:42], v[31:32], v[35:36]
	v_cndmask_b32_e32 v34, 0, v34, vcc
	v_cndmask_b32_e32 v33, 0, v33, vcc
	v_add_f64 v[51:52], v[35:36], -v[39:40]
	v_add_f64 v[45:46], v[41:42], v[33:34]
	v_add_f64 v[31:32], v[41:42], -v[31:32]
	v_add_f64 v[53:54], v[35:36], -v[51:52]
	;; [unrolled: 1-line block ×3, first 2 shown]
	v_cmp_gt_f64_e32 vcc, 0, v[45:46]
	v_add_f64 v[45:46], v[39:40], -v[49:50]
	v_add_f64 v[31:32], v[35:36], -v[31:32]
	;; [unrolled: 1-line block ×3, first 2 shown]
	v_cndmask_b32_e32 v48, 0, v48, vcc
	v_add_f64 v[33:34], v[33:34], v[47:48]
	v_add_f64 v[45:46], v[43:44], -v[45:46]
	v_add_f64 v[21:22], v[21:22], v[39:40]
	v_add_f64 v[55:56], v[41:42], v[33:34]
	v_add_f64 v[23:24], v[23:24], v[45:46]
	v_cvt_i32_f64_e32 v50, v[55:56]
	v_add_f64 v[21:22], v[23:24], v[21:22]
	v_cvt_f64_i32_e32 v[48:49], v50
	v_add_f64 v[33:34], v[33:34], -v[48:49]
	v_add_f64 v[21:22], v[29:30], v[21:22]
	v_add_f64 v[23:24], v[41:42], v[33:34]
	;; [unrolled: 1-line block ×3, first 2 shown]
	v_mov_b32_e32 v32, 0x3ff00000
	v_add_f64 v[29:30], v[23:24], -v[33:34]
	v_cmp_le_f64_e32 vcc, 0.5, v[23:24]
	v_add_f64 v[30:31], v[41:42], -v[29:30]
	v_cndmask_b32_e32 v48, 0, v32, vcc
	v_add_f64 v[23:24], v[23:24], -v[47:48]
	v_addc_co_u32_e64 v29, s[0:1], 0, v50, vcc
	s_mov_b32 s0, 0x54442d18
	s_mov_b32 s1, 0x3ff921fb
	v_add_f64 v[21:22], v[21:22], v[30:31]
	v_add_f64 v[30:31], v[23:24], v[21:22]
	v_mul_f64 v[32:33], v[30:31], s[0:1]
	v_add_f64 v[23:24], v[30:31], -v[23:24]
	v_fma_f64 v[34:35], v[30:31], s[0:1], -v[32:33]
	v_add_f64 v[21:22], v[21:22], -v[23:24]
	v_fma_f64 v[23:24], v[30:31], s[12:13], v[34:35]
	v_fma_f64 v[23:24], v[21:22], s[0:1], v[23:24]
	v_add_f64 v[21:22], v[32:33], v[23:24]
	v_add_f64 v[30:31], v[21:22], -v[32:33]
	v_add_f64 v[23:24], v[23:24], -v[30:31]
.LBB0_15:
	s_andn2_saveexec_b64 s[0:1], s[2:3]
	s_cbranch_execz .LBB0_17
; %bb.16:
	s_mov_b32 s2, 0x6dc9c883
	s_mov_b32 s3, 0x3fe45f30
	v_mul_f64 v[21:22], |v[3:4]|, s[2:3]
	s_mov_b32 s2, 0x54442d18
	s_mov_b32 s3, 0xbff921fb
	;; [unrolled: 1-line block ×4, first 2 shown]
	v_rndne_f64_e32 v[29:30], v[21:22]
	v_fma_f64 v[21:22], v[29:30], s[2:3], |v[3:4]|
	v_mul_f64 v[23:24], v[29:30], s[12:13]
	s_mov_b32 s2, 0x252049c0
	s_mov_b32 s3, 0xb97b839a
	v_fma_f64 v[35:36], v[29:30], s[12:13], v[21:22]
	v_add_f64 v[31:32], v[21:22], v[23:24]
	s_mov_b32 s13, 0x3c91a626
	v_add_f64 v[33:34], v[21:22], -v[31:32]
	v_add_f64 v[31:32], v[31:32], -v[35:36]
	v_add_f64 v[21:22], v[33:34], v[23:24]
	v_fma_f64 v[23:24], v[29:30], s[12:13], v[23:24]
	v_add_f64 v[21:22], v[31:32], v[21:22]
	v_add_f64 v[21:22], v[21:22], -v[23:24]
	v_fma_f64 v[23:24], v[29:30], s[2:3], v[21:22]
	v_cvt_i32_f64_e32 v29, v[29:30]
	v_add_f64 v[21:22], v[35:36], v[23:24]
	v_add_f64 v[31:32], v[21:22], -v[35:36]
	v_add_f64 v[23:24], v[23:24], -v[31:32]
.LBB0_17:
	s_or_b64 exec, exec, s[0:1]
	v_mul_f64 v[30:31], v[17:18], v[17:18]
	s_mov_b32 s12, 0xb42fdfa7
	s_mov_b32 s13, 0xbe5ae600
	;; [unrolled: 1-line block ×3, first 2 shown]
	v_mov_b32_e32 v33, s13
	s_mov_b32 s3, 0x3de5e0b2
	v_mov_b32_e32 v32, s12
	s_mov_b32 s14, 0x9037ab78
	v_fma_f64 v[34:35], v[30:31], s[2:3], v[32:33]
	s_mov_b32 s15, 0x3e21eeb6
	s_mov_b32 s0, 0x796cde01
	;; [unrolled: 1-line block ×3, first 2 shown]
	v_mov_b32_e32 v37, s15
	s_mov_b32 s1, 0x3ec71de3
	s_mov_b32 s13, 0xbda907db
	v_mov_b32_e32 v36, s14
	v_fma_f64 v[38:39], v[30:31], s[12:13], v[36:37]
	v_mul_f64 v[40:41], v[30:31], 0.5
	v_fma_f64 v[34:35], v[30:31], v[34:35], s[0:1]
	s_mov_b32 s14, 0x19e83e5c
	s_mov_b32 s16, 0xa17f65f6
	;; [unrolled: 1-line block ×4, first 2 shown]
	v_mul_f64 v[46:47], v[13:14], v[13:14]
	v_fma_f64 v[38:39], v[30:31], v[38:39], s[16:17]
	v_add_f64 v[44:45], -v[40:41], 1.0
	v_fma_f64 v[34:35], v[30:31], v[34:35], s[14:15]
	s_mov_b32 s18, 0x11110bb3
	s_mov_b32 s20, 0x19f4ec90
	;; [unrolled: 1-line block ×4, first 2 shown]
	v_mul_f64 v[42:43], v[17:18], -v[30:31]
	v_fma_f64 v[38:39], v[30:31], v[38:39], s[20:21]
	v_mul_f64 v[48:49], v[19:20], 0.5
	v_add_f64 v[50:51], -v[44:45], 1.0
	v_fma_f64 v[34:35], v[30:31], v[34:35], s[18:19]
	v_fma_f64 v[52:53], v[46:47], s[2:3], v[32:33]
	s_mov_b32 s24, 0x16c16967
	s_mov_b32 s25, 0xbf56c16c
	v_mul_f64 v[54:55], v[46:47], 0.5
	v_fma_f64 v[38:39], v[30:31], v[38:39], s[24:25]
	s_mov_b32 s22, 0x55555555
	v_add_f64 v[40:41], v[50:51], -v[40:41]
	v_fma_f64 v[34:35], v[42:43], v[34:35], v[48:49]
	v_fma_f64 v[50:51], v[46:47], v[52:53], s[0:1]
	;; [unrolled: 1-line block ×3, first 2 shown]
	s_mov_b32 s23, 0xbfc55555
	s_mov_b32 s27, 0x3fa55555
	;; [unrolled: 1-line block ×3, first 2 shown]
	v_mul_f64 v[48:49], v[30:31], v[30:31]
	v_fma_f64 v[38:39], v[30:31], v[38:39], s[26:27]
	v_fma_f64 v[40:41], v[17:18], -v[19:20], v[40:41]
	v_fma_f64 v[19:20], v[30:31], v[34:35], -v[19:20]
	v_fma_f64 v[30:31], v[46:47], v[50:51], s[14:15]
	v_fma_f64 v[34:35], v[46:47], v[52:53], s[16:17]
	v_add_f64 v[50:51], -v[54:55], 1.0
	s_movk_i32 s5, 0x1f8
	v_mul_f64 v[52:53], v[23:24], 0.5
	v_mov_b32_e32 v56, 0x7ff80000
	v_fma_f64 v[38:39], v[48:49], v[38:39], v[40:41]
	v_fma_f64 v[19:20], v[42:43], s[22:23], v[19:20]
	v_mul_f64 v[40:41], v[15:16], 0.5
	v_mul_f64 v[42:43], v[13:14], -v[46:47]
	v_fma_f64 v[30:31], v[46:47], v[30:31], s[18:19]
	v_fma_f64 v[34:35], v[46:47], v[34:35], s[20:21]
	v_add_f64 v[48:49], -v[50:51], 1.0
	v_add_f64 v[38:39], v[44:45], v[38:39]
	v_add_f64 v[17:18], v[17:18], -v[19:20]
	v_mul_f64 v[19:20], v[9:10], v[9:10]
	v_and_b32_e32 v44, 1, v28
	v_fma_f64 v[30:31], v[42:43], v[30:31], v[40:41]
	v_fma_f64 v[34:35], v[46:47], v[34:35], s[24:25]
	v_add_f64 v[40:41], v[48:49], -v[54:55]
	v_lshlrev_b32_e32 v28, 30, v28
	v_cmp_eq_u32_e32 vcc, 0, v44
	v_cndmask_b32_e32 v44, v38, v17, vcc
	v_xor_b32_e32 v17, v28, v2
	v_cndmask_b32_e32 v45, v39, v18, vcc
	v_and_b32_e32 v28, 0x80000000, v17
	v_fma_f64 v[17:18], v[46:47], v[30:31], -v[15:16]
	v_mul_f64 v[30:31], v[46:47], v[46:47]
	v_fma_f64 v[34:35], v[46:47], v[34:35], s[26:27]
	v_fma_f64 v[38:39], v[19:20], s[2:3], v[32:33]
	v_fma_f64 v[15:16], v[13:14], -v[15:16], v[40:41]
	v_mul_f64 v[40:41], v[21:22], v[21:22]
	v_cmp_class_f64_e64 vcc, v[1:2], s5
	v_xor_b32_e32 v28, v45, v28
	v_fma_f64 v[17:18], v[42:43], s[22:23], v[17:18]
	v_mul_f64 v[46:47], v[11:12], 0.5
	v_mul_f64 v[54:55], v[19:20], v[19:20]
	v_fma_f64 v[38:39], v[19:20], v[38:39], s[0:1]
	v_fma_f64 v[15:16], v[30:31], v[34:35], v[15:16]
	;; [unrolled: 1-line block ×3, first 2 shown]
	v_mul_f64 v[34:35], v[19:20], 0.5
	v_fma_f64 v[32:33], v[40:41], s[2:3], v[32:33]
	v_add_f64 v[13:14], v[13:14], -v[17:18]
	v_mul_f64 v[42:43], v[40:41], 0.5
	v_fma_f64 v[36:37], v[40:41], s[12:13], v[36:37]
	v_fma_f64 v[17:18], v[19:20], v[38:39], s[14:15]
	v_cndmask_b32_e32 v1, 0, v44, vcc
	v_fma_f64 v[30:31], v[19:20], v[30:31], s[16:17]
	v_add_f64 v[38:39], -v[34:35], 1.0
	v_fma_f64 v[32:33], v[40:41], v[32:33], s[0:1]
	v_add_f64 v[15:16], v[50:51], v[15:16]
	v_mul_f64 v[44:45], v[9:10], -v[19:20]
	v_add_f64 v[50:51], -v[42:43], 1.0
	v_fma_f64 v[17:18], v[19:20], v[17:18], s[18:19]
	v_fma_f64 v[36:37], v[40:41], v[36:37], s[16:17]
	;; [unrolled: 1-line block ×3, first 2 shown]
	v_add_f64 v[48:49], -v[38:39], 1.0
	v_fma_f64 v[32:33], v[40:41], v[32:33], s[14:15]
	v_cndmask_b32_e32 v2, v56, v28, vcc
	v_and_b32_e32 v28, 1, v27
	v_cmp_eq_u32_e32 vcc, 0, v28
	v_fma_f64 v[17:18], v[44:45], v[17:18], v[46:47]
	v_add_f64 v[46:47], -v[50:51], 1.0
	v_fma_f64 v[30:31], v[19:20], v[30:31], s[24:25]
	v_add_f64 v[34:35], v[48:49], -v[34:35]
	v_fma_f64 v[36:37], v[40:41], v[36:37], s[20:21]
	v_fma_f64 v[32:33], v[40:41], v[32:33], s[18:19]
	v_mul_f64 v[48:49], v[21:22], -v[40:41]
	v_cndmask_b32_e32 v28, v15, v13, vcc
	v_fma_f64 v[17:18], v[19:20], v[17:18], -v[11:12]
	v_cmp_class_f64_e64 s[0:1], v[7:8], s5
	v_fma_f64 v[19:20], v[19:20], v[30:31], s[26:27]
	v_fma_f64 v[11:12], v[9:10], -v[11:12], v[34:35]
	v_fma_f64 v[30:31], v[40:41], v[36:37], s[24:25]
	v_add_f64 v[34:35], v[46:47], -v[42:43]
	v_fma_f64 v[32:33], v[48:49], v[32:33], v[52:53]
	v_cndmask_b32_e32 v7, v16, v14, vcc
	v_fma_f64 v[13:14], v[44:45], s[22:23], v[17:18]
	v_mul_f64 v[15:16], v[40:41], v[40:41]
	v_lshlrev_b32_e32 v27, 30, v27
	v_fma_f64 v[11:12], v[54:55], v[19:20], v[11:12]
	v_fma_f64 v[17:18], v[40:41], v[30:31], s[26:27]
	v_fma_f64 v[19:20], v[21:22], -v[23:24], v[34:35]
	v_fma_f64 v[23:24], v[40:41], v[32:33], -v[23:24]
	v_xor_b32_e32 v8, v27, v8
	v_add_f64 v[9:10], v[9:10], -v[13:14]
	v_and_b32_e32 v8, 0x80000000, v8
	v_xor_b32_e32 v8, v7, v8
	v_add_f64 v[11:12], v[38:39], v[11:12]
	v_cndmask_b32_e64 v7, 0, v28, s[0:1]
	v_fma_f64 v[13:14], v[15:16], v[17:18], v[19:20]
	v_fma_f64 v[15:16], v[48:49], s[22:23], v[23:24]
	v_and_b32_e32 v17, 1, v26
	v_cmp_eq_u32_e32 vcc, 0, v17
	v_cndmask_b32_e64 v8, v56, v8, s[0:1]
	v_cmp_class_f64_e64 s[0:1], v[5:6], s5
	v_cndmask_b32_e32 v17, v11, v9, vcc
	v_cndmask_b32_e32 v5, v12, v10, vcc
	v_add_f64 v[9:10], v[50:51], v[13:14]
	v_add_f64 v[11:12], v[21:22], -v[15:16]
	v_cmp_class_f64_e64 s[2:3], v[3:4], s5
	v_lshlrev_b32_e32 v13, 30, v26
	v_xor_b32_e32 v6, v13, v6
	v_and_b32_e32 v13, 1, v29
	v_cmp_eq_u32_e32 vcc, 0, v13
	v_and_b32_e32 v6, 0x80000000, v6
	v_xor_b32_e32 v6, v5, v6
	v_cndmask_b32_e32 v3, v10, v12, vcc
	v_lshlrev_b32_e32 v10, 30, v29
	v_xor_b32_e32 v4, v10, v4
	v_cndmask_b32_e64 v5, 0, v17, s[0:1]
	v_cndmask_b32_e64 v6, v56, v6, s[0:1]
	v_and_b32_e32 v4, 0x80000000, v4
	s_add_u32 s0, s8, s6
	v_cndmask_b32_e32 v9, v9, v11, vcc
	v_xor_b32_e32 v4, v3, v4
	s_addc_u32 s1, s9, s7
	v_cndmask_b32_e64 v3, 0, v9, s[2:3]
	v_cndmask_b32_e64 v4, v56, v4, s[2:3]
	global_store_dwordx4 v25, v[5:8], s[0:1]
	global_store_dwordx4 v25, v[1:4], s[0:1] offset:16
	s_mov_b64 s[0:1], 0
.LBB0_18:
	s_and_b64 vcc, exec, s[0:1]
	s_cbranch_vccz .LBB0_51
; %bb.19:
	v_mov_b32_e32 v10, 0
	v_mov_b32_e32 v16, 0
	v_cmp_gt_i32_e32 vcc, s28, v0
	v_mov_b32_e32 v11, 0
	v_or_b32_e32 v1, s4, v0
	v_mov_b32_e32 v17, 0
	v_mov_b32_e32 v6, v0
	s_and_saveexec_b64 s[2:3], vcc
	s_cbranch_execz .LBB0_21
; %bb.20:
	v_mov_b32_e32 v2, 0
	v_lshlrev_b64 v[2:3], 3, v[1:2]
	v_mov_b32_e32 v4, s11
	v_add_co_u32_e64 v2, s[0:1], s10, v2
	v_addc_co_u32_e64 v3, s[0:1], v4, v3, s[0:1]
	global_load_dwordx2 v[16:17], v[2:3], off
	v_or_b32_e32 v6, 0x100, v0
.LBB0_21:
	s_or_b64 exec, exec, s[2:3]
	v_cmp_gt_i32_e64 s[0:1], s28, v6
	s_and_saveexec_b64 s[2:3], s[0:1]
	s_cbranch_execz .LBB0_23
; %bb.22:
	v_add_u32_e32 v2, s4, v6
	v_mov_b32_e32 v3, 0
	v_lshlrev_b64 v[2:3], 3, v[2:3]
	v_mov_b32_e32 v4, s11
	v_add_co_u32_e64 v2, s[0:1], s10, v2
	v_addc_co_u32_e64 v3, s[0:1], v4, v3, s[0:1]
	global_load_dwordx2 v[10:11], v[2:3], off
	v_add_u32_e32 v6, 0x100, v6
.LBB0_23:
	s_or_b64 exec, exec, s[2:3]
	v_mov_b32_e32 v2, 0
	v_mov_b32_e32 v4, 0
	;; [unrolled: 1-line block ×4, first 2 shown]
	v_cmp_gt_i32_e64 s[0:1], s28, v6
	s_and_saveexec_b64 s[2:3], s[0:1]
	s_cbranch_execz .LBB0_25
; %bb.24:
	v_add_u32_e32 v4, s4, v6
	v_mov_b32_e32 v5, 0
	v_lshlrev_b64 v[4:5], 3, v[4:5]
	v_mov_b32_e32 v7, s11
	v_add_co_u32_e64 v4, s[0:1], s10, v4
	v_addc_co_u32_e64 v5, s[0:1], v7, v5, s[0:1]
	global_load_dwordx2 v[4:5], v[4:5], off
	v_add_u32_e32 v6, 0x100, v6
.LBB0_25:
	s_or_b64 exec, exec, s[2:3]
	v_cmp_gt_i32_e64 s[0:1], s28, v6
	s_and_saveexec_b64 s[2:3], s[0:1]
	s_cbranch_execz .LBB0_27
; %bb.26:
	v_add_u32_e32 v2, s4, v6
	v_mov_b32_e32 v3, 0
	v_lshlrev_b64 v[2:3], 3, v[2:3]
	v_mov_b32_e32 v6, s11
	v_add_co_u32_e64 v2, s[0:1], s10, v2
	v_addc_co_u32_e64 v3, s[0:1], v6, v3, s[0:1]
	global_load_dwordx2 v[2:3], v[2:3], off
.LBB0_27:
	s_or_b64 exec, exec, s[2:3]
	v_mov_b32_e32 v6, 0
	v_mov_b32_e32 v7, v6
	;; [unrolled: 1-line block ×8, first 2 shown]
	s_and_saveexec_b64 s[6:7], vcc
	s_cbranch_execz .LBB0_33
; %bb.28:
	s_mov_b32 s0, 0
	s_mov_b32 s1, 0x41d00000
	s_waitcnt vmcnt(0)
	v_cmp_nlt_f64_e64 s[0:1], |v[16:17]|, s[0:1]
                                        ; implicit-def: $vgpr12
                                        ; implicit-def: $vgpr6_vgpr7
                                        ; implicit-def: $vgpr8_vgpr9
	s_and_saveexec_b64 s[2:3], s[0:1]
	s_xor_b64 s[10:11], exec, s[2:3]
	s_cbranch_execz .LBB0_30
; %bb.29:
	v_trig_preop_f64 v[6:7], |v[16:17]|, 0
	s_mov_b32 s0, 0
	s_mov_b32 s1, 0x7b000000
	s_movk_i32 s2, 0xff80
	v_ldexp_f64 v[12:13], |v[16:17]|, s2
	v_cmp_ge_f64_e64 s[0:1], |v[16:17]|, s[0:1]
	v_trig_preop_f64 v[8:9], |v[16:17]|, 1
	v_and_b32_e32 v14, 0x7fffffff, v17
	v_trig_preop_f64 v[22:23], |v[16:17]|, 2
	v_mov_b32_e32 v33, 0x40100000
	v_mov_b32_e32 v32, 0
	v_cndmask_b32_e64 v13, v14, v13, s[0:1]
	v_cndmask_b32_e64 v12, v16, v12, s[0:1]
	s_mov_b32 s0, 0
	v_mul_f64 v[14:15], v[6:7], v[12:13]
	s_mov_b32 s1, 0x7ff00000
	v_mul_f64 v[18:19], v[8:9], v[12:13]
	v_mul_f64 v[28:29], v[22:23], v[12:13]
	v_fma_f64 v[6:7], v[6:7], v[12:13], -v[14:15]
	v_fma_f64 v[8:9], v[8:9], v[12:13], -v[18:19]
	;; [unrolled: 1-line block ×3, first 2 shown]
	v_add_f64 v[20:21], v[18:19], v[6:7]
	v_add_f64 v[24:25], v[20:21], -v[18:19]
	v_add_f64 v[30:31], v[14:15], v[20:21]
	v_add_f64 v[26:27], v[20:21], -v[24:25]
	v_add_f64 v[6:7], v[6:7], -v[24:25]
	v_add_f64 v[24:25], v[28:29], v[8:9]
	v_add_f64 v[14:15], v[30:31], -v[14:15]
	v_add_f64 v[18:19], v[18:19], -v[26:27]
	v_ldexp_f64 v[26:27], v[30:31], -2
	v_add_f64 v[34:35], v[24:25], -v[28:29]
	v_add_f64 v[14:15], v[20:21], -v[14:15]
	v_add_f64 v[6:7], v[6:7], v[18:19]
	v_fract_f64_e32 v[18:19], v[26:27]
	v_cmp_neq_f64_e64 s[0:1], |v[26:27]|, s[0:1]
	v_add_f64 v[8:9], v[8:9], -v[34:35]
	v_add_f64 v[20:21], v[24:25], v[6:7]
	v_ldexp_f64 v[18:19], v[18:19], 2
	v_add_f64 v[26:27], v[14:15], v[20:21]
	v_cndmask_b32_e64 v19, 0, v19, s[0:1]
	v_cndmask_b32_e64 v18, 0, v18, s[0:1]
	v_add_f64 v[36:37], v[20:21], -v[24:25]
	v_add_f64 v[30:31], v[26:27], v[18:19]
	v_add_f64 v[14:15], v[26:27], -v[14:15]
	v_add_f64 v[38:39], v[20:21], -v[36:37]
	;; [unrolled: 1-line block ×3, first 2 shown]
	v_cmp_gt_f64_e64 s[0:1], 0, v[30:31]
	v_add_f64 v[30:31], v[24:25], -v[34:35]
	v_add_f64 v[14:15], v[20:21], -v[14:15]
	;; [unrolled: 1-line block ×3, first 2 shown]
	v_cndmask_b32_e64 v33, 0, v33, s[0:1]
	v_add_f64 v[18:19], v[18:19], v[32:33]
	v_add_f64 v[30:31], v[28:29], -v[30:31]
	v_add_f64 v[6:7], v[6:7], v[24:25]
	v_add_f64 v[40:41], v[26:27], v[18:19]
	;; [unrolled: 1-line block ×3, first 2 shown]
	v_cvt_i32_f64_e32 v35, v[40:41]
	v_add_f64 v[6:7], v[8:9], v[6:7]
	v_cvt_f64_i32_e32 v[33:34], v35
	v_add_f64 v[18:19], v[18:19], -v[33:34]
	v_add_f64 v[6:7], v[12:13], v[6:7]
	v_add_f64 v[8:9], v[26:27], v[18:19]
	;; [unrolled: 1-line block ×3, first 2 shown]
	v_mov_b32_e32 v15, 0x3ff00000
	v_add_f64 v[12:13], v[8:9], -v[18:19]
	v_cmp_le_f64_e64 s[0:1], 0.5, v[8:9]
	v_add_f64 v[13:14], v[26:27], -v[12:13]
	v_cndmask_b32_e64 v33, 0, v15, s[0:1]
	v_add_f64 v[8:9], v[8:9], -v[32:33]
	v_addc_co_u32_e64 v12, s[2:3], 0, v35, s[0:1]
	s_mov_b32 s0, 0x54442d18
	s_mov_b32 s1, 0x3ff921fb
	;; [unrolled: 1-line block ×3, first 2 shown]
	v_add_f64 v[6:7], v[6:7], v[13:14]
	s_mov_b32 s3, 0x3c91a626
	v_add_f64 v[13:14], v[8:9], v[6:7]
	v_mul_f64 v[18:19], v[13:14], s[0:1]
	v_add_f64 v[8:9], v[13:14], -v[8:9]
	v_fma_f64 v[20:21], v[13:14], s[0:1], -v[18:19]
	v_add_f64 v[6:7], v[6:7], -v[8:9]
	v_fma_f64 v[8:9], v[13:14], s[2:3], v[20:21]
	v_fma_f64 v[8:9], v[6:7], s[0:1], v[8:9]
	v_add_f64 v[6:7], v[18:19], v[8:9]
	v_add_f64 v[13:14], v[6:7], -v[18:19]
	v_add_f64 v[8:9], v[8:9], -v[13:14]
.LBB0_30:
	s_andn2_saveexec_b64 s[0:1], s[10:11]
	s_cbranch_execz .LBB0_32
; %bb.31:
	s_mov_b32 s2, 0x6dc9c883
	s_mov_b32 s3, 0x3fe45f30
	v_mul_f64 v[6:7], |v[16:17]|, s[2:3]
	s_mov_b32 s2, 0x54442d18
	s_mov_b32 s3, 0xbff921fb
	;; [unrolled: 1-line block ×4, first 2 shown]
	v_rndne_f64_e32 v[12:13], v[6:7]
	v_fma_f64 v[6:7], v[12:13], s[2:3], |v[16:17]|
	v_mul_f64 v[8:9], v[12:13], s[10:11]
	s_mov_b32 s2, 0x252049c0
	s_mov_b32 s3, 0xb97b839a
	v_fma_f64 v[20:21], v[12:13], s[10:11], v[6:7]
	v_add_f64 v[14:15], v[6:7], v[8:9]
	s_mov_b32 s11, 0x3c91a626
	v_add_f64 v[18:19], v[6:7], -v[14:15]
	v_add_f64 v[14:15], v[14:15], -v[20:21]
	v_add_f64 v[6:7], v[18:19], v[8:9]
	v_fma_f64 v[8:9], v[12:13], s[10:11], v[8:9]
	v_add_f64 v[6:7], v[14:15], v[6:7]
	v_add_f64 v[6:7], v[6:7], -v[8:9]
	v_fma_f64 v[8:9], v[12:13], s[2:3], v[6:7]
	v_cvt_i32_f64_e32 v12, v[12:13]
	v_add_f64 v[6:7], v[20:21], v[8:9]
	v_add_f64 v[14:15], v[6:7], -v[20:21]
	v_add_f64 v[8:9], v[8:9], -v[14:15]
.LBB0_32:
	s_or_b64 exec, exec, s[0:1]
	v_mul_f64 v[13:14], v[6:7], v[6:7]
	s_mov_b32 s0, 0xf9a43bb8
	v_mov_b32_e32 v19, 0xb42fdfa7
	v_mov_b32_e32 v20, 0xbe5ae600
	s_mov_b32 s1, 0x3de5e0b2
	s_mov_b32 s2, 0x796cde01
	v_mov_b32_e32 v18, 0x9037ab78
	s_mov_b32 s3, 0x3ec71de3
	v_fma_f64 v[20:21], v[13:14], s[0:1], v[19:20]
	s_mov_b32 s0, 0x46cc5e42
	v_mov_b32_e32 v19, 0x3e21eeb6
	s_mov_b32 s1, 0xbda907db
	v_fma_f64 v[18:19], v[13:14], s[0:1], v[18:19]
	v_mul_f64 v[22:23], v[13:14], 0.5
	s_mov_b32 s0, 0xa17f65f6
	s_mov_b32 s10, 0x19e83e5c
	v_fma_f64 v[20:21], v[13:14], v[20:21], s[2:3]
	s_mov_b32 s1, 0xbe927e4f
	s_mov_b32 s11, 0xbf2a01a0
	;; [unrolled: 1-line block ×3, first 2 shown]
	v_fma_f64 v[18:19], v[13:14], v[18:19], s[0:1]
	v_add_f64 v[24:25], -v[22:23], 1.0
	s_mov_b32 s0, 0x11110bb3
	s_mov_b32 s3, 0x3efa01a0
	v_fma_f64 v[20:21], v[13:14], v[20:21], s[10:11]
	s_mov_b32 s1, 0x3f811111
	v_mul_f64 v[26:27], v[8:9], 0.5
	v_mul_f64 v[28:29], v[6:7], -v[13:14]
	v_fma_f64 v[18:19], v[13:14], v[18:19], s[2:3]
	v_add_f64 v[30:31], -v[24:25], 1.0
	s_movk_i32 s2, 0x1f8
	v_cmp_class_f64_e64 s[2:3], v[16:17], s2
	v_fma_f64 v[20:21], v[13:14], v[20:21], s[0:1]
	s_mov_b32 s0, 0x16c16967
	s_mov_b32 s1, 0xbf56c16c
	v_fma_f64 v[18:19], v[13:14], v[18:19], s[0:1]
	v_add_f64 v[22:23], v[30:31], -v[22:23]
	s_mov_b32 s1, 0x3fa55555
	s_mov_b32 s0, 0x55555555
	v_fma_f64 v[20:21], v[28:29], v[20:21], v[26:27]
	v_mul_f64 v[26:27], v[13:14], v[13:14]
	v_fma_f64 v[18:19], v[13:14], v[18:19], s[0:1]
	v_fma_f64 v[22:23], v[6:7], -v[8:9], v[22:23]
	s_mov_b32 s1, 0xbfc55555
	v_fma_f64 v[8:9], v[13:14], v[20:21], -v[8:9]
	v_and_b32_e32 v20, 1, v12
	v_fma_f64 v[13:14], v[26:27], v[18:19], v[22:23]
	v_fma_f64 v[8:9], v[28:29], s[0:1], v[8:9]
	v_cmp_eq_u32_e64 s[0:1], 0, v20
	v_add_f64 v[18:19], v[24:25], v[13:14]
	v_mov_b32_e32 v14, 0
	v_mov_b32_e32 v15, v14
	v_add_f64 v[6:7], v[6:7], -v[8:9]
	v_lshlrev_b32_e32 v8, 30, v12
	v_xor_b32_e32 v21, v8, v17
	v_and_b32_e32 v16, 0x80000000, v21
	v_mov_b32_e32 v9, 0x7ff80000
	v_mov_b32_e32 v12, v14
	;; [unrolled: 1-line block ×4, first 2 shown]
	v_cndmask_b32_e64 v7, v19, v7, s[0:1]
	v_cndmask_b32_e64 v6, v18, v6, s[0:1]
	v_xor_b32_e32 v7, v7, v16
	v_cndmask_b32_e64 v6, 0, v6, s[2:3]
	v_cndmask_b32_e64 v7, v9, v7, s[2:3]
	v_mov_b32_e32 v9, v14
.LBB0_33:
	s_or_b64 exec, exec, s[6:7]
	v_or_b32_e32 v18, 0x100, v0
	v_cmp_gt_i32_e64 s[0:1], s28, v18
	s_and_saveexec_b64 s[6:7], s[0:1]
	s_cbranch_execz .LBB0_39
; %bb.34:
	s_mov_b32 s0, 0
	s_mov_b32 s1, 0x41d00000
	s_waitcnt vmcnt(0)
	v_cmp_nlt_f64_e64 s[0:1], |v[10:11]|, s[0:1]
                                        ; implicit-def: $vgpr19
                                        ; implicit-def: $vgpr14_vgpr15
                                        ; implicit-def: $vgpr16_vgpr17
	s_and_saveexec_b64 s[2:3], s[0:1]
	s_xor_b64 s[10:11], exec, s[2:3]
	s_cbranch_execz .LBB0_36
; %bb.35:
	v_trig_preop_f64 v[14:15], |v[10:11]|, 0
	s_mov_b32 s0, 0
	s_mov_b32 s1, 0x7b000000
	s_movk_i32 s2, 0xff80
	v_ldexp_f64 v[19:20], |v[10:11]|, s2
	v_cmp_ge_f64_e64 s[0:1], |v[10:11]|, s[0:1]
	v_trig_preop_f64 v[16:17], |v[10:11]|, 1
	v_and_b32_e32 v21, 0x7fffffff, v11
	v_trig_preop_f64 v[27:28], |v[10:11]|, 2
	v_mov_b32_e32 v38, 0x40100000
	v_mov_b32_e32 v37, 0
	v_cndmask_b32_e64 v20, v21, v20, s[0:1]
	v_cndmask_b32_e64 v19, v10, v19, s[0:1]
	s_mov_b32 s0, 0
	v_mul_f64 v[21:22], v[14:15], v[19:20]
	s_mov_b32 s1, 0x7ff00000
	v_mul_f64 v[23:24], v[16:17], v[19:20]
	v_mul_f64 v[33:34], v[27:28], v[19:20]
	v_fma_f64 v[14:15], v[14:15], v[19:20], -v[21:22]
	v_fma_f64 v[16:17], v[16:17], v[19:20], -v[23:24]
	;; [unrolled: 1-line block ×3, first 2 shown]
	v_add_f64 v[25:26], v[23:24], v[14:15]
	v_add_f64 v[29:30], v[25:26], -v[23:24]
	v_add_f64 v[35:36], v[21:22], v[25:26]
	v_add_f64 v[31:32], v[25:26], -v[29:30]
	v_add_f64 v[14:15], v[14:15], -v[29:30]
	v_add_f64 v[29:30], v[33:34], v[16:17]
	v_add_f64 v[21:22], v[35:36], -v[21:22]
	v_add_f64 v[23:24], v[23:24], -v[31:32]
	v_ldexp_f64 v[31:32], v[35:36], -2
	v_add_f64 v[39:40], v[29:30], -v[33:34]
	v_add_f64 v[21:22], v[25:26], -v[21:22]
	v_add_f64 v[14:15], v[14:15], v[23:24]
	v_fract_f64_e32 v[23:24], v[31:32]
	v_cmp_neq_f64_e64 s[0:1], |v[31:32]|, s[0:1]
	v_add_f64 v[16:17], v[16:17], -v[39:40]
	v_add_f64 v[25:26], v[29:30], v[14:15]
	v_ldexp_f64 v[23:24], v[23:24], 2
	v_add_f64 v[31:32], v[21:22], v[25:26]
	v_cndmask_b32_e64 v24, 0, v24, s[0:1]
	v_cndmask_b32_e64 v23, 0, v23, s[0:1]
	v_add_f64 v[41:42], v[25:26], -v[29:30]
	v_add_f64 v[35:36], v[31:32], v[23:24]
	v_add_f64 v[21:22], v[31:32], -v[21:22]
	v_add_f64 v[43:44], v[25:26], -v[41:42]
	v_add_f64 v[14:15], v[14:15], -v[41:42]
	v_cmp_gt_f64_e64 s[0:1], 0, v[35:36]
	v_add_f64 v[35:36], v[29:30], -v[39:40]
	v_add_f64 v[21:22], v[25:26], -v[21:22]
	;; [unrolled: 1-line block ×3, first 2 shown]
	v_cndmask_b32_e64 v38, 0, v38, s[0:1]
	v_add_f64 v[23:24], v[23:24], v[37:38]
	v_add_f64 v[35:36], v[33:34], -v[35:36]
	v_add_f64 v[14:15], v[14:15], v[29:30]
	v_add_f64 v[45:46], v[31:32], v[23:24]
	;; [unrolled: 1-line block ×3, first 2 shown]
	v_cvt_i32_f64_e32 v40, v[45:46]
	v_add_f64 v[14:15], v[16:17], v[14:15]
	v_cvt_f64_i32_e32 v[38:39], v40
	v_add_f64 v[23:24], v[23:24], -v[38:39]
	v_add_f64 v[14:15], v[19:20], v[14:15]
	v_add_f64 v[16:17], v[31:32], v[23:24]
	v_add_f64 v[14:15], v[21:22], v[14:15]
	v_mov_b32_e32 v22, 0x3ff00000
	v_add_f64 v[19:20], v[16:17], -v[23:24]
	v_cmp_le_f64_e64 s[0:1], 0.5, v[16:17]
	v_add_f64 v[20:21], v[31:32], -v[19:20]
	v_cndmask_b32_e64 v38, 0, v22, s[0:1]
	v_add_f64 v[16:17], v[16:17], -v[37:38]
	v_addc_co_u32_e64 v19, s[2:3], 0, v40, s[0:1]
	s_mov_b32 s0, 0x54442d18
	s_mov_b32 s1, 0x3ff921fb
	;; [unrolled: 1-line block ×3, first 2 shown]
	v_add_f64 v[14:15], v[14:15], v[20:21]
	s_mov_b32 s3, 0x3c91a626
	v_add_f64 v[20:21], v[16:17], v[14:15]
	v_mul_f64 v[22:23], v[20:21], s[0:1]
	v_add_f64 v[16:17], v[20:21], -v[16:17]
	v_fma_f64 v[24:25], v[20:21], s[0:1], -v[22:23]
	v_add_f64 v[14:15], v[14:15], -v[16:17]
	v_fma_f64 v[16:17], v[20:21], s[2:3], v[24:25]
	v_fma_f64 v[16:17], v[14:15], s[0:1], v[16:17]
	v_add_f64 v[14:15], v[22:23], v[16:17]
	v_add_f64 v[20:21], v[14:15], -v[22:23]
	v_add_f64 v[16:17], v[16:17], -v[20:21]
.LBB0_36:
	s_andn2_saveexec_b64 s[0:1], s[10:11]
	s_cbranch_execz .LBB0_38
; %bb.37:
	s_mov_b32 s2, 0x6dc9c883
	s_mov_b32 s3, 0x3fe45f30
	v_mul_f64 v[14:15], |v[10:11]|, s[2:3]
	s_mov_b32 s2, 0x54442d18
	s_mov_b32 s3, 0xbff921fb
	;; [unrolled: 1-line block ×4, first 2 shown]
	v_rndne_f64_e32 v[19:20], v[14:15]
	v_fma_f64 v[14:15], v[19:20], s[2:3], |v[10:11]|
	v_mul_f64 v[16:17], v[19:20], s[10:11]
	s_mov_b32 s2, 0x252049c0
	s_mov_b32 s3, 0xb97b839a
	v_fma_f64 v[25:26], v[19:20], s[10:11], v[14:15]
	v_add_f64 v[21:22], v[14:15], v[16:17]
	s_mov_b32 s11, 0x3c91a626
	v_add_f64 v[23:24], v[14:15], -v[21:22]
	v_add_f64 v[21:22], v[21:22], -v[25:26]
	v_add_f64 v[14:15], v[23:24], v[16:17]
	v_fma_f64 v[16:17], v[19:20], s[10:11], v[16:17]
	v_add_f64 v[14:15], v[21:22], v[14:15]
	v_add_f64 v[14:15], v[14:15], -v[16:17]
	v_fma_f64 v[16:17], v[19:20], s[2:3], v[14:15]
	v_cvt_i32_f64_e32 v19, v[19:20]
	v_add_f64 v[14:15], v[25:26], v[16:17]
	v_add_f64 v[21:22], v[14:15], -v[25:26]
	v_add_f64 v[16:17], v[16:17], -v[21:22]
.LBB0_38:
	s_or_b64 exec, exec, s[0:1]
	v_mul_f64 v[20:21], v[14:15], v[14:15]
	s_mov_b32 s0, 0xf9a43bb8
	v_mov_b32_e32 v23, 0xb42fdfa7
	v_mov_b32_e32 v24, 0xbe5ae600
	s_mov_b32 s1, 0x3de5e0b2
	s_mov_b32 s2, 0x796cde01
	v_mov_b32_e32 v22, 0x9037ab78
	s_mov_b32 s3, 0x3ec71de3
	v_fma_f64 v[24:25], v[20:21], s[0:1], v[23:24]
	s_mov_b32 s0, 0x46cc5e42
	v_mov_b32_e32 v23, 0x3e21eeb6
	s_mov_b32 s1, 0xbda907db
	v_fma_f64 v[22:23], v[20:21], s[0:1], v[22:23]
	v_mul_f64 v[26:27], v[20:21], 0.5
	s_mov_b32 s0, 0xa17f65f6
	s_mov_b32 s10, 0x19e83e5c
	v_fma_f64 v[24:25], v[20:21], v[24:25], s[2:3]
	s_mov_b32 s1, 0xbe927e4f
	s_mov_b32 s11, 0xbf2a01a0
	;; [unrolled: 1-line block ×3, first 2 shown]
	v_fma_f64 v[22:23], v[20:21], v[22:23], s[0:1]
	v_add_f64 v[28:29], -v[26:27], 1.0
	s_mov_b32 s0, 0x11110bb3
	s_mov_b32 s3, 0x3efa01a0
	v_fma_f64 v[24:25], v[20:21], v[24:25], s[10:11]
	s_mov_b32 s1, 0x3f811111
	v_mul_f64 v[30:31], v[16:17], 0.5
	v_mul_f64 v[32:33], v[14:15], -v[20:21]
	v_fma_f64 v[22:23], v[20:21], v[22:23], s[2:3]
	v_add_f64 v[34:35], -v[28:29], 1.0
	s_movk_i32 s2, 0x1f8
	v_fma_f64 v[24:25], v[20:21], v[24:25], s[0:1]
	s_mov_b32 s0, 0x16c16967
	s_mov_b32 s1, 0xbf56c16c
	v_fma_f64 v[22:23], v[20:21], v[22:23], s[0:1]
	v_add_f64 v[26:27], v[34:35], -v[26:27]
	s_mov_b32 s1, 0x3fa55555
	s_mov_b32 s0, 0x55555555
	v_fma_f64 v[24:25], v[32:33], v[24:25], v[30:31]
	v_mul_f64 v[30:31], v[20:21], v[20:21]
	v_fma_f64 v[22:23], v[20:21], v[22:23], s[0:1]
	v_fma_f64 v[26:27], v[14:15], -v[16:17], v[26:27]
	s_mov_b32 s1, 0xbfc55555
	v_fma_f64 v[16:17], v[20:21], v[24:25], -v[16:17]
	v_fma_f64 v[20:21], v[30:31], v[22:23], v[26:27]
	v_fma_f64 v[16:17], v[32:33], s[0:1], v[16:17]
	v_add_f64 v[20:21], v[28:29], v[20:21]
	v_add_f64 v[14:15], v[14:15], -v[16:17]
	v_and_b32_e32 v16, 1, v19
	v_cmp_eq_u32_e64 s[0:1], 0, v16
	v_lshlrev_b32_e32 v17, 30, v19
	v_xor_b32_e32 v17, v17, v11
	v_and_b32_e32 v17, 0x80000000, v17
	v_mov_b32_e32 v19, 0x7ff80000
	v_cndmask_b32_e64 v14, v20, v14, s[0:1]
	v_cndmask_b32_e64 v15, v21, v15, s[0:1]
	v_cmp_class_f64_e64 s[0:1], v[10:11], s2
	v_xor_b32_e32 v15, v15, v17
	v_cndmask_b32_e64 v15, v19, v15, s[0:1]
	v_cndmask_b32_e64 v14, 0, v14, s[0:1]
.LBB0_39:
	s_or_b64 exec, exec, s[6:7]
	s_waitcnt vmcnt(0)
	v_or_b32_e32 v10, 0x200, v0
	v_cmp_gt_i32_e64 s[0:1], s28, v10
	s_and_saveexec_b64 s[6:7], s[0:1]
	s_cbranch_execz .LBB0_45
; %bb.40:
	s_mov_b32 s0, 0
	s_mov_b32 s1, 0x41d00000
	v_cmp_nlt_f64_e64 s[0:1], |v[4:5]|, s[0:1]
                                        ; implicit-def: $vgpr16
                                        ; implicit-def: $vgpr10_vgpr11
                                        ; implicit-def: $vgpr12_vgpr13
	s_and_saveexec_b64 s[2:3], s[0:1]
	s_xor_b64 s[10:11], exec, s[2:3]
	s_cbranch_execz .LBB0_42
; %bb.41:
	v_trig_preop_f64 v[10:11], |v[4:5]|, 0
	s_mov_b32 s0, 0
	s_mov_b32 s1, 0x7b000000
	s_movk_i32 s2, 0xff80
	v_ldexp_f64 v[16:17], |v[4:5]|, s2
	v_cmp_ge_f64_e64 s[0:1], |v[4:5]|, s[0:1]
	v_trig_preop_f64 v[12:13], |v[4:5]|, 1
	v_and_b32_e32 v19, 0x7fffffff, v5
	v_trig_preop_f64 v[25:26], |v[4:5]|, 2
	v_mov_b32_e32 v36, 0x40100000
	v_mov_b32_e32 v35, 0
	v_cndmask_b32_e64 v17, v19, v17, s[0:1]
	v_cndmask_b32_e64 v16, v4, v16, s[0:1]
	s_mov_b32 s0, 0
	v_mul_f64 v[19:20], v[10:11], v[16:17]
	s_mov_b32 s1, 0x7ff00000
	v_mul_f64 v[21:22], v[12:13], v[16:17]
	v_mul_f64 v[31:32], v[25:26], v[16:17]
	v_fma_f64 v[10:11], v[10:11], v[16:17], -v[19:20]
	v_fma_f64 v[12:13], v[12:13], v[16:17], -v[21:22]
	;; [unrolled: 1-line block ×3, first 2 shown]
	v_add_f64 v[23:24], v[21:22], v[10:11]
	v_add_f64 v[27:28], v[23:24], -v[21:22]
	v_add_f64 v[33:34], v[19:20], v[23:24]
	v_add_f64 v[29:30], v[23:24], -v[27:28]
	v_add_f64 v[10:11], v[10:11], -v[27:28]
	v_add_f64 v[27:28], v[31:32], v[12:13]
	v_add_f64 v[19:20], v[33:34], -v[19:20]
	v_add_f64 v[21:22], v[21:22], -v[29:30]
	v_ldexp_f64 v[29:30], v[33:34], -2
	v_add_f64 v[37:38], v[27:28], -v[31:32]
	v_add_f64 v[19:20], v[23:24], -v[19:20]
	v_add_f64 v[10:11], v[10:11], v[21:22]
	v_fract_f64_e32 v[21:22], v[29:30]
	v_cmp_neq_f64_e64 s[0:1], |v[29:30]|, s[0:1]
	v_add_f64 v[12:13], v[12:13], -v[37:38]
	v_add_f64 v[23:24], v[27:28], v[10:11]
	v_ldexp_f64 v[21:22], v[21:22], 2
	v_add_f64 v[29:30], v[19:20], v[23:24]
	v_cndmask_b32_e64 v22, 0, v22, s[0:1]
	v_cndmask_b32_e64 v21, 0, v21, s[0:1]
	v_add_f64 v[39:40], v[23:24], -v[27:28]
	v_add_f64 v[33:34], v[29:30], v[21:22]
	v_add_f64 v[19:20], v[29:30], -v[19:20]
	v_add_f64 v[41:42], v[23:24], -v[39:40]
	;; [unrolled: 1-line block ×3, first 2 shown]
	v_cmp_gt_f64_e64 s[0:1], 0, v[33:34]
	v_add_f64 v[33:34], v[27:28], -v[37:38]
	v_add_f64 v[19:20], v[23:24], -v[19:20]
	;; [unrolled: 1-line block ×3, first 2 shown]
	v_cndmask_b32_e64 v36, 0, v36, s[0:1]
	v_add_f64 v[21:22], v[21:22], v[35:36]
	v_add_f64 v[33:34], v[31:32], -v[33:34]
	v_add_f64 v[10:11], v[10:11], v[27:28]
	v_add_f64 v[43:44], v[29:30], v[21:22]
	;; [unrolled: 1-line block ×3, first 2 shown]
	v_cvt_i32_f64_e32 v38, v[43:44]
	v_add_f64 v[10:11], v[12:13], v[10:11]
	v_cvt_f64_i32_e32 v[36:37], v38
	v_add_f64 v[21:22], v[21:22], -v[36:37]
	v_add_f64 v[10:11], v[16:17], v[10:11]
	v_add_f64 v[12:13], v[29:30], v[21:22]
	;; [unrolled: 1-line block ×3, first 2 shown]
	v_add_f64 v[16:17], v[12:13], -v[21:22]
	v_cmp_le_f64_e64 s[0:1], 0.5, v[12:13]
	v_add_f64 v[19:20], v[29:30], -v[16:17]
	v_mov_b32_e32 v17, 0x3ff00000
	v_cndmask_b32_e64 v36, 0, v17, s[0:1]
	v_add_f64 v[12:13], v[12:13], -v[35:36]
	v_addc_co_u32_e64 v16, s[2:3], 0, v38, s[0:1]
	s_mov_b32 s0, 0x54442d18
	s_mov_b32 s1, 0x3ff921fb
	v_add_f64 v[10:11], v[10:11], v[19:20]
	s_mov_b32 s2, 0x33145c07
	s_mov_b32 s3, 0x3c91a626
	v_add_f64 v[19:20], v[12:13], v[10:11]
	v_mul_f64 v[21:22], v[19:20], s[0:1]
	v_add_f64 v[12:13], v[19:20], -v[12:13]
	v_fma_f64 v[23:24], v[19:20], s[0:1], -v[21:22]
	v_add_f64 v[10:11], v[10:11], -v[12:13]
	v_fma_f64 v[12:13], v[19:20], s[2:3], v[23:24]
	v_fma_f64 v[12:13], v[10:11], s[0:1], v[12:13]
	v_add_f64 v[10:11], v[21:22], v[12:13]
	v_add_f64 v[19:20], v[10:11], -v[21:22]
	v_add_f64 v[12:13], v[12:13], -v[19:20]
.LBB0_42:
	s_andn2_saveexec_b64 s[0:1], s[10:11]
	s_cbranch_execz .LBB0_44
; %bb.43:
	s_mov_b32 s2, 0x6dc9c883
	s_mov_b32 s3, 0x3fe45f30
	v_mul_f64 v[10:11], |v[4:5]|, s[2:3]
	s_mov_b32 s2, 0x54442d18
	s_mov_b32 s3, 0xbff921fb
	;; [unrolled: 1-line block ×4, first 2 shown]
	v_rndne_f64_e32 v[16:17], v[10:11]
	v_fma_f64 v[10:11], v[16:17], s[2:3], |v[4:5]|
	v_mul_f64 v[12:13], v[16:17], s[10:11]
	s_mov_b32 s2, 0x252049c0
	s_mov_b32 s3, 0xb97b839a
	v_fma_f64 v[23:24], v[16:17], s[10:11], v[10:11]
	v_add_f64 v[19:20], v[10:11], v[12:13]
	s_mov_b32 s11, 0x3c91a626
	v_add_f64 v[21:22], v[10:11], -v[19:20]
	v_add_f64 v[19:20], v[19:20], -v[23:24]
	v_add_f64 v[10:11], v[21:22], v[12:13]
	v_fma_f64 v[12:13], v[16:17], s[10:11], v[12:13]
	v_add_f64 v[10:11], v[19:20], v[10:11]
	v_add_f64 v[10:11], v[10:11], -v[12:13]
	v_fma_f64 v[12:13], v[16:17], s[2:3], v[10:11]
	v_cvt_i32_f64_e32 v16, v[16:17]
	v_add_f64 v[10:11], v[23:24], v[12:13]
	v_add_f64 v[19:20], v[10:11], -v[23:24]
	v_add_f64 v[12:13], v[12:13], -v[19:20]
.LBB0_44:
	s_or_b64 exec, exec, s[0:1]
	v_mul_f64 v[19:20], v[10:11], v[10:11]
	s_mov_b32 s0, 0xf9a43bb8
	v_mov_b32_e32 v22, 0xb42fdfa7
	v_mov_b32_e32 v23, 0xbe5ae600
	s_mov_b32 s1, 0x3de5e0b2
	s_mov_b32 s2, 0x796cde01
	v_mov_b32_e32 v21, 0x9037ab78
	s_mov_b32 s3, 0x3ec71de3
	v_fma_f64 v[23:24], v[19:20], s[0:1], v[22:23]
	s_mov_b32 s0, 0x46cc5e42
	v_mov_b32_e32 v22, 0x3e21eeb6
	s_mov_b32 s1, 0xbda907db
	v_fma_f64 v[21:22], v[19:20], s[0:1], v[21:22]
	v_mul_f64 v[25:26], v[19:20], 0.5
	s_mov_b32 s0, 0xa17f65f6
	s_mov_b32 s10, 0x19e83e5c
	v_fma_f64 v[23:24], v[19:20], v[23:24], s[2:3]
	s_mov_b32 s1, 0xbe927e4f
	s_mov_b32 s11, 0xbf2a01a0
	;; [unrolled: 1-line block ×3, first 2 shown]
	v_fma_f64 v[21:22], v[19:20], v[21:22], s[0:1]
	v_add_f64 v[27:28], -v[25:26], 1.0
	s_mov_b32 s0, 0x11110bb3
	s_mov_b32 s3, 0x3efa01a0
	v_fma_f64 v[23:24], v[19:20], v[23:24], s[10:11]
	s_mov_b32 s1, 0x3f811111
	v_mul_f64 v[29:30], v[12:13], 0.5
	v_mul_f64 v[31:32], v[10:11], -v[19:20]
	v_fma_f64 v[21:22], v[19:20], v[21:22], s[2:3]
	v_add_f64 v[33:34], -v[27:28], 1.0
	s_movk_i32 s2, 0x1f8
	v_fma_f64 v[23:24], v[19:20], v[23:24], s[0:1]
	s_mov_b32 s0, 0x16c16967
	s_mov_b32 s1, 0xbf56c16c
	v_fma_f64 v[21:22], v[19:20], v[21:22], s[0:1]
	v_add_f64 v[25:26], v[33:34], -v[25:26]
	s_mov_b32 s1, 0x3fa55555
	s_mov_b32 s0, 0x55555555
	v_fma_f64 v[23:24], v[31:32], v[23:24], v[29:30]
	v_mul_f64 v[29:30], v[19:20], v[19:20]
	v_fma_f64 v[21:22], v[19:20], v[21:22], s[0:1]
	v_fma_f64 v[25:26], v[10:11], -v[12:13], v[25:26]
	s_mov_b32 s1, 0xbfc55555
	v_fma_f64 v[12:13], v[19:20], v[23:24], -v[12:13]
	v_fma_f64 v[19:20], v[29:30], v[21:22], v[25:26]
	v_fma_f64 v[12:13], v[31:32], s[0:1], v[12:13]
	v_add_f64 v[19:20], v[27:28], v[19:20]
	v_add_f64 v[10:11], v[10:11], -v[12:13]
	v_and_b32_e32 v12, 1, v16
	v_cmp_eq_u32_e64 s[0:1], 0, v12
	v_lshlrev_b32_e32 v13, 30, v16
	v_xor_b32_e32 v13, v13, v5
	v_and_b32_e32 v13, 0x80000000, v13
	v_mov_b32_e32 v16, 0x7ff80000
	v_cndmask_b32_e64 v10, v19, v10, s[0:1]
	v_cndmask_b32_e64 v11, v20, v11, s[0:1]
	v_cmp_class_f64_e64 s[0:1], v[4:5], s2
	v_xor_b32_e32 v11, v11, v13
	v_cndmask_b32_e64 v13, v16, v11, s[0:1]
	v_cndmask_b32_e64 v12, 0, v10, s[0:1]
.LBB0_45:
	s_or_b64 exec, exec, s[6:7]
	v_or_b32_e32 v4, 0x300, v0
	v_cmp_gt_i32_e64 s[0:1], s28, v4
	s_and_saveexec_b64 s[6:7], s[0:1]
	s_cbranch_execnz .LBB0_52
; %bb.46:
	s_or_b64 exec, exec, s[6:7]
	s_and_saveexec_b64 s[0:1], vcc
	s_xor_b64 s[0:1], exec, s[0:1]
	s_cbranch_execnz .LBB0_57
.LBB0_47:
	s_or_b64 exec, exec, s[0:1]
	v_cmp_gt_i32_e32 vcc, s28, v0
	s_and_saveexec_b64 s[0:1], vcc
	s_cbranch_execnz .LBB0_58
.LBB0_48:
	s_or_b64 exec, exec, s[0:1]
	v_cmp_gt_i32_e32 vcc, s28, v0
	s_and_saveexec_b64 s[0:1], vcc
	s_cbranch_execnz .LBB0_59
.LBB0_49:
	s_or_b64 exec, exec, s[0:1]
	v_cmp_gt_i32_e32 vcc, s28, v0
	s_and_saveexec_b64 s[0:1], vcc
	s_cbranch_execz .LBB0_51
.LBB0_50:
	v_add_u32_e32 v0, s4, v0
	v_mov_b32_e32 v1, 0
	v_lshlrev_b64 v[0:1], 3, v[0:1]
	v_mov_b32_e32 v2, s9
	v_add_co_u32_e32 v0, vcc, s8, v0
	v_addc_co_u32_e32 v1, vcc, v2, v1, vcc
	global_store_dwordx2 v[0:1], v[8:9], off
.LBB0_51:
	s_endpgm
.LBB0_52:
	s_mov_b32 s0, 0
	s_mov_b32 s1, 0x41d00000
	v_cmp_nlt_f64_e64 s[0:1], |v[2:3]|, s[0:1]
                                        ; implicit-def: $vgpr10
                                        ; implicit-def: $vgpr4_vgpr5
                                        ; implicit-def: $vgpr8_vgpr9
	s_and_saveexec_b64 s[2:3], s[0:1]
	s_xor_b64 s[10:11], exec, s[2:3]
	s_cbranch_execz .LBB0_54
; %bb.53:
	v_trig_preop_f64 v[4:5], |v[2:3]|, 0
	s_mov_b32 s0, 0
	s_mov_b32 s1, 0x7b000000
	s_movk_i32 s2, 0xff80
	v_ldexp_f64 v[10:11], |v[2:3]|, s2
	v_cmp_ge_f64_e64 s[0:1], |v[2:3]|, s[0:1]
	v_trig_preop_f64 v[8:9], |v[2:3]|, 1
	v_and_b32_e32 v16, 0x7fffffff, v3
	v_trig_preop_f64 v[23:24], |v[2:3]|, 2
	v_mov_b32_e32 v34, 0x40100000
	v_mov_b32_e32 v33, 0
	v_cndmask_b32_e64 v11, v16, v11, s[0:1]
	v_cndmask_b32_e64 v10, v2, v10, s[0:1]
	s_mov_b32 s0, 0
	v_mul_f64 v[16:17], v[4:5], v[10:11]
	s_mov_b32 s1, 0x7ff00000
	v_mul_f64 v[19:20], v[8:9], v[10:11]
	v_mul_f64 v[29:30], v[23:24], v[10:11]
	v_fma_f64 v[4:5], v[4:5], v[10:11], -v[16:17]
	v_fma_f64 v[8:9], v[8:9], v[10:11], -v[19:20]
	;; [unrolled: 1-line block ×3, first 2 shown]
	v_add_f64 v[21:22], v[19:20], v[4:5]
	v_add_f64 v[25:26], v[21:22], -v[19:20]
	v_add_f64 v[31:32], v[16:17], v[21:22]
	v_add_f64 v[27:28], v[21:22], -v[25:26]
	v_add_f64 v[4:5], v[4:5], -v[25:26]
	v_add_f64 v[25:26], v[29:30], v[8:9]
	v_add_f64 v[16:17], v[31:32], -v[16:17]
	v_add_f64 v[19:20], v[19:20], -v[27:28]
	v_ldexp_f64 v[27:28], v[31:32], -2
	v_add_f64 v[35:36], v[25:26], -v[29:30]
	v_add_f64 v[16:17], v[21:22], -v[16:17]
	v_add_f64 v[4:5], v[4:5], v[19:20]
	v_fract_f64_e32 v[19:20], v[27:28]
	v_cmp_neq_f64_e64 s[0:1], |v[27:28]|, s[0:1]
	v_add_f64 v[8:9], v[8:9], -v[35:36]
	v_add_f64 v[21:22], v[25:26], v[4:5]
	v_ldexp_f64 v[19:20], v[19:20], 2
	v_add_f64 v[27:28], v[16:17], v[21:22]
	v_cndmask_b32_e64 v20, 0, v20, s[0:1]
	v_cndmask_b32_e64 v19, 0, v19, s[0:1]
	v_add_f64 v[37:38], v[21:22], -v[25:26]
	v_add_f64 v[31:32], v[27:28], v[19:20]
	v_add_f64 v[16:17], v[27:28], -v[16:17]
	v_add_f64 v[39:40], v[21:22], -v[37:38]
	;; [unrolled: 1-line block ×3, first 2 shown]
	v_cmp_gt_f64_e64 s[0:1], 0, v[31:32]
	v_add_f64 v[31:32], v[25:26], -v[35:36]
	v_add_f64 v[16:17], v[21:22], -v[16:17]
	;; [unrolled: 1-line block ×3, first 2 shown]
	v_cndmask_b32_e64 v34, 0, v34, s[0:1]
	v_add_f64 v[19:20], v[19:20], v[33:34]
	v_add_f64 v[31:32], v[29:30], -v[31:32]
	v_add_f64 v[4:5], v[4:5], v[25:26]
	v_add_f64 v[41:42], v[27:28], v[19:20]
	;; [unrolled: 1-line block ×3, first 2 shown]
	v_cvt_i32_f64_e32 v36, v[41:42]
	v_add_f64 v[4:5], v[8:9], v[4:5]
	v_cvt_f64_i32_e32 v[34:35], v36
	v_add_f64 v[19:20], v[19:20], -v[34:35]
	v_add_f64 v[4:5], v[10:11], v[4:5]
	v_add_f64 v[8:9], v[27:28], v[19:20]
	v_add_f64 v[4:5], v[16:17], v[4:5]
	v_add_f64 v[10:11], v[8:9], -v[19:20]
	v_cmp_le_f64_e64 s[0:1], 0.5, v[8:9]
	v_add_f64 v[16:17], v[27:28], -v[10:11]
	v_mov_b32_e32 v11, 0x3ff00000
	v_cndmask_b32_e64 v34, 0, v11, s[0:1]
	v_add_f64 v[8:9], v[8:9], -v[33:34]
	v_addc_co_u32_e64 v10, s[2:3], 0, v36, s[0:1]
	s_mov_b32 s0, 0x54442d18
	s_mov_b32 s1, 0x3ff921fb
	v_add_f64 v[4:5], v[4:5], v[16:17]
	s_mov_b32 s2, 0x33145c07
	s_mov_b32 s3, 0x3c91a626
	v_add_f64 v[16:17], v[8:9], v[4:5]
	v_mul_f64 v[19:20], v[16:17], s[0:1]
	v_add_f64 v[8:9], v[16:17], -v[8:9]
	v_fma_f64 v[21:22], v[16:17], s[0:1], -v[19:20]
	v_add_f64 v[4:5], v[4:5], -v[8:9]
	v_fma_f64 v[8:9], v[16:17], s[2:3], v[21:22]
	v_fma_f64 v[8:9], v[4:5], s[0:1], v[8:9]
	v_add_f64 v[4:5], v[19:20], v[8:9]
	v_add_f64 v[16:17], v[4:5], -v[19:20]
	v_add_f64 v[8:9], v[8:9], -v[16:17]
.LBB0_54:
	s_andn2_saveexec_b64 s[0:1], s[10:11]
	s_cbranch_execz .LBB0_56
; %bb.55:
	s_mov_b32 s2, 0x6dc9c883
	s_mov_b32 s3, 0x3fe45f30
	v_mul_f64 v[4:5], |v[2:3]|, s[2:3]
	s_mov_b32 s2, 0x54442d18
	s_mov_b32 s3, 0xbff921fb
	;; [unrolled: 1-line block ×4, first 2 shown]
	v_rndne_f64_e32 v[10:11], v[4:5]
	v_fma_f64 v[4:5], v[10:11], s[2:3], |v[2:3]|
	v_mul_f64 v[8:9], v[10:11], s[10:11]
	s_mov_b32 s2, 0x252049c0
	s_mov_b32 s3, 0xb97b839a
	v_fma_f64 v[21:22], v[10:11], s[10:11], v[4:5]
	v_add_f64 v[16:17], v[4:5], v[8:9]
	s_mov_b32 s11, 0x3c91a626
	v_add_f64 v[19:20], v[4:5], -v[16:17]
	v_add_f64 v[16:17], v[16:17], -v[21:22]
	v_add_f64 v[4:5], v[19:20], v[8:9]
	v_fma_f64 v[8:9], v[10:11], s[10:11], v[8:9]
	v_add_f64 v[4:5], v[16:17], v[4:5]
	v_add_f64 v[4:5], v[4:5], -v[8:9]
	v_fma_f64 v[8:9], v[10:11], s[2:3], v[4:5]
	v_cvt_i32_f64_e32 v10, v[10:11]
	v_add_f64 v[4:5], v[21:22], v[8:9]
	v_add_f64 v[16:17], v[4:5], -v[21:22]
	v_add_f64 v[8:9], v[8:9], -v[16:17]
.LBB0_56:
	s_or_b64 exec, exec, s[0:1]
	v_mul_f64 v[16:17], v[4:5], v[4:5]
	s_mov_b32 s0, 0xf9a43bb8
	v_mov_b32_e32 v20, 0xb42fdfa7
	v_mov_b32_e32 v21, 0xbe5ae600
	s_mov_b32 s1, 0x3de5e0b2
	s_mov_b32 s2, 0x796cde01
	v_mov_b32_e32 v19, 0x9037ab78
	s_mov_b32 s3, 0x3ec71de3
	v_fma_f64 v[21:22], v[16:17], s[0:1], v[20:21]
	s_mov_b32 s0, 0x46cc5e42
	v_mov_b32_e32 v20, 0x3e21eeb6
	s_mov_b32 s1, 0xbda907db
	v_fma_f64 v[19:20], v[16:17], s[0:1], v[19:20]
	v_mul_f64 v[23:24], v[16:17], 0.5
	s_mov_b32 s0, 0xa17f65f6
	s_mov_b32 s10, 0x19e83e5c
	v_fma_f64 v[21:22], v[16:17], v[21:22], s[2:3]
	s_mov_b32 s1, 0xbe927e4f
	s_mov_b32 s11, 0xbf2a01a0
	;; [unrolled: 1-line block ×3, first 2 shown]
	v_fma_f64 v[19:20], v[16:17], v[19:20], s[0:1]
	v_add_f64 v[25:26], -v[23:24], 1.0
	s_mov_b32 s0, 0x11110bb3
	s_mov_b32 s3, 0x3efa01a0
	v_fma_f64 v[21:22], v[16:17], v[21:22], s[10:11]
	s_mov_b32 s1, 0x3f811111
	v_mul_f64 v[27:28], v[8:9], 0.5
	v_mul_f64 v[29:30], v[4:5], -v[16:17]
	v_fma_f64 v[19:20], v[16:17], v[19:20], s[2:3]
	v_add_f64 v[31:32], -v[25:26], 1.0
	s_movk_i32 s2, 0x1f8
	v_fma_f64 v[21:22], v[16:17], v[21:22], s[0:1]
	s_mov_b32 s0, 0x16c16967
	s_mov_b32 s1, 0xbf56c16c
	v_fma_f64 v[19:20], v[16:17], v[19:20], s[0:1]
	v_add_f64 v[23:24], v[31:32], -v[23:24]
	s_mov_b32 s1, 0x3fa55555
	s_mov_b32 s0, 0x55555555
	v_fma_f64 v[21:22], v[29:30], v[21:22], v[27:28]
	v_mul_f64 v[27:28], v[16:17], v[16:17]
	v_fma_f64 v[19:20], v[16:17], v[19:20], s[0:1]
	v_fma_f64 v[23:24], v[4:5], -v[8:9], v[23:24]
	s_mov_b32 s1, 0xbfc55555
	v_fma_f64 v[8:9], v[16:17], v[21:22], -v[8:9]
	v_fma_f64 v[16:17], v[27:28], v[19:20], v[23:24]
	v_fma_f64 v[8:9], v[29:30], s[0:1], v[8:9]
	v_add_f64 v[16:17], v[25:26], v[16:17]
	v_add_f64 v[4:5], v[4:5], -v[8:9]
	v_and_b32_e32 v8, 1, v10
	v_cmp_eq_u32_e64 s[0:1], 0, v8
	v_lshlrev_b32_e32 v9, 30, v10
	v_xor_b32_e32 v9, v9, v3
	v_and_b32_e32 v9, 0x80000000, v9
	v_mov_b32_e32 v10, 0x7ff80000
	v_cndmask_b32_e64 v4, v16, v4, s[0:1]
	v_cndmask_b32_e64 v5, v17, v5, s[0:1]
	v_cmp_class_f64_e64 s[0:1], v[2:3], s2
	v_xor_b32_e32 v5, v5, v9
	v_cndmask_b32_e64 v9, v10, v5, s[0:1]
	v_cndmask_b32_e64 v8, 0, v4, s[0:1]
	s_or_b64 exec, exec, s[6:7]
	s_and_saveexec_b64 s[0:1], vcc
	s_xor_b64 s[0:1], exec, s[0:1]
	s_cbranch_execz .LBB0_47
.LBB0_57:
	v_mov_b32_e32 v2, 0
	v_lshlrev_b64 v[0:1], 3, v[1:2]
	v_mov_b32_e32 v2, s9
	v_add_co_u32_e32 v0, vcc, s8, v0
	v_addc_co_u32_e32 v1, vcc, v2, v1, vcc
	global_store_dwordx2 v[0:1], v[6:7], off
	v_mov_b32_e32 v0, v18
	s_or_b64 exec, exec, s[0:1]
	v_cmp_gt_i32_e32 vcc, s28, v0
	s_and_saveexec_b64 s[0:1], vcc
	s_cbranch_execz .LBB0_48
.LBB0_58:
	v_add_u32_e32 v1, s4, v0
	v_mov_b32_e32 v2, 0
	v_lshlrev_b64 v[1:2], 3, v[1:2]
	v_mov_b32_e32 v3, s9
	v_add_co_u32_e32 v1, vcc, s8, v1
	v_addc_co_u32_e32 v2, vcc, v3, v2, vcc
	v_add_u32_e32 v0, 0x100, v0
	global_store_dwordx2 v[1:2], v[14:15], off
	s_or_b64 exec, exec, s[0:1]
	v_cmp_gt_i32_e32 vcc, s28, v0
	s_and_saveexec_b64 s[0:1], vcc
	s_cbranch_execz .LBB0_49
.LBB0_59:
	v_add_u32_e32 v1, s4, v0
	v_mov_b32_e32 v2, 0
	v_lshlrev_b64 v[1:2], 3, v[1:2]
	v_mov_b32_e32 v3, s9
	v_add_co_u32_e32 v1, vcc, s8, v1
	v_addc_co_u32_e32 v2, vcc, v3, v2, vcc
	v_add_u32_e32 v0, 0x100, v0
	global_store_dwordx2 v[1:2], v[12:13], off
	s_or_b64 exec, exec, s[0:1]
	v_cmp_gt_i32_e32 vcc, s28, v0
	s_and_saveexec_b64 s[0:1], vcc
	s_cbranch_execnz .LBB0_50
	s_branch .LBB0_51
	.section	.rodata,"a",@progbits
	.p2align	6, 0x0
	.amdhsa_kernel _ZN2at6native29vectorized_elementwise_kernelILi16EZZZNS0_15sin_kernel_cudaERNS_18TensorIteratorBaseEENKUlvE0_clEvENKUlvE_clEvEUldE_St5arrayIPcLm2EEEEviT0_T1_
		.amdhsa_group_segment_fixed_size 0
		.amdhsa_private_segment_fixed_size 0
		.amdhsa_kernarg_size 24
		.amdhsa_user_sgpr_count 6
		.amdhsa_user_sgpr_private_segment_buffer 1
		.amdhsa_user_sgpr_dispatch_ptr 0
		.amdhsa_user_sgpr_queue_ptr 0
		.amdhsa_user_sgpr_kernarg_segment_ptr 1
		.amdhsa_user_sgpr_dispatch_id 0
		.amdhsa_user_sgpr_flat_scratch_init 0
		.amdhsa_user_sgpr_private_segment_size 0
		.amdhsa_uses_dynamic_stack 0
		.amdhsa_system_sgpr_private_segment_wavefront_offset 0
		.amdhsa_system_sgpr_workgroup_id_x 1
		.amdhsa_system_sgpr_workgroup_id_y 0
		.amdhsa_system_sgpr_workgroup_id_z 0
		.amdhsa_system_sgpr_workgroup_info 0
		.amdhsa_system_vgpr_workitem_id 0
		.amdhsa_next_free_vgpr 57
		.amdhsa_next_free_sgpr 29
		.amdhsa_reserve_vcc 1
		.amdhsa_reserve_flat_scratch 0
		.amdhsa_float_round_mode_32 0
		.amdhsa_float_round_mode_16_64 0
		.amdhsa_float_denorm_mode_32 3
		.amdhsa_float_denorm_mode_16_64 3
		.amdhsa_dx10_clamp 1
		.amdhsa_ieee_mode 1
		.amdhsa_fp16_overflow 0
		.amdhsa_exception_fp_ieee_invalid_op 0
		.amdhsa_exception_fp_denorm_src 0
		.amdhsa_exception_fp_ieee_div_zero 0
		.amdhsa_exception_fp_ieee_overflow 0
		.amdhsa_exception_fp_ieee_underflow 0
		.amdhsa_exception_fp_ieee_inexact 0
		.amdhsa_exception_int_div_zero 0
	.end_amdhsa_kernel
	.section	.text._ZN2at6native29vectorized_elementwise_kernelILi16EZZZNS0_15sin_kernel_cudaERNS_18TensorIteratorBaseEENKUlvE0_clEvENKUlvE_clEvEUldE_St5arrayIPcLm2EEEEviT0_T1_,"axG",@progbits,_ZN2at6native29vectorized_elementwise_kernelILi16EZZZNS0_15sin_kernel_cudaERNS_18TensorIteratorBaseEENKUlvE0_clEvENKUlvE_clEvEUldE_St5arrayIPcLm2EEEEviT0_T1_,comdat
.Lfunc_end0:
	.size	_ZN2at6native29vectorized_elementwise_kernelILi16EZZZNS0_15sin_kernel_cudaERNS_18TensorIteratorBaseEENKUlvE0_clEvENKUlvE_clEvEUldE_St5arrayIPcLm2EEEEviT0_T1_, .Lfunc_end0-_ZN2at6native29vectorized_elementwise_kernelILi16EZZZNS0_15sin_kernel_cudaERNS_18TensorIteratorBaseEENKUlvE0_clEvENKUlvE_clEvEUldE_St5arrayIPcLm2EEEEviT0_T1_
                                        ; -- End function
	.set _ZN2at6native29vectorized_elementwise_kernelILi16EZZZNS0_15sin_kernel_cudaERNS_18TensorIteratorBaseEENKUlvE0_clEvENKUlvE_clEvEUldE_St5arrayIPcLm2EEEEviT0_T1_.num_vgpr, 57
	.set _ZN2at6native29vectorized_elementwise_kernelILi16EZZZNS0_15sin_kernel_cudaERNS_18TensorIteratorBaseEENKUlvE0_clEvENKUlvE_clEvEUldE_St5arrayIPcLm2EEEEviT0_T1_.num_agpr, 0
	.set _ZN2at6native29vectorized_elementwise_kernelILi16EZZZNS0_15sin_kernel_cudaERNS_18TensorIteratorBaseEENKUlvE0_clEvENKUlvE_clEvEUldE_St5arrayIPcLm2EEEEviT0_T1_.numbered_sgpr, 29
	.set _ZN2at6native29vectorized_elementwise_kernelILi16EZZZNS0_15sin_kernel_cudaERNS_18TensorIteratorBaseEENKUlvE0_clEvENKUlvE_clEvEUldE_St5arrayIPcLm2EEEEviT0_T1_.num_named_barrier, 0
	.set _ZN2at6native29vectorized_elementwise_kernelILi16EZZZNS0_15sin_kernel_cudaERNS_18TensorIteratorBaseEENKUlvE0_clEvENKUlvE_clEvEUldE_St5arrayIPcLm2EEEEviT0_T1_.private_seg_size, 0
	.set _ZN2at6native29vectorized_elementwise_kernelILi16EZZZNS0_15sin_kernel_cudaERNS_18TensorIteratorBaseEENKUlvE0_clEvENKUlvE_clEvEUldE_St5arrayIPcLm2EEEEviT0_T1_.uses_vcc, 1
	.set _ZN2at6native29vectorized_elementwise_kernelILi16EZZZNS0_15sin_kernel_cudaERNS_18TensorIteratorBaseEENKUlvE0_clEvENKUlvE_clEvEUldE_St5arrayIPcLm2EEEEviT0_T1_.uses_flat_scratch, 0
	.set _ZN2at6native29vectorized_elementwise_kernelILi16EZZZNS0_15sin_kernel_cudaERNS_18TensorIteratorBaseEENKUlvE0_clEvENKUlvE_clEvEUldE_St5arrayIPcLm2EEEEviT0_T1_.has_dyn_sized_stack, 0
	.set _ZN2at6native29vectorized_elementwise_kernelILi16EZZZNS0_15sin_kernel_cudaERNS_18TensorIteratorBaseEENKUlvE0_clEvENKUlvE_clEvEUldE_St5arrayIPcLm2EEEEviT0_T1_.has_recursion, 0
	.set _ZN2at6native29vectorized_elementwise_kernelILi16EZZZNS0_15sin_kernel_cudaERNS_18TensorIteratorBaseEENKUlvE0_clEvENKUlvE_clEvEUldE_St5arrayIPcLm2EEEEviT0_T1_.has_indirect_call, 0
	.section	.AMDGPU.csdata,"",@progbits
; Kernel info:
; codeLenInByte = 10980
; TotalNumSgprs: 33
; NumVgprs: 57
; ScratchSize: 0
; MemoryBound: 1
; FloatMode: 240
; IeeeMode: 1
; LDSByteSize: 0 bytes/workgroup (compile time only)
; SGPRBlocks: 4
; VGPRBlocks: 14
; NumSGPRsForWavesPerEU: 33
; NumVGPRsForWavesPerEU: 57
; Occupancy: 4
; WaveLimiterHint : 0
; COMPUTE_PGM_RSRC2:SCRATCH_EN: 0
; COMPUTE_PGM_RSRC2:USER_SGPR: 6
; COMPUTE_PGM_RSRC2:TRAP_HANDLER: 0
; COMPUTE_PGM_RSRC2:TGID_X_EN: 1
; COMPUTE_PGM_RSRC2:TGID_Y_EN: 0
; COMPUTE_PGM_RSRC2:TGID_Z_EN: 0
; COMPUTE_PGM_RSRC2:TIDIG_COMP_CNT: 0
	.section	.text._ZN2at6native29vectorized_elementwise_kernelILi8EZZZNS0_15sin_kernel_cudaERNS_18TensorIteratorBaseEENKUlvE0_clEvENKUlvE_clEvEUldE_St5arrayIPcLm2EEEEviT0_T1_,"axG",@progbits,_ZN2at6native29vectorized_elementwise_kernelILi8EZZZNS0_15sin_kernel_cudaERNS_18TensorIteratorBaseEENKUlvE0_clEvENKUlvE_clEvEUldE_St5arrayIPcLm2EEEEviT0_T1_,comdat
	.globl	_ZN2at6native29vectorized_elementwise_kernelILi8EZZZNS0_15sin_kernel_cudaERNS_18TensorIteratorBaseEENKUlvE0_clEvENKUlvE_clEvEUldE_St5arrayIPcLm2EEEEviT0_T1_ ; -- Begin function _ZN2at6native29vectorized_elementwise_kernelILi8EZZZNS0_15sin_kernel_cudaERNS_18TensorIteratorBaseEENKUlvE0_clEvENKUlvE_clEvEUldE_St5arrayIPcLm2EEEEviT0_T1_
	.p2align	8
	.type	_ZN2at6native29vectorized_elementwise_kernelILi8EZZZNS0_15sin_kernel_cudaERNS_18TensorIteratorBaseEENKUlvE0_clEvENKUlvE_clEvEUldE_St5arrayIPcLm2EEEEviT0_T1_,@function
_ZN2at6native29vectorized_elementwise_kernelILi8EZZZNS0_15sin_kernel_cudaERNS_18TensorIteratorBaseEENKUlvE0_clEvENKUlvE_clEvEUldE_St5arrayIPcLm2EEEEviT0_T1_: ; @_ZN2at6native29vectorized_elementwise_kernelILi8EZZZNS0_15sin_kernel_cudaERNS_18TensorIteratorBaseEENKUlvE0_clEvENKUlvE_clEvEUldE_St5arrayIPcLm2EEEEviT0_T1_
; %bb.0:
	s_load_dword s0, s[4:5], 0x0
	s_load_dwordx4 s[8:11], s[4:5], 0x8
	s_lshl_b32 s4, s6, 10
	s_waitcnt lgkmcnt(0)
	s_sub_i32 s28, s0, s4
	s_cmpk_gt_i32 s28, 0x3ff
	s_mov_b64 s[0:1], -1
	s_cbranch_scc0 .LBB1_18
; %bb.1:
	s_ashr_i32 s5, s4, 31
	s_lshl_b64 s[6:7], s[4:5], 3
	s_add_u32 s0, s10, s6
	s_addc_u32 s1, s11, s7
	v_lshlrev_b32_e32 v25, 5, v0
	global_load_dwordx4 v[5:8], v25, s[0:1]
	global_load_dwordx4 v[1:4], v25, s[0:1] offset:16
	s_mov_b32 s0, 0
	s_mov_b32 s1, 0x41d00000
	v_mov_b32_e32 v13, 0
                                        ; implicit-def: $vgpr26
                                        ; implicit-def: $vgpr9_vgpr10
                                        ; implicit-def: $vgpr11_vgpr12
	s_waitcnt vmcnt(1)
	v_cmp_nlt_f64_e64 s[0:1], |v[5:6]|, s[0:1]
	s_and_saveexec_b64 s[2:3], s[0:1]
	s_xor_b64 s[2:3], exec, s[2:3]
	s_cbranch_execz .LBB1_3
; %bb.2:
	v_trig_preop_f64 v[9:10], |v[5:6]|, 0
	s_mov_b32 s0, 0
	s_mov_b32 s1, 0x7b000000
	s_movk_i32 s5, 0xff80
	v_ldexp_f64 v[14:15], |v[5:6]|, s5
	v_cmp_ge_f64_e64 vcc, |v[5:6]|, s[0:1]
	v_trig_preop_f64 v[11:12], |v[5:6]|, 1
	v_and_b32_e32 v16, 0x7fffffff, v6
	v_trig_preop_f64 v[23:24], |v[5:6]|, 2
	s_mov_b32 s0, 0
	s_mov_b32 s1, 0x7ff00000
	;; [unrolled: 1-line block ×4, first 2 shown]
	v_cndmask_b32_e32 v16, v16, v15, vcc
	v_cndmask_b32_e32 v15, v5, v14, vcc
	v_mov_b32_e32 v14, 0x40100000
	v_mul_f64 v[17:18], v[9:10], v[15:16]
	v_mul_f64 v[19:20], v[11:12], v[15:16]
	;; [unrolled: 1-line block ×3, first 2 shown]
	v_fma_f64 v[9:10], v[9:10], v[15:16], -v[17:18]
	v_fma_f64 v[11:12], v[11:12], v[15:16], -v[19:20]
	v_add_f64 v[21:22], v[19:20], v[9:10]
	v_add_f64 v[26:27], v[21:22], -v[19:20]
	v_add_f64 v[32:33], v[17:18], v[21:22]
	v_add_f64 v[28:29], v[21:22], -v[26:27]
	v_add_f64 v[9:10], v[9:10], -v[26:27]
	v_add_f64 v[26:27], v[30:31], v[11:12]
	v_add_f64 v[17:18], v[32:33], -v[17:18]
	v_add_f64 v[19:20], v[19:20], -v[28:29]
	v_ldexp_f64 v[28:29], v[32:33], -2
	v_add_f64 v[34:35], v[26:27], -v[30:31]
	v_add_f64 v[17:18], v[21:22], -v[17:18]
	v_add_f64 v[9:10], v[9:10], v[19:20]
	v_fract_f64_e32 v[19:20], v[28:29]
	v_cmp_neq_f64_e64 vcc, |v[28:29]|, s[0:1]
	v_add_f64 v[11:12], v[11:12], -v[34:35]
	v_add_f64 v[21:22], v[26:27], v[9:10]
	v_ldexp_f64 v[19:20], v[19:20], 2
	v_add_f64 v[28:29], v[17:18], v[21:22]
	v_cndmask_b32_e32 v20, 0, v20, vcc
	v_cndmask_b32_e32 v19, 0, v19, vcc
	v_add_f64 v[36:37], v[21:22], -v[26:27]
	v_add_f64 v[32:33], v[28:29], v[19:20]
	v_add_f64 v[38:39], v[21:22], -v[36:37]
	v_add_f64 v[9:10], v[9:10], -v[36:37]
	v_cmp_gt_f64_e32 vcc, 0, v[32:33]
	v_add_f64 v[32:33], v[26:27], -v[34:35]
	v_add_f64 v[26:27], v[26:27], -v[38:39]
	v_cndmask_b32_e32 v14, 0, v14, vcc
	v_add_f64 v[19:20], v[19:20], v[13:14]
	v_add_f64 v[32:33], v[30:31], -v[32:33]
	v_add_f64 v[9:10], v[9:10], v[26:27]
	v_fma_f64 v[14:15], v[23:24], v[15:16], -v[30:31]
	v_add_f64 v[16:17], v[28:29], -v[17:18]
	v_add_f64 v[40:41], v[28:29], v[19:20]
	v_add_f64 v[11:12], v[11:12], v[32:33]
	v_add_f64 v[16:17], v[21:22], -v[16:17]
	v_cvt_i32_f64_e32 v36, v[40:41]
	v_add_f64 v[9:10], v[11:12], v[9:10]
	v_cvt_f64_i32_e32 v[34:35], v36
	v_add_f64 v[19:20], v[19:20], -v[34:35]
	v_add_f64 v[9:10], v[14:15], v[9:10]
	v_add_f64 v[11:12], v[28:29], v[19:20]
	;; [unrolled: 1-line block ×3, first 2 shown]
	v_add_f64 v[14:15], v[11:12], -v[19:20]
	v_cmp_le_f64_e32 vcc, 0.5, v[11:12]
	v_add_f64 v[15:16], v[28:29], -v[14:15]
	v_mov_b32_e32 v14, 0x3ff00000
	v_cndmask_b32_e32 v14, 0, v14, vcc
	v_add_f64 v[11:12], v[11:12], -v[13:14]
	v_addc_co_u32_e64 v26, s[0:1], 0, v36, vcc
	s_mov_b32 s0, 0x54442d18
	s_mov_b32 s1, 0x3ff921fb
	v_add_f64 v[9:10], v[9:10], v[15:16]
	v_add_f64 v[13:14], v[11:12], v[9:10]
	v_mul_f64 v[15:16], v[13:14], s[0:1]
	v_add_f64 v[11:12], v[13:14], -v[11:12]
	v_fma_f64 v[17:18], v[13:14], s[0:1], -v[15:16]
	v_add_f64 v[9:10], v[9:10], -v[11:12]
	v_fma_f64 v[11:12], v[13:14], s[12:13], v[17:18]
	v_fma_f64 v[11:12], v[9:10], s[0:1], v[11:12]
	v_add_f64 v[9:10], v[15:16], v[11:12]
	v_add_f64 v[13:14], v[9:10], -v[15:16]
	v_add_f64 v[11:12], v[11:12], -v[13:14]
.LBB1_3:
	s_andn2_saveexec_b64 s[0:1], s[2:3]
	s_cbranch_execz .LBB1_5
; %bb.4:
	s_mov_b32 s2, 0x6dc9c883
	s_mov_b32 s3, 0x3fe45f30
	v_mul_f64 v[9:10], |v[5:6]|, s[2:3]
	s_mov_b32 s2, 0x54442d18
	s_mov_b32 s3, 0xbff921fb
	;; [unrolled: 1-line block ×4, first 2 shown]
	v_rndne_f64_e32 v[13:14], v[9:10]
	v_fma_f64 v[9:10], v[13:14], s[2:3], |v[5:6]|
	v_mul_f64 v[11:12], v[13:14], s[12:13]
	s_mov_b32 s2, 0x252049c0
	s_mov_b32 s3, 0xb97b839a
	v_cvt_i32_f64_e32 v26, v[13:14]
	v_fma_f64 v[19:20], v[13:14], s[12:13], v[9:10]
	v_add_f64 v[15:16], v[9:10], v[11:12]
	s_mov_b32 s13, 0x3c91a626
	v_add_f64 v[17:18], v[9:10], -v[15:16]
	v_add_f64 v[15:16], v[15:16], -v[19:20]
	v_add_f64 v[9:10], v[17:18], v[11:12]
	v_fma_f64 v[11:12], v[13:14], s[12:13], v[11:12]
	v_add_f64 v[9:10], v[15:16], v[9:10]
	v_add_f64 v[9:10], v[9:10], -v[11:12]
	v_fma_f64 v[11:12], v[13:14], s[2:3], v[9:10]
	v_add_f64 v[9:10], v[19:20], v[11:12]
	v_add_f64 v[15:16], v[9:10], -v[19:20]
	v_add_f64 v[11:12], v[11:12], -v[15:16]
.LBB1_5:
	s_or_b64 exec, exec, s[0:1]
	s_mov_b32 s0, 0
	s_mov_b32 s1, 0x41d00000
	v_cmp_nlt_f64_e64 s[0:1], |v[7:8]|, s[0:1]
                                        ; implicit-def: $vgpr27
                                        ; implicit-def: $vgpr13_vgpr14
                                        ; implicit-def: $vgpr15_vgpr16
	s_and_saveexec_b64 s[2:3], s[0:1]
	s_xor_b64 s[2:3], exec, s[2:3]
	s_cbranch_execz .LBB1_7
; %bb.6:
	v_trig_preop_f64 v[13:14], |v[7:8]|, 0
	s_mov_b32 s0, 0
	s_mov_b32 s1, 0x7b000000
	s_movk_i32 s5, 0xff80
	v_ldexp_f64 v[17:18], |v[7:8]|, s5
	v_cmp_ge_f64_e64 vcc, |v[7:8]|, s[0:1]
	v_trig_preop_f64 v[15:16], |v[7:8]|, 1
	v_and_b32_e32 v19, 0x7fffffff, v8
	v_trig_preop_f64 v[27:28], |v[7:8]|, 2
	s_mov_b32 s0, 0
	s_mov_b32 s1, 0x7ff00000
	v_mov_b32_e32 v38, 0x40100000
	v_mov_b32_e32 v37, 0
	v_cndmask_b32_e32 v18, v19, v18, vcc
	v_cndmask_b32_e32 v17, v7, v17, vcc
	s_mov_b32 s12, 0x33145c07
	v_mul_f64 v[19:20], v[13:14], v[17:18]
	s_mov_b32 s13, 0x3c91a626
	v_mul_f64 v[21:22], v[15:16], v[17:18]
	v_mul_f64 v[33:34], v[27:28], v[17:18]
	v_fma_f64 v[13:14], v[13:14], v[17:18], -v[19:20]
	v_fma_f64 v[15:16], v[15:16], v[17:18], -v[21:22]
	;; [unrolled: 1-line block ×3, first 2 shown]
	v_add_f64 v[23:24], v[21:22], v[13:14]
	v_add_f64 v[29:30], v[23:24], -v[21:22]
	v_add_f64 v[35:36], v[19:20], v[23:24]
	v_add_f64 v[31:32], v[23:24], -v[29:30]
	v_add_f64 v[13:14], v[13:14], -v[29:30]
	v_add_f64 v[29:30], v[33:34], v[15:16]
	v_add_f64 v[19:20], v[35:36], -v[19:20]
	v_add_f64 v[21:22], v[21:22], -v[31:32]
	v_ldexp_f64 v[31:32], v[35:36], -2
	v_add_f64 v[39:40], v[29:30], -v[33:34]
	v_add_f64 v[19:20], v[23:24], -v[19:20]
	v_add_f64 v[13:14], v[13:14], v[21:22]
	v_fract_f64_e32 v[21:22], v[31:32]
	v_cmp_neq_f64_e64 vcc, |v[31:32]|, s[0:1]
	v_add_f64 v[15:16], v[15:16], -v[39:40]
	v_add_f64 v[23:24], v[29:30], v[13:14]
	v_ldexp_f64 v[21:22], v[21:22], 2
	v_add_f64 v[31:32], v[19:20], v[23:24]
	v_cndmask_b32_e32 v22, 0, v22, vcc
	v_cndmask_b32_e32 v21, 0, v21, vcc
	v_add_f64 v[41:42], v[23:24], -v[29:30]
	v_add_f64 v[35:36], v[31:32], v[21:22]
	v_add_f64 v[19:20], v[31:32], -v[19:20]
	v_add_f64 v[43:44], v[23:24], -v[41:42]
	;; [unrolled: 1-line block ×3, first 2 shown]
	v_cmp_gt_f64_e32 vcc, 0, v[35:36]
	v_add_f64 v[35:36], v[29:30], -v[39:40]
	v_add_f64 v[19:20], v[23:24], -v[19:20]
	;; [unrolled: 1-line block ×3, first 2 shown]
	v_cndmask_b32_e32 v38, 0, v38, vcc
	v_add_f64 v[21:22], v[21:22], v[37:38]
	v_add_f64 v[35:36], v[33:34], -v[35:36]
	v_add_f64 v[13:14], v[13:14], v[29:30]
	v_add_f64 v[45:46], v[31:32], v[21:22]
	;; [unrolled: 1-line block ×3, first 2 shown]
	v_cvt_i32_f64_e32 v40, v[45:46]
	v_add_f64 v[13:14], v[15:16], v[13:14]
	v_cvt_f64_i32_e32 v[38:39], v40
	v_add_f64 v[21:22], v[21:22], -v[38:39]
	v_add_f64 v[13:14], v[17:18], v[13:14]
	v_add_f64 v[15:16], v[31:32], v[21:22]
	;; [unrolled: 1-line block ×3, first 2 shown]
	v_mov_b32_e32 v19, 0x3ff00000
	v_add_f64 v[17:18], v[15:16], -v[21:22]
	v_cmp_le_f64_e32 vcc, 0.5, v[15:16]
	v_add_f64 v[17:18], v[31:32], -v[17:18]
	v_cndmask_b32_e32 v38, 0, v19, vcc
	v_add_f64 v[15:16], v[15:16], -v[37:38]
	v_addc_co_u32_e64 v27, s[0:1], 0, v40, vcc
	s_mov_b32 s0, 0x54442d18
	s_mov_b32 s1, 0x3ff921fb
	v_add_f64 v[13:14], v[13:14], v[17:18]
	v_add_f64 v[17:18], v[15:16], v[13:14]
	v_mul_f64 v[19:20], v[17:18], s[0:1]
	v_add_f64 v[15:16], v[17:18], -v[15:16]
	v_fma_f64 v[21:22], v[17:18], s[0:1], -v[19:20]
	v_add_f64 v[13:14], v[13:14], -v[15:16]
	v_fma_f64 v[15:16], v[17:18], s[12:13], v[21:22]
	v_fma_f64 v[15:16], v[13:14], s[0:1], v[15:16]
	v_add_f64 v[13:14], v[19:20], v[15:16]
	v_add_f64 v[17:18], v[13:14], -v[19:20]
	v_add_f64 v[15:16], v[15:16], -v[17:18]
.LBB1_7:
	s_andn2_saveexec_b64 s[0:1], s[2:3]
	s_cbranch_execz .LBB1_9
; %bb.8:
	s_mov_b32 s2, 0x6dc9c883
	s_mov_b32 s3, 0x3fe45f30
	v_mul_f64 v[13:14], |v[7:8]|, s[2:3]
	s_mov_b32 s2, 0x54442d18
	s_mov_b32 s3, 0xbff921fb
	;; [unrolled: 1-line block ×4, first 2 shown]
	v_rndne_f64_e32 v[17:18], v[13:14]
	v_fma_f64 v[13:14], v[17:18], s[2:3], |v[7:8]|
	v_mul_f64 v[15:16], v[17:18], s[12:13]
	s_mov_b32 s2, 0x252049c0
	s_mov_b32 s3, 0xb97b839a
	v_cvt_i32_f64_e32 v27, v[17:18]
	v_fma_f64 v[23:24], v[17:18], s[12:13], v[13:14]
	v_add_f64 v[19:20], v[13:14], v[15:16]
	s_mov_b32 s13, 0x3c91a626
	v_add_f64 v[21:22], v[13:14], -v[19:20]
	v_add_f64 v[19:20], v[19:20], -v[23:24]
	v_add_f64 v[13:14], v[21:22], v[15:16]
	v_fma_f64 v[15:16], v[17:18], s[12:13], v[15:16]
	v_add_f64 v[13:14], v[19:20], v[13:14]
	v_add_f64 v[13:14], v[13:14], -v[15:16]
	v_fma_f64 v[15:16], v[17:18], s[2:3], v[13:14]
	v_add_f64 v[13:14], v[23:24], v[15:16]
	v_add_f64 v[19:20], v[13:14], -v[23:24]
	v_add_f64 v[15:16], v[15:16], -v[19:20]
.LBB1_9:
	s_or_b64 exec, exec, s[0:1]
	s_mov_b32 s0, 0
	s_mov_b32 s1, 0x41d00000
	s_waitcnt vmcnt(0)
	v_cmp_nlt_f64_e64 s[0:1], |v[1:2]|, s[0:1]
                                        ; implicit-def: $vgpr28
                                        ; implicit-def: $vgpr17_vgpr18
                                        ; implicit-def: $vgpr19_vgpr20
	s_and_saveexec_b64 s[2:3], s[0:1]
	s_xor_b64 s[0:1], exec, s[2:3]
	s_cbranch_execz .LBB1_11
; %bb.10:
	v_trig_preop_f64 v[17:18], |v[1:2]|, 0
	s_mov_b32 s2, 0
	s_mov_b32 s3, 0x7b000000
	s_movk_i32 s5, 0xff80
	v_ldexp_f64 v[19:20], |v[1:2]|, s5
	v_cmp_ge_f64_e64 vcc, |v[1:2]|, s[2:3]
	v_trig_preop_f64 v[21:22], |v[1:2]|, 1
	v_and_b32_e32 v23, 0x7fffffff, v2
	v_trig_preop_f64 v[32:33], |v[1:2]|, 2
	s_mov_b32 s2, 0
	s_mov_b32 s3, 0x7ff00000
	v_mov_b32_e32 v43, 0x40100000
	v_mov_b32_e32 v42, 0
	v_cndmask_b32_e32 v20, v23, v20, vcc
	v_cndmask_b32_e32 v19, v1, v19, vcc
	s_mov_b32 s12, 0x33145c07
	v_mul_f64 v[23:24], v[17:18], v[19:20]
	s_mov_b32 s13, 0x3c91a626
	v_mul_f64 v[28:29], v[21:22], v[19:20]
	v_mul_f64 v[38:39], v[32:33], v[19:20]
	v_fma_f64 v[17:18], v[17:18], v[19:20], -v[23:24]
	v_fma_f64 v[21:22], v[21:22], v[19:20], -v[28:29]
	v_fma_f64 v[19:20], v[32:33], v[19:20], -v[38:39]
	v_add_f64 v[30:31], v[28:29], v[17:18]
	v_add_f64 v[34:35], v[30:31], -v[28:29]
	v_add_f64 v[40:41], v[23:24], v[30:31]
	v_add_f64 v[36:37], v[30:31], -v[34:35]
	v_add_f64 v[17:18], v[17:18], -v[34:35]
	v_add_f64 v[34:35], v[38:39], v[21:22]
	v_add_f64 v[23:24], v[40:41], -v[23:24]
	v_add_f64 v[28:29], v[28:29], -v[36:37]
	v_ldexp_f64 v[36:37], v[40:41], -2
	v_add_f64 v[23:24], v[30:31], -v[23:24]
	v_add_f64 v[17:18], v[17:18], v[28:29]
	v_fract_f64_e32 v[28:29], v[36:37]
	v_cmp_neq_f64_e64 vcc, |v[36:37]|, s[2:3]
	s_mov_b32 s2, 0x54442d18
	s_mov_b32 s3, 0x3ff921fb
	v_add_f64 v[30:31], v[34:35], v[17:18]
	v_ldexp_f64 v[28:29], v[28:29], 2
	v_add_f64 v[36:37], v[23:24], v[30:31]
	v_cndmask_b32_e32 v29, 0, v29, vcc
	v_cndmask_b32_e32 v28, 0, v28, vcc
	v_add_f64 v[44:45], v[30:31], -v[34:35]
	v_add_f64 v[40:41], v[36:37], v[28:29]
	v_add_f64 v[23:24], v[36:37], -v[23:24]
	v_add_f64 v[48:49], v[30:31], -v[44:45]
	;; [unrolled: 1-line block ×3, first 2 shown]
	v_cmp_gt_f64_e32 vcc, 0, v[40:41]
	v_add_f64 v[40:41], v[34:35], -v[38:39]
	v_add_f64 v[23:24], v[30:31], -v[23:24]
	v_cndmask_b32_e32 v43, 0, v43, vcc
	v_add_f64 v[28:29], v[28:29], v[42:43]
	v_add_f64 v[46:47], v[34:35], -v[40:41]
	v_add_f64 v[21:22], v[21:22], -v[40:41]
	;; [unrolled: 1-line block ×3, first 2 shown]
	v_add_f64 v[50:51], v[36:37], v[28:29]
	v_add_f64 v[40:41], v[38:39], -v[46:47]
	v_add_f64 v[17:18], v[17:18], v[34:35]
	v_cvt_i32_f64_e32 v45, v[50:51]
	v_add_f64 v[21:22], v[21:22], v[40:41]
	v_cvt_f64_i32_e32 v[43:44], v45
	v_add_f64 v[28:29], v[28:29], -v[43:44]
	v_add_f64 v[17:18], v[21:22], v[17:18]
	v_add_f64 v[21:22], v[36:37], v[28:29]
	;; [unrolled: 1-line block ×3, first 2 shown]
	v_add_f64 v[19:20], v[21:22], -v[28:29]
	v_cmp_le_f64_e32 vcc, 0.5, v[21:22]
	v_add_f64 v[17:18], v[23:24], v[17:18]
	v_mov_b32_e32 v23, 0x3ff00000
	v_add_f64 v[19:20], v[36:37], -v[19:20]
	v_cndmask_b32_e32 v43, 0, v23, vcc
	v_add_f64 v[17:18], v[17:18], v[19:20]
	v_add_f64 v[19:20], v[21:22], -v[42:43]
	v_add_f64 v[21:22], v[19:20], v[17:18]
	v_mul_f64 v[23:24], v[21:22], s[2:3]
	v_add_f64 v[19:20], v[21:22], -v[19:20]
	v_fma_f64 v[28:29], v[21:22], s[2:3], -v[23:24]
	v_add_f64 v[17:18], v[17:18], -v[19:20]
	v_fma_f64 v[19:20], v[21:22], s[12:13], v[28:29]
	v_addc_co_u32_e32 v28, vcc, 0, v45, vcc
	v_fma_f64 v[19:20], v[17:18], s[2:3], v[19:20]
	v_add_f64 v[17:18], v[23:24], v[19:20]
	v_add_f64 v[21:22], v[17:18], -v[23:24]
	v_add_f64 v[19:20], v[19:20], -v[21:22]
.LBB1_11:
	s_andn2_saveexec_b64 s[0:1], s[0:1]
	s_cbranch_execz .LBB1_13
; %bb.12:
	s_mov_b32 s2, 0x6dc9c883
	s_mov_b32 s3, 0x3fe45f30
	v_mul_f64 v[17:18], |v[1:2]|, s[2:3]
	s_mov_b32 s2, 0x54442d18
	s_mov_b32 s3, 0xbff921fb
	;; [unrolled: 1-line block ×4, first 2 shown]
	v_rndne_f64_e32 v[21:22], v[17:18]
	v_fma_f64 v[17:18], v[21:22], s[2:3], |v[1:2]|
	v_mul_f64 v[19:20], v[21:22], s[12:13]
	s_mov_b32 s2, 0x252049c0
	s_mov_b32 s3, 0xb97b839a
	v_fma_f64 v[30:31], v[21:22], s[12:13], v[17:18]
	v_add_f64 v[23:24], v[17:18], v[19:20]
	s_mov_b32 s13, 0x3c91a626
	v_add_f64 v[28:29], v[17:18], -v[23:24]
	v_add_f64 v[23:24], v[23:24], -v[30:31]
	v_add_f64 v[17:18], v[28:29], v[19:20]
	v_fma_f64 v[19:20], v[21:22], s[12:13], v[19:20]
	v_cvt_i32_f64_e32 v28, v[21:22]
	v_add_f64 v[17:18], v[23:24], v[17:18]
	v_add_f64 v[17:18], v[17:18], -v[19:20]
	v_fma_f64 v[19:20], v[21:22], s[2:3], v[17:18]
	v_add_f64 v[17:18], v[30:31], v[19:20]
	v_add_f64 v[23:24], v[17:18], -v[30:31]
	v_add_f64 v[19:20], v[19:20], -v[23:24]
.LBB1_13:
	s_or_b64 exec, exec, s[0:1]
	s_mov_b32 s0, 0
	s_mov_b32 s1, 0x41d00000
	v_cmp_nlt_f64_e64 s[0:1], |v[3:4]|, s[0:1]
                                        ; implicit-def: $vgpr29
                                        ; implicit-def: $vgpr21_vgpr22
                                        ; implicit-def: $vgpr23_vgpr24
	s_and_saveexec_b64 s[2:3], s[0:1]
	s_xor_b64 s[2:3], exec, s[2:3]
	s_cbranch_execz .LBB1_15
; %bb.14:
	v_trig_preop_f64 v[21:22], |v[3:4]|, 0
	s_mov_b32 s0, 0
	s_mov_b32 s1, 0x7b000000
	s_movk_i32 s5, 0xff80
	v_ldexp_f64 v[29:30], |v[3:4]|, s5
	v_cmp_ge_f64_e64 vcc, |v[3:4]|, s[0:1]
	v_trig_preop_f64 v[23:24], |v[3:4]|, 1
	v_and_b32_e32 v31, 0x7fffffff, v4
	v_trig_preop_f64 v[37:38], |v[3:4]|, 2
	s_mov_b32 s0, 0
	s_mov_b32 s1, 0x7ff00000
	v_mov_b32_e32 v48, 0x40100000
	v_mov_b32_e32 v47, 0
	v_cndmask_b32_e32 v30, v31, v30, vcc
	v_cndmask_b32_e32 v29, v3, v29, vcc
	s_mov_b32 s12, 0x33145c07
	v_mul_f64 v[31:32], v[21:22], v[29:30]
	s_mov_b32 s13, 0x3c91a626
	v_mul_f64 v[33:34], v[23:24], v[29:30]
	v_mul_f64 v[43:44], v[37:38], v[29:30]
	v_fma_f64 v[21:22], v[21:22], v[29:30], -v[31:32]
	v_fma_f64 v[23:24], v[23:24], v[29:30], -v[33:34]
	;; [unrolled: 1-line block ×3, first 2 shown]
	v_add_f64 v[35:36], v[33:34], v[21:22]
	v_add_f64 v[39:40], v[35:36], -v[33:34]
	v_add_f64 v[45:46], v[31:32], v[35:36]
	v_add_f64 v[41:42], v[35:36], -v[39:40]
	v_add_f64 v[21:22], v[21:22], -v[39:40]
	v_add_f64 v[39:40], v[43:44], v[23:24]
	v_add_f64 v[31:32], v[45:46], -v[31:32]
	v_add_f64 v[33:34], v[33:34], -v[41:42]
	v_ldexp_f64 v[41:42], v[45:46], -2
	v_add_f64 v[49:50], v[39:40], -v[43:44]
	v_add_f64 v[31:32], v[35:36], -v[31:32]
	v_add_f64 v[21:22], v[21:22], v[33:34]
	v_fract_f64_e32 v[33:34], v[41:42]
	v_cmp_neq_f64_e64 vcc, |v[41:42]|, s[0:1]
	v_add_f64 v[23:24], v[23:24], -v[49:50]
	v_add_f64 v[35:36], v[39:40], v[21:22]
	v_ldexp_f64 v[33:34], v[33:34], 2
	v_add_f64 v[41:42], v[31:32], v[35:36]
	v_cndmask_b32_e32 v34, 0, v34, vcc
	v_cndmask_b32_e32 v33, 0, v33, vcc
	v_add_f64 v[51:52], v[35:36], -v[39:40]
	v_add_f64 v[45:46], v[41:42], v[33:34]
	v_add_f64 v[31:32], v[41:42], -v[31:32]
	v_add_f64 v[53:54], v[35:36], -v[51:52]
	;; [unrolled: 1-line block ×3, first 2 shown]
	v_cmp_gt_f64_e32 vcc, 0, v[45:46]
	v_add_f64 v[45:46], v[39:40], -v[49:50]
	v_add_f64 v[31:32], v[35:36], -v[31:32]
	;; [unrolled: 1-line block ×3, first 2 shown]
	v_cndmask_b32_e32 v48, 0, v48, vcc
	v_add_f64 v[33:34], v[33:34], v[47:48]
	v_add_f64 v[45:46], v[43:44], -v[45:46]
	v_add_f64 v[21:22], v[21:22], v[39:40]
	v_add_f64 v[55:56], v[41:42], v[33:34]
	;; [unrolled: 1-line block ×3, first 2 shown]
	v_cvt_i32_f64_e32 v50, v[55:56]
	v_add_f64 v[21:22], v[23:24], v[21:22]
	v_cvt_f64_i32_e32 v[48:49], v50
	v_add_f64 v[33:34], v[33:34], -v[48:49]
	v_add_f64 v[21:22], v[29:30], v[21:22]
	v_add_f64 v[23:24], v[41:42], v[33:34]
	;; [unrolled: 1-line block ×3, first 2 shown]
	v_mov_b32_e32 v32, 0x3ff00000
	v_add_f64 v[29:30], v[23:24], -v[33:34]
	v_cmp_le_f64_e32 vcc, 0.5, v[23:24]
	v_add_f64 v[30:31], v[41:42], -v[29:30]
	v_cndmask_b32_e32 v48, 0, v32, vcc
	v_add_f64 v[23:24], v[23:24], -v[47:48]
	v_addc_co_u32_e64 v29, s[0:1], 0, v50, vcc
	s_mov_b32 s0, 0x54442d18
	s_mov_b32 s1, 0x3ff921fb
	v_add_f64 v[21:22], v[21:22], v[30:31]
	v_add_f64 v[30:31], v[23:24], v[21:22]
	v_mul_f64 v[32:33], v[30:31], s[0:1]
	v_add_f64 v[23:24], v[30:31], -v[23:24]
	v_fma_f64 v[34:35], v[30:31], s[0:1], -v[32:33]
	v_add_f64 v[21:22], v[21:22], -v[23:24]
	v_fma_f64 v[23:24], v[30:31], s[12:13], v[34:35]
	v_fma_f64 v[23:24], v[21:22], s[0:1], v[23:24]
	v_add_f64 v[21:22], v[32:33], v[23:24]
	v_add_f64 v[30:31], v[21:22], -v[32:33]
	v_add_f64 v[23:24], v[23:24], -v[30:31]
.LBB1_15:
	s_andn2_saveexec_b64 s[0:1], s[2:3]
	s_cbranch_execz .LBB1_17
; %bb.16:
	s_mov_b32 s2, 0x6dc9c883
	s_mov_b32 s3, 0x3fe45f30
	v_mul_f64 v[21:22], |v[3:4]|, s[2:3]
	s_mov_b32 s2, 0x54442d18
	s_mov_b32 s3, 0xbff921fb
	;; [unrolled: 1-line block ×4, first 2 shown]
	v_rndne_f64_e32 v[29:30], v[21:22]
	v_fma_f64 v[21:22], v[29:30], s[2:3], |v[3:4]|
	v_mul_f64 v[23:24], v[29:30], s[12:13]
	s_mov_b32 s2, 0x252049c0
	s_mov_b32 s3, 0xb97b839a
	v_fma_f64 v[35:36], v[29:30], s[12:13], v[21:22]
	v_add_f64 v[31:32], v[21:22], v[23:24]
	s_mov_b32 s13, 0x3c91a626
	v_add_f64 v[33:34], v[21:22], -v[31:32]
	v_add_f64 v[31:32], v[31:32], -v[35:36]
	v_add_f64 v[21:22], v[33:34], v[23:24]
	v_fma_f64 v[23:24], v[29:30], s[12:13], v[23:24]
	v_add_f64 v[21:22], v[31:32], v[21:22]
	v_add_f64 v[21:22], v[21:22], -v[23:24]
	v_fma_f64 v[23:24], v[29:30], s[2:3], v[21:22]
	v_cvt_i32_f64_e32 v29, v[29:30]
	v_add_f64 v[21:22], v[35:36], v[23:24]
	v_add_f64 v[31:32], v[21:22], -v[35:36]
	v_add_f64 v[23:24], v[23:24], -v[31:32]
.LBB1_17:
	s_or_b64 exec, exec, s[0:1]
	v_mul_f64 v[30:31], v[17:18], v[17:18]
	s_mov_b32 s12, 0xb42fdfa7
	s_mov_b32 s13, 0xbe5ae600
	;; [unrolled: 1-line block ×3, first 2 shown]
	v_mov_b32_e32 v33, s13
	s_mov_b32 s3, 0x3de5e0b2
	v_mov_b32_e32 v32, s12
	s_mov_b32 s14, 0x9037ab78
	v_fma_f64 v[34:35], v[30:31], s[2:3], v[32:33]
	s_mov_b32 s15, 0x3e21eeb6
	s_mov_b32 s0, 0x796cde01
	;; [unrolled: 1-line block ×3, first 2 shown]
	v_mov_b32_e32 v37, s15
	s_mov_b32 s1, 0x3ec71de3
	s_mov_b32 s13, 0xbda907db
	v_mov_b32_e32 v36, s14
	v_fma_f64 v[38:39], v[30:31], s[12:13], v[36:37]
	v_mul_f64 v[40:41], v[30:31], 0.5
	v_fma_f64 v[34:35], v[30:31], v[34:35], s[0:1]
	s_mov_b32 s14, 0x19e83e5c
	s_mov_b32 s16, 0xa17f65f6
	s_mov_b32 s15, 0xbf2a01a0
	s_mov_b32 s17, 0xbe927e4f
	v_mul_f64 v[46:47], v[13:14], v[13:14]
	v_fma_f64 v[38:39], v[30:31], v[38:39], s[16:17]
	v_add_f64 v[44:45], -v[40:41], 1.0
	v_fma_f64 v[34:35], v[30:31], v[34:35], s[14:15]
	s_mov_b32 s18, 0x11110bb3
	s_mov_b32 s20, 0x19f4ec90
	;; [unrolled: 1-line block ×4, first 2 shown]
	v_mul_f64 v[42:43], v[17:18], -v[30:31]
	v_fma_f64 v[38:39], v[30:31], v[38:39], s[20:21]
	v_mul_f64 v[48:49], v[19:20], 0.5
	v_add_f64 v[50:51], -v[44:45], 1.0
	v_fma_f64 v[34:35], v[30:31], v[34:35], s[18:19]
	v_fma_f64 v[52:53], v[46:47], s[2:3], v[32:33]
	s_mov_b32 s24, 0x16c16967
	s_mov_b32 s25, 0xbf56c16c
	v_mul_f64 v[54:55], v[46:47], 0.5
	v_fma_f64 v[38:39], v[30:31], v[38:39], s[24:25]
	s_mov_b32 s22, 0x55555555
	v_add_f64 v[40:41], v[50:51], -v[40:41]
	v_fma_f64 v[34:35], v[42:43], v[34:35], v[48:49]
	v_fma_f64 v[50:51], v[46:47], v[52:53], s[0:1]
	;; [unrolled: 1-line block ×3, first 2 shown]
	s_mov_b32 s23, 0xbfc55555
	s_mov_b32 s27, 0x3fa55555
	;; [unrolled: 1-line block ×3, first 2 shown]
	v_mul_f64 v[48:49], v[30:31], v[30:31]
	v_fma_f64 v[38:39], v[30:31], v[38:39], s[26:27]
	v_fma_f64 v[40:41], v[17:18], -v[19:20], v[40:41]
	v_fma_f64 v[19:20], v[30:31], v[34:35], -v[19:20]
	v_fma_f64 v[30:31], v[46:47], v[50:51], s[14:15]
	v_fma_f64 v[34:35], v[46:47], v[52:53], s[16:17]
	v_add_f64 v[50:51], -v[54:55], 1.0
	s_movk_i32 s5, 0x1f8
	v_mul_f64 v[52:53], v[23:24], 0.5
	v_mov_b32_e32 v56, 0x7ff80000
	v_fma_f64 v[38:39], v[48:49], v[38:39], v[40:41]
	v_fma_f64 v[19:20], v[42:43], s[22:23], v[19:20]
	v_mul_f64 v[40:41], v[15:16], 0.5
	v_mul_f64 v[42:43], v[13:14], -v[46:47]
	v_fma_f64 v[30:31], v[46:47], v[30:31], s[18:19]
	v_fma_f64 v[34:35], v[46:47], v[34:35], s[20:21]
	v_add_f64 v[48:49], -v[50:51], 1.0
	v_add_f64 v[38:39], v[44:45], v[38:39]
	v_add_f64 v[17:18], v[17:18], -v[19:20]
	v_mul_f64 v[19:20], v[9:10], v[9:10]
	v_and_b32_e32 v44, 1, v28
	v_fma_f64 v[30:31], v[42:43], v[30:31], v[40:41]
	v_fma_f64 v[34:35], v[46:47], v[34:35], s[24:25]
	v_add_f64 v[40:41], v[48:49], -v[54:55]
	v_lshlrev_b32_e32 v28, 30, v28
	v_cmp_eq_u32_e32 vcc, 0, v44
	v_cndmask_b32_e32 v44, v38, v17, vcc
	v_xor_b32_e32 v17, v28, v2
	v_cndmask_b32_e32 v45, v39, v18, vcc
	v_and_b32_e32 v28, 0x80000000, v17
	v_fma_f64 v[17:18], v[46:47], v[30:31], -v[15:16]
	v_mul_f64 v[30:31], v[46:47], v[46:47]
	v_fma_f64 v[34:35], v[46:47], v[34:35], s[26:27]
	v_fma_f64 v[38:39], v[19:20], s[2:3], v[32:33]
	v_fma_f64 v[15:16], v[13:14], -v[15:16], v[40:41]
	v_mul_f64 v[40:41], v[21:22], v[21:22]
	v_cmp_class_f64_e64 vcc, v[1:2], s5
	v_xor_b32_e32 v28, v45, v28
	v_fma_f64 v[17:18], v[42:43], s[22:23], v[17:18]
	v_mul_f64 v[46:47], v[11:12], 0.5
	v_mul_f64 v[54:55], v[19:20], v[19:20]
	v_fma_f64 v[38:39], v[19:20], v[38:39], s[0:1]
	v_fma_f64 v[15:16], v[30:31], v[34:35], v[15:16]
	;; [unrolled: 1-line block ×3, first 2 shown]
	v_mul_f64 v[34:35], v[19:20], 0.5
	v_fma_f64 v[32:33], v[40:41], s[2:3], v[32:33]
	v_add_f64 v[13:14], v[13:14], -v[17:18]
	v_mul_f64 v[42:43], v[40:41], 0.5
	v_fma_f64 v[36:37], v[40:41], s[12:13], v[36:37]
	v_fma_f64 v[17:18], v[19:20], v[38:39], s[14:15]
	v_cndmask_b32_e32 v1, 0, v44, vcc
	v_fma_f64 v[30:31], v[19:20], v[30:31], s[16:17]
	v_add_f64 v[38:39], -v[34:35], 1.0
	v_fma_f64 v[32:33], v[40:41], v[32:33], s[0:1]
	v_add_f64 v[15:16], v[50:51], v[15:16]
	v_mul_f64 v[44:45], v[9:10], -v[19:20]
	v_add_f64 v[50:51], -v[42:43], 1.0
	v_fma_f64 v[17:18], v[19:20], v[17:18], s[18:19]
	v_fma_f64 v[36:37], v[40:41], v[36:37], s[16:17]
	;; [unrolled: 1-line block ×3, first 2 shown]
	v_add_f64 v[48:49], -v[38:39], 1.0
	v_fma_f64 v[32:33], v[40:41], v[32:33], s[14:15]
	v_cndmask_b32_e32 v2, v56, v28, vcc
	v_and_b32_e32 v28, 1, v27
	v_cmp_eq_u32_e32 vcc, 0, v28
	v_fma_f64 v[17:18], v[44:45], v[17:18], v[46:47]
	v_add_f64 v[46:47], -v[50:51], 1.0
	v_fma_f64 v[30:31], v[19:20], v[30:31], s[24:25]
	v_add_f64 v[34:35], v[48:49], -v[34:35]
	v_fma_f64 v[36:37], v[40:41], v[36:37], s[20:21]
	v_fma_f64 v[32:33], v[40:41], v[32:33], s[18:19]
	v_mul_f64 v[48:49], v[21:22], -v[40:41]
	v_cndmask_b32_e32 v28, v15, v13, vcc
	v_fma_f64 v[17:18], v[19:20], v[17:18], -v[11:12]
	v_cmp_class_f64_e64 s[0:1], v[7:8], s5
	v_fma_f64 v[19:20], v[19:20], v[30:31], s[26:27]
	v_fma_f64 v[11:12], v[9:10], -v[11:12], v[34:35]
	v_fma_f64 v[30:31], v[40:41], v[36:37], s[24:25]
	v_add_f64 v[34:35], v[46:47], -v[42:43]
	v_fma_f64 v[32:33], v[48:49], v[32:33], v[52:53]
	v_cndmask_b32_e32 v7, v16, v14, vcc
	v_fma_f64 v[13:14], v[44:45], s[22:23], v[17:18]
	v_mul_f64 v[15:16], v[40:41], v[40:41]
	v_lshlrev_b32_e32 v27, 30, v27
	v_fma_f64 v[11:12], v[54:55], v[19:20], v[11:12]
	v_fma_f64 v[17:18], v[40:41], v[30:31], s[26:27]
	v_fma_f64 v[19:20], v[21:22], -v[23:24], v[34:35]
	v_fma_f64 v[23:24], v[40:41], v[32:33], -v[23:24]
	v_xor_b32_e32 v8, v27, v8
	v_add_f64 v[9:10], v[9:10], -v[13:14]
	v_and_b32_e32 v8, 0x80000000, v8
	v_xor_b32_e32 v8, v7, v8
	v_add_f64 v[11:12], v[38:39], v[11:12]
	v_cndmask_b32_e64 v7, 0, v28, s[0:1]
	v_fma_f64 v[13:14], v[15:16], v[17:18], v[19:20]
	v_fma_f64 v[15:16], v[48:49], s[22:23], v[23:24]
	v_and_b32_e32 v17, 1, v26
	v_cmp_eq_u32_e32 vcc, 0, v17
	v_cndmask_b32_e64 v8, v56, v8, s[0:1]
	v_cmp_class_f64_e64 s[0:1], v[5:6], s5
	v_cndmask_b32_e32 v17, v11, v9, vcc
	v_cndmask_b32_e32 v5, v12, v10, vcc
	v_add_f64 v[9:10], v[50:51], v[13:14]
	v_add_f64 v[11:12], v[21:22], -v[15:16]
	v_cmp_class_f64_e64 s[2:3], v[3:4], s5
	v_lshlrev_b32_e32 v13, 30, v26
	v_xor_b32_e32 v6, v13, v6
	v_and_b32_e32 v13, 1, v29
	v_cmp_eq_u32_e32 vcc, 0, v13
	v_and_b32_e32 v6, 0x80000000, v6
	v_xor_b32_e32 v6, v5, v6
	v_cndmask_b32_e32 v3, v10, v12, vcc
	v_lshlrev_b32_e32 v10, 30, v29
	v_xor_b32_e32 v4, v10, v4
	v_cndmask_b32_e64 v5, 0, v17, s[0:1]
	v_cndmask_b32_e64 v6, v56, v6, s[0:1]
	v_and_b32_e32 v4, 0x80000000, v4
	s_add_u32 s0, s8, s6
	v_cndmask_b32_e32 v9, v9, v11, vcc
	v_xor_b32_e32 v4, v3, v4
	s_addc_u32 s1, s9, s7
	v_cndmask_b32_e64 v3, 0, v9, s[2:3]
	v_cndmask_b32_e64 v4, v56, v4, s[2:3]
	global_store_dwordx4 v25, v[5:8], s[0:1]
	global_store_dwordx4 v25, v[1:4], s[0:1] offset:16
	s_mov_b64 s[0:1], 0
.LBB1_18:
	s_and_b64 vcc, exec, s[0:1]
	s_cbranch_vccz .LBB1_51
; %bb.19:
	v_mov_b32_e32 v10, 0
	v_mov_b32_e32 v16, 0
	v_cmp_gt_i32_e32 vcc, s28, v0
	v_mov_b32_e32 v11, 0
	v_or_b32_e32 v1, s4, v0
	v_mov_b32_e32 v17, 0
	v_mov_b32_e32 v6, v0
	s_and_saveexec_b64 s[2:3], vcc
	s_cbranch_execz .LBB1_21
; %bb.20:
	v_mov_b32_e32 v2, 0
	v_lshlrev_b64 v[2:3], 3, v[1:2]
	v_mov_b32_e32 v4, s11
	v_add_co_u32_e64 v2, s[0:1], s10, v2
	v_addc_co_u32_e64 v3, s[0:1], v4, v3, s[0:1]
	global_load_dwordx2 v[16:17], v[2:3], off
	v_or_b32_e32 v6, 0x100, v0
.LBB1_21:
	s_or_b64 exec, exec, s[2:3]
	v_cmp_gt_i32_e64 s[0:1], s28, v6
	s_and_saveexec_b64 s[2:3], s[0:1]
	s_cbranch_execz .LBB1_23
; %bb.22:
	v_add_u32_e32 v2, s4, v6
	v_mov_b32_e32 v3, 0
	v_lshlrev_b64 v[2:3], 3, v[2:3]
	v_mov_b32_e32 v4, s11
	v_add_co_u32_e64 v2, s[0:1], s10, v2
	v_addc_co_u32_e64 v3, s[0:1], v4, v3, s[0:1]
	global_load_dwordx2 v[10:11], v[2:3], off
	v_add_u32_e32 v6, 0x100, v6
.LBB1_23:
	s_or_b64 exec, exec, s[2:3]
	v_mov_b32_e32 v2, 0
	v_mov_b32_e32 v4, 0
	;; [unrolled: 1-line block ×4, first 2 shown]
	v_cmp_gt_i32_e64 s[0:1], s28, v6
	s_and_saveexec_b64 s[2:3], s[0:1]
	s_cbranch_execz .LBB1_25
; %bb.24:
	v_add_u32_e32 v4, s4, v6
	v_mov_b32_e32 v5, 0
	v_lshlrev_b64 v[4:5], 3, v[4:5]
	v_mov_b32_e32 v7, s11
	v_add_co_u32_e64 v4, s[0:1], s10, v4
	v_addc_co_u32_e64 v5, s[0:1], v7, v5, s[0:1]
	global_load_dwordx2 v[4:5], v[4:5], off
	v_add_u32_e32 v6, 0x100, v6
.LBB1_25:
	s_or_b64 exec, exec, s[2:3]
	v_cmp_gt_i32_e64 s[0:1], s28, v6
	s_and_saveexec_b64 s[2:3], s[0:1]
	s_cbranch_execz .LBB1_27
; %bb.26:
	v_add_u32_e32 v2, s4, v6
	v_mov_b32_e32 v3, 0
	v_lshlrev_b64 v[2:3], 3, v[2:3]
	v_mov_b32_e32 v6, s11
	v_add_co_u32_e64 v2, s[0:1], s10, v2
	v_addc_co_u32_e64 v3, s[0:1], v6, v3, s[0:1]
	global_load_dwordx2 v[2:3], v[2:3], off
.LBB1_27:
	s_or_b64 exec, exec, s[2:3]
	v_mov_b32_e32 v6, 0
	v_mov_b32_e32 v7, v6
	;; [unrolled: 1-line block ×8, first 2 shown]
	s_and_saveexec_b64 s[6:7], vcc
	s_cbranch_execz .LBB1_33
; %bb.28:
	s_mov_b32 s0, 0
	s_mov_b32 s1, 0x41d00000
	s_waitcnt vmcnt(0)
	v_cmp_nlt_f64_e64 s[0:1], |v[16:17]|, s[0:1]
                                        ; implicit-def: $vgpr12
                                        ; implicit-def: $vgpr6_vgpr7
                                        ; implicit-def: $vgpr8_vgpr9
	s_and_saveexec_b64 s[2:3], s[0:1]
	s_xor_b64 s[10:11], exec, s[2:3]
	s_cbranch_execz .LBB1_30
; %bb.29:
	v_trig_preop_f64 v[6:7], |v[16:17]|, 0
	s_mov_b32 s0, 0
	s_mov_b32 s1, 0x7b000000
	s_movk_i32 s2, 0xff80
	v_ldexp_f64 v[12:13], |v[16:17]|, s2
	v_cmp_ge_f64_e64 s[0:1], |v[16:17]|, s[0:1]
	v_trig_preop_f64 v[8:9], |v[16:17]|, 1
	v_and_b32_e32 v14, 0x7fffffff, v17
	v_trig_preop_f64 v[22:23], |v[16:17]|, 2
	v_mov_b32_e32 v33, 0x40100000
	v_mov_b32_e32 v32, 0
	v_cndmask_b32_e64 v13, v14, v13, s[0:1]
	v_cndmask_b32_e64 v12, v16, v12, s[0:1]
	s_mov_b32 s0, 0
	v_mul_f64 v[14:15], v[6:7], v[12:13]
	s_mov_b32 s1, 0x7ff00000
	v_mul_f64 v[18:19], v[8:9], v[12:13]
	v_mul_f64 v[28:29], v[22:23], v[12:13]
	v_fma_f64 v[6:7], v[6:7], v[12:13], -v[14:15]
	v_fma_f64 v[8:9], v[8:9], v[12:13], -v[18:19]
	;; [unrolled: 1-line block ×3, first 2 shown]
	v_add_f64 v[20:21], v[18:19], v[6:7]
	v_add_f64 v[24:25], v[20:21], -v[18:19]
	v_add_f64 v[30:31], v[14:15], v[20:21]
	v_add_f64 v[26:27], v[20:21], -v[24:25]
	v_add_f64 v[6:7], v[6:7], -v[24:25]
	v_add_f64 v[24:25], v[28:29], v[8:9]
	v_add_f64 v[14:15], v[30:31], -v[14:15]
	v_add_f64 v[18:19], v[18:19], -v[26:27]
	v_ldexp_f64 v[26:27], v[30:31], -2
	v_add_f64 v[34:35], v[24:25], -v[28:29]
	v_add_f64 v[14:15], v[20:21], -v[14:15]
	v_add_f64 v[6:7], v[6:7], v[18:19]
	v_fract_f64_e32 v[18:19], v[26:27]
	v_cmp_neq_f64_e64 s[0:1], |v[26:27]|, s[0:1]
	v_add_f64 v[8:9], v[8:9], -v[34:35]
	v_add_f64 v[20:21], v[24:25], v[6:7]
	v_ldexp_f64 v[18:19], v[18:19], 2
	v_add_f64 v[26:27], v[14:15], v[20:21]
	v_cndmask_b32_e64 v19, 0, v19, s[0:1]
	v_cndmask_b32_e64 v18, 0, v18, s[0:1]
	v_add_f64 v[36:37], v[20:21], -v[24:25]
	v_add_f64 v[30:31], v[26:27], v[18:19]
	v_add_f64 v[14:15], v[26:27], -v[14:15]
	v_add_f64 v[38:39], v[20:21], -v[36:37]
	;; [unrolled: 1-line block ×3, first 2 shown]
	v_cmp_gt_f64_e64 s[0:1], 0, v[30:31]
	v_add_f64 v[30:31], v[24:25], -v[34:35]
	v_add_f64 v[14:15], v[20:21], -v[14:15]
	;; [unrolled: 1-line block ×3, first 2 shown]
	v_cndmask_b32_e64 v33, 0, v33, s[0:1]
	v_add_f64 v[18:19], v[18:19], v[32:33]
	v_add_f64 v[30:31], v[28:29], -v[30:31]
	v_add_f64 v[6:7], v[6:7], v[24:25]
	v_add_f64 v[40:41], v[26:27], v[18:19]
	;; [unrolled: 1-line block ×3, first 2 shown]
	v_cvt_i32_f64_e32 v35, v[40:41]
	v_add_f64 v[6:7], v[8:9], v[6:7]
	v_cvt_f64_i32_e32 v[33:34], v35
	v_add_f64 v[18:19], v[18:19], -v[33:34]
	v_add_f64 v[6:7], v[12:13], v[6:7]
	v_add_f64 v[8:9], v[26:27], v[18:19]
	;; [unrolled: 1-line block ×3, first 2 shown]
	v_mov_b32_e32 v15, 0x3ff00000
	v_add_f64 v[12:13], v[8:9], -v[18:19]
	v_cmp_le_f64_e64 s[0:1], 0.5, v[8:9]
	v_add_f64 v[13:14], v[26:27], -v[12:13]
	v_cndmask_b32_e64 v33, 0, v15, s[0:1]
	v_add_f64 v[8:9], v[8:9], -v[32:33]
	v_addc_co_u32_e64 v12, s[2:3], 0, v35, s[0:1]
	s_mov_b32 s0, 0x54442d18
	s_mov_b32 s1, 0x3ff921fb
	;; [unrolled: 1-line block ×3, first 2 shown]
	v_add_f64 v[6:7], v[6:7], v[13:14]
	s_mov_b32 s3, 0x3c91a626
	v_add_f64 v[13:14], v[8:9], v[6:7]
	v_mul_f64 v[18:19], v[13:14], s[0:1]
	v_add_f64 v[8:9], v[13:14], -v[8:9]
	v_fma_f64 v[20:21], v[13:14], s[0:1], -v[18:19]
	v_add_f64 v[6:7], v[6:7], -v[8:9]
	v_fma_f64 v[8:9], v[13:14], s[2:3], v[20:21]
	v_fma_f64 v[8:9], v[6:7], s[0:1], v[8:9]
	v_add_f64 v[6:7], v[18:19], v[8:9]
	v_add_f64 v[13:14], v[6:7], -v[18:19]
	v_add_f64 v[8:9], v[8:9], -v[13:14]
.LBB1_30:
	s_andn2_saveexec_b64 s[0:1], s[10:11]
	s_cbranch_execz .LBB1_32
; %bb.31:
	s_mov_b32 s2, 0x6dc9c883
	s_mov_b32 s3, 0x3fe45f30
	v_mul_f64 v[6:7], |v[16:17]|, s[2:3]
	s_mov_b32 s2, 0x54442d18
	s_mov_b32 s3, 0xbff921fb
	;; [unrolled: 1-line block ×4, first 2 shown]
	v_rndne_f64_e32 v[12:13], v[6:7]
	v_fma_f64 v[6:7], v[12:13], s[2:3], |v[16:17]|
	v_mul_f64 v[8:9], v[12:13], s[10:11]
	s_mov_b32 s2, 0x252049c0
	s_mov_b32 s3, 0xb97b839a
	v_fma_f64 v[20:21], v[12:13], s[10:11], v[6:7]
	v_add_f64 v[14:15], v[6:7], v[8:9]
	s_mov_b32 s11, 0x3c91a626
	v_add_f64 v[18:19], v[6:7], -v[14:15]
	v_add_f64 v[14:15], v[14:15], -v[20:21]
	v_add_f64 v[6:7], v[18:19], v[8:9]
	v_fma_f64 v[8:9], v[12:13], s[10:11], v[8:9]
	v_add_f64 v[6:7], v[14:15], v[6:7]
	v_add_f64 v[6:7], v[6:7], -v[8:9]
	v_fma_f64 v[8:9], v[12:13], s[2:3], v[6:7]
	v_cvt_i32_f64_e32 v12, v[12:13]
	v_add_f64 v[6:7], v[20:21], v[8:9]
	v_add_f64 v[14:15], v[6:7], -v[20:21]
	v_add_f64 v[8:9], v[8:9], -v[14:15]
.LBB1_32:
	s_or_b64 exec, exec, s[0:1]
	v_mul_f64 v[13:14], v[6:7], v[6:7]
	s_mov_b32 s0, 0xf9a43bb8
	v_mov_b32_e32 v19, 0xb42fdfa7
	v_mov_b32_e32 v20, 0xbe5ae600
	s_mov_b32 s1, 0x3de5e0b2
	s_mov_b32 s2, 0x796cde01
	v_mov_b32_e32 v18, 0x9037ab78
	s_mov_b32 s3, 0x3ec71de3
	v_fma_f64 v[20:21], v[13:14], s[0:1], v[19:20]
	s_mov_b32 s0, 0x46cc5e42
	v_mov_b32_e32 v19, 0x3e21eeb6
	s_mov_b32 s1, 0xbda907db
	v_fma_f64 v[18:19], v[13:14], s[0:1], v[18:19]
	v_mul_f64 v[22:23], v[13:14], 0.5
	s_mov_b32 s0, 0xa17f65f6
	s_mov_b32 s10, 0x19e83e5c
	v_fma_f64 v[20:21], v[13:14], v[20:21], s[2:3]
	s_mov_b32 s1, 0xbe927e4f
	s_mov_b32 s11, 0xbf2a01a0
	;; [unrolled: 1-line block ×3, first 2 shown]
	v_fma_f64 v[18:19], v[13:14], v[18:19], s[0:1]
	v_add_f64 v[24:25], -v[22:23], 1.0
	s_mov_b32 s0, 0x11110bb3
	s_mov_b32 s3, 0x3efa01a0
	v_fma_f64 v[20:21], v[13:14], v[20:21], s[10:11]
	s_mov_b32 s1, 0x3f811111
	v_mul_f64 v[26:27], v[8:9], 0.5
	v_mul_f64 v[28:29], v[6:7], -v[13:14]
	v_fma_f64 v[18:19], v[13:14], v[18:19], s[2:3]
	v_add_f64 v[30:31], -v[24:25], 1.0
	s_movk_i32 s2, 0x1f8
	v_cmp_class_f64_e64 s[2:3], v[16:17], s2
	v_fma_f64 v[20:21], v[13:14], v[20:21], s[0:1]
	s_mov_b32 s0, 0x16c16967
	s_mov_b32 s1, 0xbf56c16c
	v_fma_f64 v[18:19], v[13:14], v[18:19], s[0:1]
	v_add_f64 v[22:23], v[30:31], -v[22:23]
	s_mov_b32 s1, 0x3fa55555
	s_mov_b32 s0, 0x55555555
	v_fma_f64 v[20:21], v[28:29], v[20:21], v[26:27]
	v_mul_f64 v[26:27], v[13:14], v[13:14]
	v_fma_f64 v[18:19], v[13:14], v[18:19], s[0:1]
	v_fma_f64 v[22:23], v[6:7], -v[8:9], v[22:23]
	s_mov_b32 s1, 0xbfc55555
	v_fma_f64 v[8:9], v[13:14], v[20:21], -v[8:9]
	v_and_b32_e32 v20, 1, v12
	v_fma_f64 v[13:14], v[26:27], v[18:19], v[22:23]
	v_fma_f64 v[8:9], v[28:29], s[0:1], v[8:9]
	v_cmp_eq_u32_e64 s[0:1], 0, v20
	v_add_f64 v[18:19], v[24:25], v[13:14]
	v_mov_b32_e32 v14, 0
	v_mov_b32_e32 v15, v14
	v_add_f64 v[6:7], v[6:7], -v[8:9]
	v_lshlrev_b32_e32 v8, 30, v12
	v_xor_b32_e32 v21, v8, v17
	v_and_b32_e32 v16, 0x80000000, v21
	v_mov_b32_e32 v9, 0x7ff80000
	v_mov_b32_e32 v12, v14
	;; [unrolled: 1-line block ×4, first 2 shown]
	v_cndmask_b32_e64 v7, v19, v7, s[0:1]
	v_cndmask_b32_e64 v6, v18, v6, s[0:1]
	v_xor_b32_e32 v7, v7, v16
	v_cndmask_b32_e64 v6, 0, v6, s[2:3]
	v_cndmask_b32_e64 v7, v9, v7, s[2:3]
	v_mov_b32_e32 v9, v14
.LBB1_33:
	s_or_b64 exec, exec, s[6:7]
	v_or_b32_e32 v18, 0x100, v0
	v_cmp_gt_i32_e64 s[0:1], s28, v18
	s_and_saveexec_b64 s[6:7], s[0:1]
	s_cbranch_execz .LBB1_39
; %bb.34:
	s_mov_b32 s0, 0
	s_mov_b32 s1, 0x41d00000
	s_waitcnt vmcnt(0)
	v_cmp_nlt_f64_e64 s[0:1], |v[10:11]|, s[0:1]
                                        ; implicit-def: $vgpr19
                                        ; implicit-def: $vgpr14_vgpr15
                                        ; implicit-def: $vgpr16_vgpr17
	s_and_saveexec_b64 s[2:3], s[0:1]
	s_xor_b64 s[10:11], exec, s[2:3]
	s_cbranch_execz .LBB1_36
; %bb.35:
	v_trig_preop_f64 v[14:15], |v[10:11]|, 0
	s_mov_b32 s0, 0
	s_mov_b32 s1, 0x7b000000
	s_movk_i32 s2, 0xff80
	v_ldexp_f64 v[19:20], |v[10:11]|, s2
	v_cmp_ge_f64_e64 s[0:1], |v[10:11]|, s[0:1]
	v_trig_preop_f64 v[16:17], |v[10:11]|, 1
	v_and_b32_e32 v21, 0x7fffffff, v11
	v_trig_preop_f64 v[27:28], |v[10:11]|, 2
	v_mov_b32_e32 v38, 0x40100000
	v_mov_b32_e32 v37, 0
	v_cndmask_b32_e64 v20, v21, v20, s[0:1]
	v_cndmask_b32_e64 v19, v10, v19, s[0:1]
	s_mov_b32 s0, 0
	v_mul_f64 v[21:22], v[14:15], v[19:20]
	s_mov_b32 s1, 0x7ff00000
	v_mul_f64 v[23:24], v[16:17], v[19:20]
	v_mul_f64 v[33:34], v[27:28], v[19:20]
	v_fma_f64 v[14:15], v[14:15], v[19:20], -v[21:22]
	v_fma_f64 v[16:17], v[16:17], v[19:20], -v[23:24]
	;; [unrolled: 1-line block ×3, first 2 shown]
	v_add_f64 v[25:26], v[23:24], v[14:15]
	v_add_f64 v[29:30], v[25:26], -v[23:24]
	v_add_f64 v[35:36], v[21:22], v[25:26]
	v_add_f64 v[31:32], v[25:26], -v[29:30]
	v_add_f64 v[14:15], v[14:15], -v[29:30]
	v_add_f64 v[29:30], v[33:34], v[16:17]
	v_add_f64 v[21:22], v[35:36], -v[21:22]
	v_add_f64 v[23:24], v[23:24], -v[31:32]
	v_ldexp_f64 v[31:32], v[35:36], -2
	v_add_f64 v[39:40], v[29:30], -v[33:34]
	v_add_f64 v[21:22], v[25:26], -v[21:22]
	v_add_f64 v[14:15], v[14:15], v[23:24]
	v_fract_f64_e32 v[23:24], v[31:32]
	v_cmp_neq_f64_e64 s[0:1], |v[31:32]|, s[0:1]
	v_add_f64 v[16:17], v[16:17], -v[39:40]
	v_add_f64 v[25:26], v[29:30], v[14:15]
	v_ldexp_f64 v[23:24], v[23:24], 2
	v_add_f64 v[31:32], v[21:22], v[25:26]
	v_cndmask_b32_e64 v24, 0, v24, s[0:1]
	v_cndmask_b32_e64 v23, 0, v23, s[0:1]
	v_add_f64 v[41:42], v[25:26], -v[29:30]
	v_add_f64 v[35:36], v[31:32], v[23:24]
	v_add_f64 v[21:22], v[31:32], -v[21:22]
	v_add_f64 v[43:44], v[25:26], -v[41:42]
	;; [unrolled: 1-line block ×3, first 2 shown]
	v_cmp_gt_f64_e64 s[0:1], 0, v[35:36]
	v_add_f64 v[35:36], v[29:30], -v[39:40]
	v_add_f64 v[21:22], v[25:26], -v[21:22]
	v_add_f64 v[29:30], v[29:30], -v[43:44]
	v_cndmask_b32_e64 v38, 0, v38, s[0:1]
	v_add_f64 v[23:24], v[23:24], v[37:38]
	v_add_f64 v[35:36], v[33:34], -v[35:36]
	v_add_f64 v[14:15], v[14:15], v[29:30]
	v_add_f64 v[45:46], v[31:32], v[23:24]
	;; [unrolled: 1-line block ×3, first 2 shown]
	v_cvt_i32_f64_e32 v40, v[45:46]
	v_add_f64 v[14:15], v[16:17], v[14:15]
	v_cvt_f64_i32_e32 v[38:39], v40
	v_add_f64 v[23:24], v[23:24], -v[38:39]
	v_add_f64 v[14:15], v[19:20], v[14:15]
	v_add_f64 v[16:17], v[31:32], v[23:24]
	v_add_f64 v[14:15], v[21:22], v[14:15]
	v_mov_b32_e32 v22, 0x3ff00000
	v_add_f64 v[19:20], v[16:17], -v[23:24]
	v_cmp_le_f64_e64 s[0:1], 0.5, v[16:17]
	v_add_f64 v[20:21], v[31:32], -v[19:20]
	v_cndmask_b32_e64 v38, 0, v22, s[0:1]
	v_add_f64 v[16:17], v[16:17], -v[37:38]
	v_addc_co_u32_e64 v19, s[2:3], 0, v40, s[0:1]
	s_mov_b32 s0, 0x54442d18
	s_mov_b32 s1, 0x3ff921fb
	;; [unrolled: 1-line block ×3, first 2 shown]
	v_add_f64 v[14:15], v[14:15], v[20:21]
	s_mov_b32 s3, 0x3c91a626
	v_add_f64 v[20:21], v[16:17], v[14:15]
	v_mul_f64 v[22:23], v[20:21], s[0:1]
	v_add_f64 v[16:17], v[20:21], -v[16:17]
	v_fma_f64 v[24:25], v[20:21], s[0:1], -v[22:23]
	v_add_f64 v[14:15], v[14:15], -v[16:17]
	v_fma_f64 v[16:17], v[20:21], s[2:3], v[24:25]
	v_fma_f64 v[16:17], v[14:15], s[0:1], v[16:17]
	v_add_f64 v[14:15], v[22:23], v[16:17]
	v_add_f64 v[20:21], v[14:15], -v[22:23]
	v_add_f64 v[16:17], v[16:17], -v[20:21]
.LBB1_36:
	s_andn2_saveexec_b64 s[0:1], s[10:11]
	s_cbranch_execz .LBB1_38
; %bb.37:
	s_mov_b32 s2, 0x6dc9c883
	s_mov_b32 s3, 0x3fe45f30
	v_mul_f64 v[14:15], |v[10:11]|, s[2:3]
	s_mov_b32 s2, 0x54442d18
	s_mov_b32 s3, 0xbff921fb
	;; [unrolled: 1-line block ×4, first 2 shown]
	v_rndne_f64_e32 v[19:20], v[14:15]
	v_fma_f64 v[14:15], v[19:20], s[2:3], |v[10:11]|
	v_mul_f64 v[16:17], v[19:20], s[10:11]
	s_mov_b32 s2, 0x252049c0
	s_mov_b32 s3, 0xb97b839a
	v_fma_f64 v[25:26], v[19:20], s[10:11], v[14:15]
	v_add_f64 v[21:22], v[14:15], v[16:17]
	s_mov_b32 s11, 0x3c91a626
	v_add_f64 v[23:24], v[14:15], -v[21:22]
	v_add_f64 v[21:22], v[21:22], -v[25:26]
	v_add_f64 v[14:15], v[23:24], v[16:17]
	v_fma_f64 v[16:17], v[19:20], s[10:11], v[16:17]
	v_add_f64 v[14:15], v[21:22], v[14:15]
	v_add_f64 v[14:15], v[14:15], -v[16:17]
	v_fma_f64 v[16:17], v[19:20], s[2:3], v[14:15]
	v_cvt_i32_f64_e32 v19, v[19:20]
	v_add_f64 v[14:15], v[25:26], v[16:17]
	v_add_f64 v[21:22], v[14:15], -v[25:26]
	v_add_f64 v[16:17], v[16:17], -v[21:22]
.LBB1_38:
	s_or_b64 exec, exec, s[0:1]
	v_mul_f64 v[20:21], v[14:15], v[14:15]
	s_mov_b32 s0, 0xf9a43bb8
	v_mov_b32_e32 v23, 0xb42fdfa7
	v_mov_b32_e32 v24, 0xbe5ae600
	s_mov_b32 s1, 0x3de5e0b2
	s_mov_b32 s2, 0x796cde01
	v_mov_b32_e32 v22, 0x9037ab78
	s_mov_b32 s3, 0x3ec71de3
	v_fma_f64 v[24:25], v[20:21], s[0:1], v[23:24]
	s_mov_b32 s0, 0x46cc5e42
	v_mov_b32_e32 v23, 0x3e21eeb6
	s_mov_b32 s1, 0xbda907db
	v_fma_f64 v[22:23], v[20:21], s[0:1], v[22:23]
	v_mul_f64 v[26:27], v[20:21], 0.5
	s_mov_b32 s0, 0xa17f65f6
	s_mov_b32 s10, 0x19e83e5c
	v_fma_f64 v[24:25], v[20:21], v[24:25], s[2:3]
	s_mov_b32 s1, 0xbe927e4f
	s_mov_b32 s11, 0xbf2a01a0
	;; [unrolled: 1-line block ×3, first 2 shown]
	v_fma_f64 v[22:23], v[20:21], v[22:23], s[0:1]
	v_add_f64 v[28:29], -v[26:27], 1.0
	s_mov_b32 s0, 0x11110bb3
	s_mov_b32 s3, 0x3efa01a0
	v_fma_f64 v[24:25], v[20:21], v[24:25], s[10:11]
	s_mov_b32 s1, 0x3f811111
	v_mul_f64 v[30:31], v[16:17], 0.5
	v_mul_f64 v[32:33], v[14:15], -v[20:21]
	v_fma_f64 v[22:23], v[20:21], v[22:23], s[2:3]
	v_add_f64 v[34:35], -v[28:29], 1.0
	s_movk_i32 s2, 0x1f8
	v_fma_f64 v[24:25], v[20:21], v[24:25], s[0:1]
	s_mov_b32 s0, 0x16c16967
	s_mov_b32 s1, 0xbf56c16c
	v_fma_f64 v[22:23], v[20:21], v[22:23], s[0:1]
	v_add_f64 v[26:27], v[34:35], -v[26:27]
	s_mov_b32 s1, 0x3fa55555
	s_mov_b32 s0, 0x55555555
	v_fma_f64 v[24:25], v[32:33], v[24:25], v[30:31]
	v_mul_f64 v[30:31], v[20:21], v[20:21]
	v_fma_f64 v[22:23], v[20:21], v[22:23], s[0:1]
	v_fma_f64 v[26:27], v[14:15], -v[16:17], v[26:27]
	s_mov_b32 s1, 0xbfc55555
	v_fma_f64 v[16:17], v[20:21], v[24:25], -v[16:17]
	v_fma_f64 v[20:21], v[30:31], v[22:23], v[26:27]
	v_fma_f64 v[16:17], v[32:33], s[0:1], v[16:17]
	v_add_f64 v[20:21], v[28:29], v[20:21]
	v_add_f64 v[14:15], v[14:15], -v[16:17]
	v_and_b32_e32 v16, 1, v19
	v_cmp_eq_u32_e64 s[0:1], 0, v16
	v_lshlrev_b32_e32 v17, 30, v19
	v_xor_b32_e32 v17, v17, v11
	v_and_b32_e32 v17, 0x80000000, v17
	v_mov_b32_e32 v19, 0x7ff80000
	v_cndmask_b32_e64 v14, v20, v14, s[0:1]
	v_cndmask_b32_e64 v15, v21, v15, s[0:1]
	v_cmp_class_f64_e64 s[0:1], v[10:11], s2
	v_xor_b32_e32 v15, v15, v17
	v_cndmask_b32_e64 v15, v19, v15, s[0:1]
	v_cndmask_b32_e64 v14, 0, v14, s[0:1]
.LBB1_39:
	s_or_b64 exec, exec, s[6:7]
	s_waitcnt vmcnt(0)
	v_or_b32_e32 v10, 0x200, v0
	v_cmp_gt_i32_e64 s[0:1], s28, v10
	s_and_saveexec_b64 s[6:7], s[0:1]
	s_cbranch_execz .LBB1_45
; %bb.40:
	s_mov_b32 s0, 0
	s_mov_b32 s1, 0x41d00000
	v_cmp_nlt_f64_e64 s[0:1], |v[4:5]|, s[0:1]
                                        ; implicit-def: $vgpr16
                                        ; implicit-def: $vgpr10_vgpr11
                                        ; implicit-def: $vgpr12_vgpr13
	s_and_saveexec_b64 s[2:3], s[0:1]
	s_xor_b64 s[10:11], exec, s[2:3]
	s_cbranch_execz .LBB1_42
; %bb.41:
	v_trig_preop_f64 v[10:11], |v[4:5]|, 0
	s_mov_b32 s0, 0
	s_mov_b32 s1, 0x7b000000
	s_movk_i32 s2, 0xff80
	v_ldexp_f64 v[16:17], |v[4:5]|, s2
	v_cmp_ge_f64_e64 s[0:1], |v[4:5]|, s[0:1]
	v_trig_preop_f64 v[12:13], |v[4:5]|, 1
	v_and_b32_e32 v19, 0x7fffffff, v5
	v_trig_preop_f64 v[25:26], |v[4:5]|, 2
	v_mov_b32_e32 v36, 0x40100000
	v_mov_b32_e32 v35, 0
	v_cndmask_b32_e64 v17, v19, v17, s[0:1]
	v_cndmask_b32_e64 v16, v4, v16, s[0:1]
	s_mov_b32 s0, 0
	v_mul_f64 v[19:20], v[10:11], v[16:17]
	s_mov_b32 s1, 0x7ff00000
	v_mul_f64 v[21:22], v[12:13], v[16:17]
	v_mul_f64 v[31:32], v[25:26], v[16:17]
	v_fma_f64 v[10:11], v[10:11], v[16:17], -v[19:20]
	v_fma_f64 v[12:13], v[12:13], v[16:17], -v[21:22]
	v_fma_f64 v[16:17], v[25:26], v[16:17], -v[31:32]
	v_add_f64 v[23:24], v[21:22], v[10:11]
	v_add_f64 v[27:28], v[23:24], -v[21:22]
	v_add_f64 v[33:34], v[19:20], v[23:24]
	v_add_f64 v[29:30], v[23:24], -v[27:28]
	v_add_f64 v[10:11], v[10:11], -v[27:28]
	v_add_f64 v[27:28], v[31:32], v[12:13]
	v_add_f64 v[19:20], v[33:34], -v[19:20]
	v_add_f64 v[21:22], v[21:22], -v[29:30]
	v_ldexp_f64 v[29:30], v[33:34], -2
	v_add_f64 v[37:38], v[27:28], -v[31:32]
	v_add_f64 v[19:20], v[23:24], -v[19:20]
	v_add_f64 v[10:11], v[10:11], v[21:22]
	v_fract_f64_e32 v[21:22], v[29:30]
	v_cmp_neq_f64_e64 s[0:1], |v[29:30]|, s[0:1]
	v_add_f64 v[12:13], v[12:13], -v[37:38]
	v_add_f64 v[23:24], v[27:28], v[10:11]
	v_ldexp_f64 v[21:22], v[21:22], 2
	v_add_f64 v[29:30], v[19:20], v[23:24]
	v_cndmask_b32_e64 v22, 0, v22, s[0:1]
	v_cndmask_b32_e64 v21, 0, v21, s[0:1]
	v_add_f64 v[39:40], v[23:24], -v[27:28]
	v_add_f64 v[33:34], v[29:30], v[21:22]
	v_add_f64 v[19:20], v[29:30], -v[19:20]
	v_add_f64 v[41:42], v[23:24], -v[39:40]
	;; [unrolled: 1-line block ×3, first 2 shown]
	v_cmp_gt_f64_e64 s[0:1], 0, v[33:34]
	v_add_f64 v[33:34], v[27:28], -v[37:38]
	v_add_f64 v[19:20], v[23:24], -v[19:20]
	v_add_f64 v[27:28], v[27:28], -v[41:42]
	v_cndmask_b32_e64 v36, 0, v36, s[0:1]
	v_add_f64 v[21:22], v[21:22], v[35:36]
	v_add_f64 v[33:34], v[31:32], -v[33:34]
	v_add_f64 v[10:11], v[10:11], v[27:28]
	v_add_f64 v[43:44], v[29:30], v[21:22]
	;; [unrolled: 1-line block ×3, first 2 shown]
	v_cvt_i32_f64_e32 v38, v[43:44]
	v_add_f64 v[10:11], v[12:13], v[10:11]
	v_cvt_f64_i32_e32 v[36:37], v38
	v_add_f64 v[21:22], v[21:22], -v[36:37]
	v_add_f64 v[10:11], v[16:17], v[10:11]
	v_add_f64 v[12:13], v[29:30], v[21:22]
	;; [unrolled: 1-line block ×3, first 2 shown]
	v_add_f64 v[16:17], v[12:13], -v[21:22]
	v_cmp_le_f64_e64 s[0:1], 0.5, v[12:13]
	v_add_f64 v[19:20], v[29:30], -v[16:17]
	v_mov_b32_e32 v17, 0x3ff00000
	v_cndmask_b32_e64 v36, 0, v17, s[0:1]
	v_add_f64 v[12:13], v[12:13], -v[35:36]
	v_addc_co_u32_e64 v16, s[2:3], 0, v38, s[0:1]
	s_mov_b32 s0, 0x54442d18
	s_mov_b32 s1, 0x3ff921fb
	v_add_f64 v[10:11], v[10:11], v[19:20]
	s_mov_b32 s2, 0x33145c07
	s_mov_b32 s3, 0x3c91a626
	v_add_f64 v[19:20], v[12:13], v[10:11]
	v_mul_f64 v[21:22], v[19:20], s[0:1]
	v_add_f64 v[12:13], v[19:20], -v[12:13]
	v_fma_f64 v[23:24], v[19:20], s[0:1], -v[21:22]
	v_add_f64 v[10:11], v[10:11], -v[12:13]
	v_fma_f64 v[12:13], v[19:20], s[2:3], v[23:24]
	v_fma_f64 v[12:13], v[10:11], s[0:1], v[12:13]
	v_add_f64 v[10:11], v[21:22], v[12:13]
	v_add_f64 v[19:20], v[10:11], -v[21:22]
	v_add_f64 v[12:13], v[12:13], -v[19:20]
.LBB1_42:
	s_andn2_saveexec_b64 s[0:1], s[10:11]
	s_cbranch_execz .LBB1_44
; %bb.43:
	s_mov_b32 s2, 0x6dc9c883
	s_mov_b32 s3, 0x3fe45f30
	v_mul_f64 v[10:11], |v[4:5]|, s[2:3]
	s_mov_b32 s2, 0x54442d18
	s_mov_b32 s3, 0xbff921fb
	;; [unrolled: 1-line block ×4, first 2 shown]
	v_rndne_f64_e32 v[16:17], v[10:11]
	v_fma_f64 v[10:11], v[16:17], s[2:3], |v[4:5]|
	v_mul_f64 v[12:13], v[16:17], s[10:11]
	s_mov_b32 s2, 0x252049c0
	s_mov_b32 s3, 0xb97b839a
	v_fma_f64 v[23:24], v[16:17], s[10:11], v[10:11]
	v_add_f64 v[19:20], v[10:11], v[12:13]
	s_mov_b32 s11, 0x3c91a626
	v_add_f64 v[21:22], v[10:11], -v[19:20]
	v_add_f64 v[19:20], v[19:20], -v[23:24]
	v_add_f64 v[10:11], v[21:22], v[12:13]
	v_fma_f64 v[12:13], v[16:17], s[10:11], v[12:13]
	v_add_f64 v[10:11], v[19:20], v[10:11]
	v_add_f64 v[10:11], v[10:11], -v[12:13]
	v_fma_f64 v[12:13], v[16:17], s[2:3], v[10:11]
	v_cvt_i32_f64_e32 v16, v[16:17]
	v_add_f64 v[10:11], v[23:24], v[12:13]
	v_add_f64 v[19:20], v[10:11], -v[23:24]
	v_add_f64 v[12:13], v[12:13], -v[19:20]
.LBB1_44:
	s_or_b64 exec, exec, s[0:1]
	v_mul_f64 v[19:20], v[10:11], v[10:11]
	s_mov_b32 s0, 0xf9a43bb8
	v_mov_b32_e32 v22, 0xb42fdfa7
	v_mov_b32_e32 v23, 0xbe5ae600
	s_mov_b32 s1, 0x3de5e0b2
	s_mov_b32 s2, 0x796cde01
	v_mov_b32_e32 v21, 0x9037ab78
	s_mov_b32 s3, 0x3ec71de3
	v_fma_f64 v[23:24], v[19:20], s[0:1], v[22:23]
	s_mov_b32 s0, 0x46cc5e42
	v_mov_b32_e32 v22, 0x3e21eeb6
	s_mov_b32 s1, 0xbda907db
	v_fma_f64 v[21:22], v[19:20], s[0:1], v[21:22]
	v_mul_f64 v[25:26], v[19:20], 0.5
	s_mov_b32 s0, 0xa17f65f6
	s_mov_b32 s10, 0x19e83e5c
	v_fma_f64 v[23:24], v[19:20], v[23:24], s[2:3]
	s_mov_b32 s1, 0xbe927e4f
	s_mov_b32 s11, 0xbf2a01a0
	;; [unrolled: 1-line block ×3, first 2 shown]
	v_fma_f64 v[21:22], v[19:20], v[21:22], s[0:1]
	v_add_f64 v[27:28], -v[25:26], 1.0
	s_mov_b32 s0, 0x11110bb3
	s_mov_b32 s3, 0x3efa01a0
	v_fma_f64 v[23:24], v[19:20], v[23:24], s[10:11]
	s_mov_b32 s1, 0x3f811111
	v_mul_f64 v[29:30], v[12:13], 0.5
	v_mul_f64 v[31:32], v[10:11], -v[19:20]
	v_fma_f64 v[21:22], v[19:20], v[21:22], s[2:3]
	v_add_f64 v[33:34], -v[27:28], 1.0
	s_movk_i32 s2, 0x1f8
	v_fma_f64 v[23:24], v[19:20], v[23:24], s[0:1]
	s_mov_b32 s0, 0x16c16967
	s_mov_b32 s1, 0xbf56c16c
	v_fma_f64 v[21:22], v[19:20], v[21:22], s[0:1]
	v_add_f64 v[25:26], v[33:34], -v[25:26]
	s_mov_b32 s1, 0x3fa55555
	s_mov_b32 s0, 0x55555555
	v_fma_f64 v[23:24], v[31:32], v[23:24], v[29:30]
	v_mul_f64 v[29:30], v[19:20], v[19:20]
	v_fma_f64 v[21:22], v[19:20], v[21:22], s[0:1]
	v_fma_f64 v[25:26], v[10:11], -v[12:13], v[25:26]
	s_mov_b32 s1, 0xbfc55555
	v_fma_f64 v[12:13], v[19:20], v[23:24], -v[12:13]
	v_fma_f64 v[19:20], v[29:30], v[21:22], v[25:26]
	v_fma_f64 v[12:13], v[31:32], s[0:1], v[12:13]
	v_add_f64 v[19:20], v[27:28], v[19:20]
	v_add_f64 v[10:11], v[10:11], -v[12:13]
	v_and_b32_e32 v12, 1, v16
	v_cmp_eq_u32_e64 s[0:1], 0, v12
	v_lshlrev_b32_e32 v13, 30, v16
	v_xor_b32_e32 v13, v13, v5
	v_and_b32_e32 v13, 0x80000000, v13
	v_mov_b32_e32 v16, 0x7ff80000
	v_cndmask_b32_e64 v10, v19, v10, s[0:1]
	v_cndmask_b32_e64 v11, v20, v11, s[0:1]
	v_cmp_class_f64_e64 s[0:1], v[4:5], s2
	v_xor_b32_e32 v11, v11, v13
	v_cndmask_b32_e64 v13, v16, v11, s[0:1]
	v_cndmask_b32_e64 v12, 0, v10, s[0:1]
.LBB1_45:
	s_or_b64 exec, exec, s[6:7]
	v_or_b32_e32 v4, 0x300, v0
	v_cmp_gt_i32_e64 s[0:1], s28, v4
	s_and_saveexec_b64 s[6:7], s[0:1]
	s_cbranch_execnz .LBB1_52
; %bb.46:
	s_or_b64 exec, exec, s[6:7]
	s_and_saveexec_b64 s[0:1], vcc
	s_xor_b64 s[0:1], exec, s[0:1]
	s_cbranch_execnz .LBB1_57
.LBB1_47:
	s_or_b64 exec, exec, s[0:1]
	v_cmp_gt_i32_e32 vcc, s28, v0
	s_and_saveexec_b64 s[0:1], vcc
	s_cbranch_execnz .LBB1_58
.LBB1_48:
	s_or_b64 exec, exec, s[0:1]
	v_cmp_gt_i32_e32 vcc, s28, v0
	s_and_saveexec_b64 s[0:1], vcc
	s_cbranch_execnz .LBB1_59
.LBB1_49:
	s_or_b64 exec, exec, s[0:1]
	v_cmp_gt_i32_e32 vcc, s28, v0
	s_and_saveexec_b64 s[0:1], vcc
	s_cbranch_execz .LBB1_51
.LBB1_50:
	v_add_u32_e32 v0, s4, v0
	v_mov_b32_e32 v1, 0
	v_lshlrev_b64 v[0:1], 3, v[0:1]
	v_mov_b32_e32 v2, s9
	v_add_co_u32_e32 v0, vcc, s8, v0
	v_addc_co_u32_e32 v1, vcc, v2, v1, vcc
	global_store_dwordx2 v[0:1], v[8:9], off
.LBB1_51:
	s_endpgm
.LBB1_52:
	s_mov_b32 s0, 0
	s_mov_b32 s1, 0x41d00000
	v_cmp_nlt_f64_e64 s[0:1], |v[2:3]|, s[0:1]
                                        ; implicit-def: $vgpr10
                                        ; implicit-def: $vgpr4_vgpr5
                                        ; implicit-def: $vgpr8_vgpr9
	s_and_saveexec_b64 s[2:3], s[0:1]
	s_xor_b64 s[10:11], exec, s[2:3]
	s_cbranch_execz .LBB1_54
; %bb.53:
	v_trig_preop_f64 v[4:5], |v[2:3]|, 0
	s_mov_b32 s0, 0
	s_mov_b32 s1, 0x7b000000
	s_movk_i32 s2, 0xff80
	v_ldexp_f64 v[10:11], |v[2:3]|, s2
	v_cmp_ge_f64_e64 s[0:1], |v[2:3]|, s[0:1]
	v_trig_preop_f64 v[8:9], |v[2:3]|, 1
	v_and_b32_e32 v16, 0x7fffffff, v3
	v_trig_preop_f64 v[23:24], |v[2:3]|, 2
	v_mov_b32_e32 v34, 0x40100000
	v_mov_b32_e32 v33, 0
	v_cndmask_b32_e64 v11, v16, v11, s[0:1]
	v_cndmask_b32_e64 v10, v2, v10, s[0:1]
	s_mov_b32 s0, 0
	v_mul_f64 v[16:17], v[4:5], v[10:11]
	s_mov_b32 s1, 0x7ff00000
	v_mul_f64 v[19:20], v[8:9], v[10:11]
	v_mul_f64 v[29:30], v[23:24], v[10:11]
	v_fma_f64 v[4:5], v[4:5], v[10:11], -v[16:17]
	v_fma_f64 v[8:9], v[8:9], v[10:11], -v[19:20]
	;; [unrolled: 1-line block ×3, first 2 shown]
	v_add_f64 v[21:22], v[19:20], v[4:5]
	v_add_f64 v[25:26], v[21:22], -v[19:20]
	v_add_f64 v[31:32], v[16:17], v[21:22]
	v_add_f64 v[27:28], v[21:22], -v[25:26]
	v_add_f64 v[4:5], v[4:5], -v[25:26]
	v_add_f64 v[25:26], v[29:30], v[8:9]
	v_add_f64 v[16:17], v[31:32], -v[16:17]
	v_add_f64 v[19:20], v[19:20], -v[27:28]
	v_ldexp_f64 v[27:28], v[31:32], -2
	v_add_f64 v[35:36], v[25:26], -v[29:30]
	v_add_f64 v[16:17], v[21:22], -v[16:17]
	v_add_f64 v[4:5], v[4:5], v[19:20]
	v_fract_f64_e32 v[19:20], v[27:28]
	v_cmp_neq_f64_e64 s[0:1], |v[27:28]|, s[0:1]
	v_add_f64 v[8:9], v[8:9], -v[35:36]
	v_add_f64 v[21:22], v[25:26], v[4:5]
	v_ldexp_f64 v[19:20], v[19:20], 2
	v_add_f64 v[27:28], v[16:17], v[21:22]
	v_cndmask_b32_e64 v20, 0, v20, s[0:1]
	v_cndmask_b32_e64 v19, 0, v19, s[0:1]
	v_add_f64 v[37:38], v[21:22], -v[25:26]
	v_add_f64 v[31:32], v[27:28], v[19:20]
	v_add_f64 v[16:17], v[27:28], -v[16:17]
	v_add_f64 v[39:40], v[21:22], -v[37:38]
	;; [unrolled: 1-line block ×3, first 2 shown]
	v_cmp_gt_f64_e64 s[0:1], 0, v[31:32]
	v_add_f64 v[31:32], v[25:26], -v[35:36]
	v_add_f64 v[16:17], v[21:22], -v[16:17]
	;; [unrolled: 1-line block ×3, first 2 shown]
	v_cndmask_b32_e64 v34, 0, v34, s[0:1]
	v_add_f64 v[19:20], v[19:20], v[33:34]
	v_add_f64 v[31:32], v[29:30], -v[31:32]
	v_add_f64 v[4:5], v[4:5], v[25:26]
	v_add_f64 v[41:42], v[27:28], v[19:20]
	;; [unrolled: 1-line block ×3, first 2 shown]
	v_cvt_i32_f64_e32 v36, v[41:42]
	v_add_f64 v[4:5], v[8:9], v[4:5]
	v_cvt_f64_i32_e32 v[34:35], v36
	v_add_f64 v[19:20], v[19:20], -v[34:35]
	v_add_f64 v[4:5], v[10:11], v[4:5]
	v_add_f64 v[8:9], v[27:28], v[19:20]
	v_add_f64 v[4:5], v[16:17], v[4:5]
	v_add_f64 v[10:11], v[8:9], -v[19:20]
	v_cmp_le_f64_e64 s[0:1], 0.5, v[8:9]
	v_add_f64 v[16:17], v[27:28], -v[10:11]
	v_mov_b32_e32 v11, 0x3ff00000
	v_cndmask_b32_e64 v34, 0, v11, s[0:1]
	v_add_f64 v[8:9], v[8:9], -v[33:34]
	v_addc_co_u32_e64 v10, s[2:3], 0, v36, s[0:1]
	s_mov_b32 s0, 0x54442d18
	s_mov_b32 s1, 0x3ff921fb
	v_add_f64 v[4:5], v[4:5], v[16:17]
	s_mov_b32 s2, 0x33145c07
	s_mov_b32 s3, 0x3c91a626
	v_add_f64 v[16:17], v[8:9], v[4:5]
	v_mul_f64 v[19:20], v[16:17], s[0:1]
	v_add_f64 v[8:9], v[16:17], -v[8:9]
	v_fma_f64 v[21:22], v[16:17], s[0:1], -v[19:20]
	v_add_f64 v[4:5], v[4:5], -v[8:9]
	v_fma_f64 v[8:9], v[16:17], s[2:3], v[21:22]
	v_fma_f64 v[8:9], v[4:5], s[0:1], v[8:9]
	v_add_f64 v[4:5], v[19:20], v[8:9]
	v_add_f64 v[16:17], v[4:5], -v[19:20]
	v_add_f64 v[8:9], v[8:9], -v[16:17]
.LBB1_54:
	s_andn2_saveexec_b64 s[0:1], s[10:11]
	s_cbranch_execz .LBB1_56
; %bb.55:
	s_mov_b32 s2, 0x6dc9c883
	s_mov_b32 s3, 0x3fe45f30
	v_mul_f64 v[4:5], |v[2:3]|, s[2:3]
	s_mov_b32 s2, 0x54442d18
	s_mov_b32 s3, 0xbff921fb
	;; [unrolled: 1-line block ×4, first 2 shown]
	v_rndne_f64_e32 v[10:11], v[4:5]
	v_fma_f64 v[4:5], v[10:11], s[2:3], |v[2:3]|
	v_mul_f64 v[8:9], v[10:11], s[10:11]
	s_mov_b32 s2, 0x252049c0
	s_mov_b32 s3, 0xb97b839a
	v_fma_f64 v[21:22], v[10:11], s[10:11], v[4:5]
	v_add_f64 v[16:17], v[4:5], v[8:9]
	s_mov_b32 s11, 0x3c91a626
	v_add_f64 v[19:20], v[4:5], -v[16:17]
	v_add_f64 v[16:17], v[16:17], -v[21:22]
	v_add_f64 v[4:5], v[19:20], v[8:9]
	v_fma_f64 v[8:9], v[10:11], s[10:11], v[8:9]
	v_add_f64 v[4:5], v[16:17], v[4:5]
	v_add_f64 v[4:5], v[4:5], -v[8:9]
	v_fma_f64 v[8:9], v[10:11], s[2:3], v[4:5]
	v_cvt_i32_f64_e32 v10, v[10:11]
	v_add_f64 v[4:5], v[21:22], v[8:9]
	v_add_f64 v[16:17], v[4:5], -v[21:22]
	v_add_f64 v[8:9], v[8:9], -v[16:17]
.LBB1_56:
	s_or_b64 exec, exec, s[0:1]
	v_mul_f64 v[16:17], v[4:5], v[4:5]
	s_mov_b32 s0, 0xf9a43bb8
	v_mov_b32_e32 v20, 0xb42fdfa7
	v_mov_b32_e32 v21, 0xbe5ae600
	s_mov_b32 s1, 0x3de5e0b2
	s_mov_b32 s2, 0x796cde01
	v_mov_b32_e32 v19, 0x9037ab78
	s_mov_b32 s3, 0x3ec71de3
	v_fma_f64 v[21:22], v[16:17], s[0:1], v[20:21]
	s_mov_b32 s0, 0x46cc5e42
	v_mov_b32_e32 v20, 0x3e21eeb6
	s_mov_b32 s1, 0xbda907db
	v_fma_f64 v[19:20], v[16:17], s[0:1], v[19:20]
	v_mul_f64 v[23:24], v[16:17], 0.5
	s_mov_b32 s0, 0xa17f65f6
	s_mov_b32 s10, 0x19e83e5c
	v_fma_f64 v[21:22], v[16:17], v[21:22], s[2:3]
	s_mov_b32 s1, 0xbe927e4f
	s_mov_b32 s11, 0xbf2a01a0
	;; [unrolled: 1-line block ×3, first 2 shown]
	v_fma_f64 v[19:20], v[16:17], v[19:20], s[0:1]
	v_add_f64 v[25:26], -v[23:24], 1.0
	s_mov_b32 s0, 0x11110bb3
	s_mov_b32 s3, 0x3efa01a0
	v_fma_f64 v[21:22], v[16:17], v[21:22], s[10:11]
	s_mov_b32 s1, 0x3f811111
	v_mul_f64 v[27:28], v[8:9], 0.5
	v_mul_f64 v[29:30], v[4:5], -v[16:17]
	v_fma_f64 v[19:20], v[16:17], v[19:20], s[2:3]
	v_add_f64 v[31:32], -v[25:26], 1.0
	s_movk_i32 s2, 0x1f8
	v_fma_f64 v[21:22], v[16:17], v[21:22], s[0:1]
	s_mov_b32 s0, 0x16c16967
	s_mov_b32 s1, 0xbf56c16c
	v_fma_f64 v[19:20], v[16:17], v[19:20], s[0:1]
	v_add_f64 v[23:24], v[31:32], -v[23:24]
	s_mov_b32 s1, 0x3fa55555
	s_mov_b32 s0, 0x55555555
	v_fma_f64 v[21:22], v[29:30], v[21:22], v[27:28]
	v_mul_f64 v[27:28], v[16:17], v[16:17]
	v_fma_f64 v[19:20], v[16:17], v[19:20], s[0:1]
	v_fma_f64 v[23:24], v[4:5], -v[8:9], v[23:24]
	s_mov_b32 s1, 0xbfc55555
	v_fma_f64 v[8:9], v[16:17], v[21:22], -v[8:9]
	v_fma_f64 v[16:17], v[27:28], v[19:20], v[23:24]
	v_fma_f64 v[8:9], v[29:30], s[0:1], v[8:9]
	v_add_f64 v[16:17], v[25:26], v[16:17]
	v_add_f64 v[4:5], v[4:5], -v[8:9]
	v_and_b32_e32 v8, 1, v10
	v_cmp_eq_u32_e64 s[0:1], 0, v8
	v_lshlrev_b32_e32 v9, 30, v10
	v_xor_b32_e32 v9, v9, v3
	v_and_b32_e32 v9, 0x80000000, v9
	v_mov_b32_e32 v10, 0x7ff80000
	v_cndmask_b32_e64 v4, v16, v4, s[0:1]
	v_cndmask_b32_e64 v5, v17, v5, s[0:1]
	v_cmp_class_f64_e64 s[0:1], v[2:3], s2
	v_xor_b32_e32 v5, v5, v9
	v_cndmask_b32_e64 v9, v10, v5, s[0:1]
	v_cndmask_b32_e64 v8, 0, v4, s[0:1]
	s_or_b64 exec, exec, s[6:7]
	s_and_saveexec_b64 s[0:1], vcc
	s_xor_b64 s[0:1], exec, s[0:1]
	s_cbranch_execz .LBB1_47
.LBB1_57:
	v_mov_b32_e32 v2, 0
	v_lshlrev_b64 v[0:1], 3, v[1:2]
	v_mov_b32_e32 v2, s9
	v_add_co_u32_e32 v0, vcc, s8, v0
	v_addc_co_u32_e32 v1, vcc, v2, v1, vcc
	global_store_dwordx2 v[0:1], v[6:7], off
	v_mov_b32_e32 v0, v18
	s_or_b64 exec, exec, s[0:1]
	v_cmp_gt_i32_e32 vcc, s28, v0
	s_and_saveexec_b64 s[0:1], vcc
	s_cbranch_execz .LBB1_48
.LBB1_58:
	v_add_u32_e32 v1, s4, v0
	v_mov_b32_e32 v2, 0
	v_lshlrev_b64 v[1:2], 3, v[1:2]
	v_mov_b32_e32 v3, s9
	v_add_co_u32_e32 v1, vcc, s8, v1
	v_addc_co_u32_e32 v2, vcc, v3, v2, vcc
	v_add_u32_e32 v0, 0x100, v0
	global_store_dwordx2 v[1:2], v[14:15], off
	s_or_b64 exec, exec, s[0:1]
	v_cmp_gt_i32_e32 vcc, s28, v0
	s_and_saveexec_b64 s[0:1], vcc
	s_cbranch_execz .LBB1_49
.LBB1_59:
	v_add_u32_e32 v1, s4, v0
	v_mov_b32_e32 v2, 0
	v_lshlrev_b64 v[1:2], 3, v[1:2]
	v_mov_b32_e32 v3, s9
	v_add_co_u32_e32 v1, vcc, s8, v1
	v_addc_co_u32_e32 v2, vcc, v3, v2, vcc
	v_add_u32_e32 v0, 0x100, v0
	global_store_dwordx2 v[1:2], v[12:13], off
	s_or_b64 exec, exec, s[0:1]
	v_cmp_gt_i32_e32 vcc, s28, v0
	s_and_saveexec_b64 s[0:1], vcc
	s_cbranch_execnz .LBB1_50
	s_branch .LBB1_51
	.section	.rodata,"a",@progbits
	.p2align	6, 0x0
	.amdhsa_kernel _ZN2at6native29vectorized_elementwise_kernelILi8EZZZNS0_15sin_kernel_cudaERNS_18TensorIteratorBaseEENKUlvE0_clEvENKUlvE_clEvEUldE_St5arrayIPcLm2EEEEviT0_T1_
		.amdhsa_group_segment_fixed_size 0
		.amdhsa_private_segment_fixed_size 0
		.amdhsa_kernarg_size 24
		.amdhsa_user_sgpr_count 6
		.amdhsa_user_sgpr_private_segment_buffer 1
		.amdhsa_user_sgpr_dispatch_ptr 0
		.amdhsa_user_sgpr_queue_ptr 0
		.amdhsa_user_sgpr_kernarg_segment_ptr 1
		.amdhsa_user_sgpr_dispatch_id 0
		.amdhsa_user_sgpr_flat_scratch_init 0
		.amdhsa_user_sgpr_private_segment_size 0
		.amdhsa_uses_dynamic_stack 0
		.amdhsa_system_sgpr_private_segment_wavefront_offset 0
		.amdhsa_system_sgpr_workgroup_id_x 1
		.amdhsa_system_sgpr_workgroup_id_y 0
		.amdhsa_system_sgpr_workgroup_id_z 0
		.amdhsa_system_sgpr_workgroup_info 0
		.amdhsa_system_vgpr_workitem_id 0
		.amdhsa_next_free_vgpr 57
		.amdhsa_next_free_sgpr 29
		.amdhsa_reserve_vcc 1
		.amdhsa_reserve_flat_scratch 0
		.amdhsa_float_round_mode_32 0
		.amdhsa_float_round_mode_16_64 0
		.amdhsa_float_denorm_mode_32 3
		.amdhsa_float_denorm_mode_16_64 3
		.amdhsa_dx10_clamp 1
		.amdhsa_ieee_mode 1
		.amdhsa_fp16_overflow 0
		.amdhsa_exception_fp_ieee_invalid_op 0
		.amdhsa_exception_fp_denorm_src 0
		.amdhsa_exception_fp_ieee_div_zero 0
		.amdhsa_exception_fp_ieee_overflow 0
		.amdhsa_exception_fp_ieee_underflow 0
		.amdhsa_exception_fp_ieee_inexact 0
		.amdhsa_exception_int_div_zero 0
	.end_amdhsa_kernel
	.section	.text._ZN2at6native29vectorized_elementwise_kernelILi8EZZZNS0_15sin_kernel_cudaERNS_18TensorIteratorBaseEENKUlvE0_clEvENKUlvE_clEvEUldE_St5arrayIPcLm2EEEEviT0_T1_,"axG",@progbits,_ZN2at6native29vectorized_elementwise_kernelILi8EZZZNS0_15sin_kernel_cudaERNS_18TensorIteratorBaseEENKUlvE0_clEvENKUlvE_clEvEUldE_St5arrayIPcLm2EEEEviT0_T1_,comdat
.Lfunc_end1:
	.size	_ZN2at6native29vectorized_elementwise_kernelILi8EZZZNS0_15sin_kernel_cudaERNS_18TensorIteratorBaseEENKUlvE0_clEvENKUlvE_clEvEUldE_St5arrayIPcLm2EEEEviT0_T1_, .Lfunc_end1-_ZN2at6native29vectorized_elementwise_kernelILi8EZZZNS0_15sin_kernel_cudaERNS_18TensorIteratorBaseEENKUlvE0_clEvENKUlvE_clEvEUldE_St5arrayIPcLm2EEEEviT0_T1_
                                        ; -- End function
	.set _ZN2at6native29vectorized_elementwise_kernelILi8EZZZNS0_15sin_kernel_cudaERNS_18TensorIteratorBaseEENKUlvE0_clEvENKUlvE_clEvEUldE_St5arrayIPcLm2EEEEviT0_T1_.num_vgpr, 57
	.set _ZN2at6native29vectorized_elementwise_kernelILi8EZZZNS0_15sin_kernel_cudaERNS_18TensorIteratorBaseEENKUlvE0_clEvENKUlvE_clEvEUldE_St5arrayIPcLm2EEEEviT0_T1_.num_agpr, 0
	.set _ZN2at6native29vectorized_elementwise_kernelILi8EZZZNS0_15sin_kernel_cudaERNS_18TensorIteratorBaseEENKUlvE0_clEvENKUlvE_clEvEUldE_St5arrayIPcLm2EEEEviT0_T1_.numbered_sgpr, 29
	.set _ZN2at6native29vectorized_elementwise_kernelILi8EZZZNS0_15sin_kernel_cudaERNS_18TensorIteratorBaseEENKUlvE0_clEvENKUlvE_clEvEUldE_St5arrayIPcLm2EEEEviT0_T1_.num_named_barrier, 0
	.set _ZN2at6native29vectorized_elementwise_kernelILi8EZZZNS0_15sin_kernel_cudaERNS_18TensorIteratorBaseEENKUlvE0_clEvENKUlvE_clEvEUldE_St5arrayIPcLm2EEEEviT0_T1_.private_seg_size, 0
	.set _ZN2at6native29vectorized_elementwise_kernelILi8EZZZNS0_15sin_kernel_cudaERNS_18TensorIteratorBaseEENKUlvE0_clEvENKUlvE_clEvEUldE_St5arrayIPcLm2EEEEviT0_T1_.uses_vcc, 1
	.set _ZN2at6native29vectorized_elementwise_kernelILi8EZZZNS0_15sin_kernel_cudaERNS_18TensorIteratorBaseEENKUlvE0_clEvENKUlvE_clEvEUldE_St5arrayIPcLm2EEEEviT0_T1_.uses_flat_scratch, 0
	.set _ZN2at6native29vectorized_elementwise_kernelILi8EZZZNS0_15sin_kernel_cudaERNS_18TensorIteratorBaseEENKUlvE0_clEvENKUlvE_clEvEUldE_St5arrayIPcLm2EEEEviT0_T1_.has_dyn_sized_stack, 0
	.set _ZN2at6native29vectorized_elementwise_kernelILi8EZZZNS0_15sin_kernel_cudaERNS_18TensorIteratorBaseEENKUlvE0_clEvENKUlvE_clEvEUldE_St5arrayIPcLm2EEEEviT0_T1_.has_recursion, 0
	.set _ZN2at6native29vectorized_elementwise_kernelILi8EZZZNS0_15sin_kernel_cudaERNS_18TensorIteratorBaseEENKUlvE0_clEvENKUlvE_clEvEUldE_St5arrayIPcLm2EEEEviT0_T1_.has_indirect_call, 0
	.section	.AMDGPU.csdata,"",@progbits
; Kernel info:
; codeLenInByte = 10980
; TotalNumSgprs: 33
; NumVgprs: 57
; ScratchSize: 0
; MemoryBound: 1
; FloatMode: 240
; IeeeMode: 1
; LDSByteSize: 0 bytes/workgroup (compile time only)
; SGPRBlocks: 4
; VGPRBlocks: 14
; NumSGPRsForWavesPerEU: 33
; NumVGPRsForWavesPerEU: 57
; Occupancy: 4
; WaveLimiterHint : 0
; COMPUTE_PGM_RSRC2:SCRATCH_EN: 0
; COMPUTE_PGM_RSRC2:USER_SGPR: 6
; COMPUTE_PGM_RSRC2:TRAP_HANDLER: 0
; COMPUTE_PGM_RSRC2:TGID_X_EN: 1
; COMPUTE_PGM_RSRC2:TGID_Y_EN: 0
; COMPUTE_PGM_RSRC2:TGID_Z_EN: 0
; COMPUTE_PGM_RSRC2:TIDIG_COMP_CNT: 0
	.section	.text._ZN2at6native29vectorized_elementwise_kernelILi4EZZZNS0_15sin_kernel_cudaERNS_18TensorIteratorBaseEENKUlvE0_clEvENKUlvE_clEvEUldE_St5arrayIPcLm2EEEEviT0_T1_,"axG",@progbits,_ZN2at6native29vectorized_elementwise_kernelILi4EZZZNS0_15sin_kernel_cudaERNS_18TensorIteratorBaseEENKUlvE0_clEvENKUlvE_clEvEUldE_St5arrayIPcLm2EEEEviT0_T1_,comdat
	.globl	_ZN2at6native29vectorized_elementwise_kernelILi4EZZZNS0_15sin_kernel_cudaERNS_18TensorIteratorBaseEENKUlvE0_clEvENKUlvE_clEvEUldE_St5arrayIPcLm2EEEEviT0_T1_ ; -- Begin function _ZN2at6native29vectorized_elementwise_kernelILi4EZZZNS0_15sin_kernel_cudaERNS_18TensorIteratorBaseEENKUlvE0_clEvENKUlvE_clEvEUldE_St5arrayIPcLm2EEEEviT0_T1_
	.p2align	8
	.type	_ZN2at6native29vectorized_elementwise_kernelILi4EZZZNS0_15sin_kernel_cudaERNS_18TensorIteratorBaseEENKUlvE0_clEvENKUlvE_clEvEUldE_St5arrayIPcLm2EEEEviT0_T1_,@function
_ZN2at6native29vectorized_elementwise_kernelILi4EZZZNS0_15sin_kernel_cudaERNS_18TensorIteratorBaseEENKUlvE0_clEvENKUlvE_clEvEUldE_St5arrayIPcLm2EEEEviT0_T1_: ; @_ZN2at6native29vectorized_elementwise_kernelILi4EZZZNS0_15sin_kernel_cudaERNS_18TensorIteratorBaseEENKUlvE0_clEvENKUlvE_clEvEUldE_St5arrayIPcLm2EEEEviT0_T1_
; %bb.0:
	s_load_dword s0, s[4:5], 0x0
	s_load_dwordx4 s[8:11], s[4:5], 0x8
	s_lshl_b32 s4, s6, 10
	s_waitcnt lgkmcnt(0)
	s_sub_i32 s28, s0, s4
	s_cmpk_gt_i32 s28, 0x3ff
	s_mov_b64 s[0:1], -1
	s_cbranch_scc0 .LBB2_18
; %bb.1:
	s_ashr_i32 s5, s4, 31
	s_lshl_b64 s[6:7], s[4:5], 3
	s_add_u32 s0, s10, s6
	s_addc_u32 s1, s11, s7
	v_lshlrev_b32_e32 v25, 5, v0
	global_load_dwordx4 v[5:8], v25, s[0:1]
	global_load_dwordx4 v[1:4], v25, s[0:1] offset:16
	s_mov_b32 s0, 0
	s_mov_b32 s1, 0x41d00000
	v_mov_b32_e32 v13, 0
                                        ; implicit-def: $vgpr26
                                        ; implicit-def: $vgpr9_vgpr10
                                        ; implicit-def: $vgpr11_vgpr12
	s_waitcnt vmcnt(1)
	v_cmp_nlt_f64_e64 s[0:1], |v[5:6]|, s[0:1]
	s_and_saveexec_b64 s[2:3], s[0:1]
	s_xor_b64 s[2:3], exec, s[2:3]
	s_cbranch_execz .LBB2_3
; %bb.2:
	v_trig_preop_f64 v[9:10], |v[5:6]|, 0
	s_mov_b32 s0, 0
	s_mov_b32 s1, 0x7b000000
	s_movk_i32 s5, 0xff80
	v_ldexp_f64 v[14:15], |v[5:6]|, s5
	v_cmp_ge_f64_e64 vcc, |v[5:6]|, s[0:1]
	v_trig_preop_f64 v[11:12], |v[5:6]|, 1
	v_and_b32_e32 v16, 0x7fffffff, v6
	v_trig_preop_f64 v[23:24], |v[5:6]|, 2
	s_mov_b32 s0, 0
	s_mov_b32 s1, 0x7ff00000
	;; [unrolled: 1-line block ×4, first 2 shown]
	v_cndmask_b32_e32 v16, v16, v15, vcc
	v_cndmask_b32_e32 v15, v5, v14, vcc
	v_mov_b32_e32 v14, 0x40100000
	v_mul_f64 v[17:18], v[9:10], v[15:16]
	v_mul_f64 v[19:20], v[11:12], v[15:16]
	;; [unrolled: 1-line block ×3, first 2 shown]
	v_fma_f64 v[9:10], v[9:10], v[15:16], -v[17:18]
	v_fma_f64 v[11:12], v[11:12], v[15:16], -v[19:20]
	v_add_f64 v[21:22], v[19:20], v[9:10]
	v_add_f64 v[26:27], v[21:22], -v[19:20]
	v_add_f64 v[32:33], v[17:18], v[21:22]
	v_add_f64 v[28:29], v[21:22], -v[26:27]
	v_add_f64 v[9:10], v[9:10], -v[26:27]
	v_add_f64 v[26:27], v[30:31], v[11:12]
	v_add_f64 v[17:18], v[32:33], -v[17:18]
	v_add_f64 v[19:20], v[19:20], -v[28:29]
	v_ldexp_f64 v[28:29], v[32:33], -2
	v_add_f64 v[34:35], v[26:27], -v[30:31]
	v_add_f64 v[17:18], v[21:22], -v[17:18]
	v_add_f64 v[9:10], v[9:10], v[19:20]
	v_fract_f64_e32 v[19:20], v[28:29]
	v_cmp_neq_f64_e64 vcc, |v[28:29]|, s[0:1]
	v_add_f64 v[11:12], v[11:12], -v[34:35]
	v_add_f64 v[21:22], v[26:27], v[9:10]
	v_ldexp_f64 v[19:20], v[19:20], 2
	v_add_f64 v[28:29], v[17:18], v[21:22]
	v_cndmask_b32_e32 v20, 0, v20, vcc
	v_cndmask_b32_e32 v19, 0, v19, vcc
	v_add_f64 v[36:37], v[21:22], -v[26:27]
	v_add_f64 v[32:33], v[28:29], v[19:20]
	v_add_f64 v[38:39], v[21:22], -v[36:37]
	v_add_f64 v[9:10], v[9:10], -v[36:37]
	v_cmp_gt_f64_e32 vcc, 0, v[32:33]
	v_add_f64 v[32:33], v[26:27], -v[34:35]
	v_add_f64 v[26:27], v[26:27], -v[38:39]
	v_cndmask_b32_e32 v14, 0, v14, vcc
	v_add_f64 v[19:20], v[19:20], v[13:14]
	v_add_f64 v[32:33], v[30:31], -v[32:33]
	v_add_f64 v[9:10], v[9:10], v[26:27]
	v_fma_f64 v[14:15], v[23:24], v[15:16], -v[30:31]
	v_add_f64 v[16:17], v[28:29], -v[17:18]
	v_add_f64 v[40:41], v[28:29], v[19:20]
	v_add_f64 v[11:12], v[11:12], v[32:33]
	v_add_f64 v[16:17], v[21:22], -v[16:17]
	v_cvt_i32_f64_e32 v36, v[40:41]
	v_add_f64 v[9:10], v[11:12], v[9:10]
	v_cvt_f64_i32_e32 v[34:35], v36
	v_add_f64 v[19:20], v[19:20], -v[34:35]
	v_add_f64 v[9:10], v[14:15], v[9:10]
	v_add_f64 v[11:12], v[28:29], v[19:20]
	;; [unrolled: 1-line block ×3, first 2 shown]
	v_add_f64 v[14:15], v[11:12], -v[19:20]
	v_cmp_le_f64_e32 vcc, 0.5, v[11:12]
	v_add_f64 v[15:16], v[28:29], -v[14:15]
	v_mov_b32_e32 v14, 0x3ff00000
	v_cndmask_b32_e32 v14, 0, v14, vcc
	v_add_f64 v[11:12], v[11:12], -v[13:14]
	v_addc_co_u32_e64 v26, s[0:1], 0, v36, vcc
	s_mov_b32 s0, 0x54442d18
	s_mov_b32 s1, 0x3ff921fb
	v_add_f64 v[9:10], v[9:10], v[15:16]
	v_add_f64 v[13:14], v[11:12], v[9:10]
	v_mul_f64 v[15:16], v[13:14], s[0:1]
	v_add_f64 v[11:12], v[13:14], -v[11:12]
	v_fma_f64 v[17:18], v[13:14], s[0:1], -v[15:16]
	v_add_f64 v[9:10], v[9:10], -v[11:12]
	v_fma_f64 v[11:12], v[13:14], s[12:13], v[17:18]
	v_fma_f64 v[11:12], v[9:10], s[0:1], v[11:12]
	v_add_f64 v[9:10], v[15:16], v[11:12]
	v_add_f64 v[13:14], v[9:10], -v[15:16]
	v_add_f64 v[11:12], v[11:12], -v[13:14]
.LBB2_3:
	s_andn2_saveexec_b64 s[0:1], s[2:3]
	s_cbranch_execz .LBB2_5
; %bb.4:
	s_mov_b32 s2, 0x6dc9c883
	s_mov_b32 s3, 0x3fe45f30
	v_mul_f64 v[9:10], |v[5:6]|, s[2:3]
	s_mov_b32 s2, 0x54442d18
	s_mov_b32 s3, 0xbff921fb
	;; [unrolled: 1-line block ×4, first 2 shown]
	v_rndne_f64_e32 v[13:14], v[9:10]
	v_fma_f64 v[9:10], v[13:14], s[2:3], |v[5:6]|
	v_mul_f64 v[11:12], v[13:14], s[12:13]
	s_mov_b32 s2, 0x252049c0
	s_mov_b32 s3, 0xb97b839a
	v_cvt_i32_f64_e32 v26, v[13:14]
	v_fma_f64 v[19:20], v[13:14], s[12:13], v[9:10]
	v_add_f64 v[15:16], v[9:10], v[11:12]
	s_mov_b32 s13, 0x3c91a626
	v_add_f64 v[17:18], v[9:10], -v[15:16]
	v_add_f64 v[15:16], v[15:16], -v[19:20]
	v_add_f64 v[9:10], v[17:18], v[11:12]
	v_fma_f64 v[11:12], v[13:14], s[12:13], v[11:12]
	v_add_f64 v[9:10], v[15:16], v[9:10]
	v_add_f64 v[9:10], v[9:10], -v[11:12]
	v_fma_f64 v[11:12], v[13:14], s[2:3], v[9:10]
	v_add_f64 v[9:10], v[19:20], v[11:12]
	v_add_f64 v[15:16], v[9:10], -v[19:20]
	v_add_f64 v[11:12], v[11:12], -v[15:16]
.LBB2_5:
	s_or_b64 exec, exec, s[0:1]
	s_mov_b32 s0, 0
	s_mov_b32 s1, 0x41d00000
	v_cmp_nlt_f64_e64 s[0:1], |v[7:8]|, s[0:1]
                                        ; implicit-def: $vgpr27
                                        ; implicit-def: $vgpr13_vgpr14
                                        ; implicit-def: $vgpr15_vgpr16
	s_and_saveexec_b64 s[2:3], s[0:1]
	s_xor_b64 s[2:3], exec, s[2:3]
	s_cbranch_execz .LBB2_7
; %bb.6:
	v_trig_preop_f64 v[13:14], |v[7:8]|, 0
	s_mov_b32 s0, 0
	s_mov_b32 s1, 0x7b000000
	s_movk_i32 s5, 0xff80
	v_ldexp_f64 v[17:18], |v[7:8]|, s5
	v_cmp_ge_f64_e64 vcc, |v[7:8]|, s[0:1]
	v_trig_preop_f64 v[15:16], |v[7:8]|, 1
	v_and_b32_e32 v19, 0x7fffffff, v8
	v_trig_preop_f64 v[27:28], |v[7:8]|, 2
	s_mov_b32 s0, 0
	s_mov_b32 s1, 0x7ff00000
	v_mov_b32_e32 v38, 0x40100000
	v_mov_b32_e32 v37, 0
	v_cndmask_b32_e32 v18, v19, v18, vcc
	v_cndmask_b32_e32 v17, v7, v17, vcc
	s_mov_b32 s12, 0x33145c07
	v_mul_f64 v[19:20], v[13:14], v[17:18]
	s_mov_b32 s13, 0x3c91a626
	v_mul_f64 v[21:22], v[15:16], v[17:18]
	v_mul_f64 v[33:34], v[27:28], v[17:18]
	v_fma_f64 v[13:14], v[13:14], v[17:18], -v[19:20]
	v_fma_f64 v[15:16], v[15:16], v[17:18], -v[21:22]
	;; [unrolled: 1-line block ×3, first 2 shown]
	v_add_f64 v[23:24], v[21:22], v[13:14]
	v_add_f64 v[29:30], v[23:24], -v[21:22]
	v_add_f64 v[35:36], v[19:20], v[23:24]
	v_add_f64 v[31:32], v[23:24], -v[29:30]
	v_add_f64 v[13:14], v[13:14], -v[29:30]
	v_add_f64 v[29:30], v[33:34], v[15:16]
	v_add_f64 v[19:20], v[35:36], -v[19:20]
	v_add_f64 v[21:22], v[21:22], -v[31:32]
	v_ldexp_f64 v[31:32], v[35:36], -2
	v_add_f64 v[39:40], v[29:30], -v[33:34]
	v_add_f64 v[19:20], v[23:24], -v[19:20]
	v_add_f64 v[13:14], v[13:14], v[21:22]
	v_fract_f64_e32 v[21:22], v[31:32]
	v_cmp_neq_f64_e64 vcc, |v[31:32]|, s[0:1]
	v_add_f64 v[15:16], v[15:16], -v[39:40]
	v_add_f64 v[23:24], v[29:30], v[13:14]
	v_ldexp_f64 v[21:22], v[21:22], 2
	v_add_f64 v[31:32], v[19:20], v[23:24]
	v_cndmask_b32_e32 v22, 0, v22, vcc
	v_cndmask_b32_e32 v21, 0, v21, vcc
	v_add_f64 v[41:42], v[23:24], -v[29:30]
	v_add_f64 v[35:36], v[31:32], v[21:22]
	v_add_f64 v[19:20], v[31:32], -v[19:20]
	v_add_f64 v[43:44], v[23:24], -v[41:42]
	;; [unrolled: 1-line block ×3, first 2 shown]
	v_cmp_gt_f64_e32 vcc, 0, v[35:36]
	v_add_f64 v[35:36], v[29:30], -v[39:40]
	v_add_f64 v[19:20], v[23:24], -v[19:20]
	v_add_f64 v[29:30], v[29:30], -v[43:44]
	v_cndmask_b32_e32 v38, 0, v38, vcc
	v_add_f64 v[21:22], v[21:22], v[37:38]
	v_add_f64 v[35:36], v[33:34], -v[35:36]
	v_add_f64 v[13:14], v[13:14], v[29:30]
	v_add_f64 v[45:46], v[31:32], v[21:22]
	;; [unrolled: 1-line block ×3, first 2 shown]
	v_cvt_i32_f64_e32 v40, v[45:46]
	v_add_f64 v[13:14], v[15:16], v[13:14]
	v_cvt_f64_i32_e32 v[38:39], v40
	v_add_f64 v[21:22], v[21:22], -v[38:39]
	v_add_f64 v[13:14], v[17:18], v[13:14]
	v_add_f64 v[15:16], v[31:32], v[21:22]
	;; [unrolled: 1-line block ×3, first 2 shown]
	v_mov_b32_e32 v19, 0x3ff00000
	v_add_f64 v[17:18], v[15:16], -v[21:22]
	v_cmp_le_f64_e32 vcc, 0.5, v[15:16]
	v_add_f64 v[17:18], v[31:32], -v[17:18]
	v_cndmask_b32_e32 v38, 0, v19, vcc
	v_add_f64 v[15:16], v[15:16], -v[37:38]
	v_addc_co_u32_e64 v27, s[0:1], 0, v40, vcc
	s_mov_b32 s0, 0x54442d18
	s_mov_b32 s1, 0x3ff921fb
	v_add_f64 v[13:14], v[13:14], v[17:18]
	v_add_f64 v[17:18], v[15:16], v[13:14]
	v_mul_f64 v[19:20], v[17:18], s[0:1]
	v_add_f64 v[15:16], v[17:18], -v[15:16]
	v_fma_f64 v[21:22], v[17:18], s[0:1], -v[19:20]
	v_add_f64 v[13:14], v[13:14], -v[15:16]
	v_fma_f64 v[15:16], v[17:18], s[12:13], v[21:22]
	v_fma_f64 v[15:16], v[13:14], s[0:1], v[15:16]
	v_add_f64 v[13:14], v[19:20], v[15:16]
	v_add_f64 v[17:18], v[13:14], -v[19:20]
	v_add_f64 v[15:16], v[15:16], -v[17:18]
.LBB2_7:
	s_andn2_saveexec_b64 s[0:1], s[2:3]
	s_cbranch_execz .LBB2_9
; %bb.8:
	s_mov_b32 s2, 0x6dc9c883
	s_mov_b32 s3, 0x3fe45f30
	v_mul_f64 v[13:14], |v[7:8]|, s[2:3]
	s_mov_b32 s2, 0x54442d18
	s_mov_b32 s3, 0xbff921fb
	;; [unrolled: 1-line block ×4, first 2 shown]
	v_rndne_f64_e32 v[17:18], v[13:14]
	v_fma_f64 v[13:14], v[17:18], s[2:3], |v[7:8]|
	v_mul_f64 v[15:16], v[17:18], s[12:13]
	s_mov_b32 s2, 0x252049c0
	s_mov_b32 s3, 0xb97b839a
	v_cvt_i32_f64_e32 v27, v[17:18]
	v_fma_f64 v[23:24], v[17:18], s[12:13], v[13:14]
	v_add_f64 v[19:20], v[13:14], v[15:16]
	s_mov_b32 s13, 0x3c91a626
	v_add_f64 v[21:22], v[13:14], -v[19:20]
	v_add_f64 v[19:20], v[19:20], -v[23:24]
	v_add_f64 v[13:14], v[21:22], v[15:16]
	v_fma_f64 v[15:16], v[17:18], s[12:13], v[15:16]
	v_add_f64 v[13:14], v[19:20], v[13:14]
	v_add_f64 v[13:14], v[13:14], -v[15:16]
	v_fma_f64 v[15:16], v[17:18], s[2:3], v[13:14]
	v_add_f64 v[13:14], v[23:24], v[15:16]
	v_add_f64 v[19:20], v[13:14], -v[23:24]
	v_add_f64 v[15:16], v[15:16], -v[19:20]
.LBB2_9:
	s_or_b64 exec, exec, s[0:1]
	s_mov_b32 s0, 0
	s_mov_b32 s1, 0x41d00000
	s_waitcnt vmcnt(0)
	v_cmp_nlt_f64_e64 s[0:1], |v[1:2]|, s[0:1]
                                        ; implicit-def: $vgpr28
                                        ; implicit-def: $vgpr17_vgpr18
                                        ; implicit-def: $vgpr19_vgpr20
	s_and_saveexec_b64 s[2:3], s[0:1]
	s_xor_b64 s[0:1], exec, s[2:3]
	s_cbranch_execz .LBB2_11
; %bb.10:
	v_trig_preop_f64 v[17:18], |v[1:2]|, 0
	s_mov_b32 s2, 0
	s_mov_b32 s3, 0x7b000000
	s_movk_i32 s5, 0xff80
	v_ldexp_f64 v[19:20], |v[1:2]|, s5
	v_cmp_ge_f64_e64 vcc, |v[1:2]|, s[2:3]
	v_trig_preop_f64 v[21:22], |v[1:2]|, 1
	v_and_b32_e32 v23, 0x7fffffff, v2
	v_trig_preop_f64 v[32:33], |v[1:2]|, 2
	s_mov_b32 s2, 0
	s_mov_b32 s3, 0x7ff00000
	v_mov_b32_e32 v43, 0x40100000
	v_mov_b32_e32 v42, 0
	v_cndmask_b32_e32 v20, v23, v20, vcc
	v_cndmask_b32_e32 v19, v1, v19, vcc
	s_mov_b32 s12, 0x33145c07
	v_mul_f64 v[23:24], v[17:18], v[19:20]
	s_mov_b32 s13, 0x3c91a626
	v_mul_f64 v[28:29], v[21:22], v[19:20]
	v_mul_f64 v[38:39], v[32:33], v[19:20]
	v_fma_f64 v[17:18], v[17:18], v[19:20], -v[23:24]
	v_fma_f64 v[21:22], v[21:22], v[19:20], -v[28:29]
	;; [unrolled: 1-line block ×3, first 2 shown]
	v_add_f64 v[30:31], v[28:29], v[17:18]
	v_add_f64 v[34:35], v[30:31], -v[28:29]
	v_add_f64 v[40:41], v[23:24], v[30:31]
	v_add_f64 v[36:37], v[30:31], -v[34:35]
	v_add_f64 v[17:18], v[17:18], -v[34:35]
	v_add_f64 v[34:35], v[38:39], v[21:22]
	v_add_f64 v[23:24], v[40:41], -v[23:24]
	v_add_f64 v[28:29], v[28:29], -v[36:37]
	v_ldexp_f64 v[36:37], v[40:41], -2
	v_add_f64 v[23:24], v[30:31], -v[23:24]
	v_add_f64 v[17:18], v[17:18], v[28:29]
	v_fract_f64_e32 v[28:29], v[36:37]
	v_cmp_neq_f64_e64 vcc, |v[36:37]|, s[2:3]
	s_mov_b32 s2, 0x54442d18
	s_mov_b32 s3, 0x3ff921fb
	v_add_f64 v[30:31], v[34:35], v[17:18]
	v_ldexp_f64 v[28:29], v[28:29], 2
	v_add_f64 v[36:37], v[23:24], v[30:31]
	v_cndmask_b32_e32 v29, 0, v29, vcc
	v_cndmask_b32_e32 v28, 0, v28, vcc
	v_add_f64 v[44:45], v[30:31], -v[34:35]
	v_add_f64 v[40:41], v[36:37], v[28:29]
	v_add_f64 v[23:24], v[36:37], -v[23:24]
	v_add_f64 v[48:49], v[30:31], -v[44:45]
	;; [unrolled: 1-line block ×3, first 2 shown]
	v_cmp_gt_f64_e32 vcc, 0, v[40:41]
	v_add_f64 v[40:41], v[34:35], -v[38:39]
	v_add_f64 v[23:24], v[30:31], -v[23:24]
	v_cndmask_b32_e32 v43, 0, v43, vcc
	v_add_f64 v[28:29], v[28:29], v[42:43]
	v_add_f64 v[46:47], v[34:35], -v[40:41]
	v_add_f64 v[21:22], v[21:22], -v[40:41]
	;; [unrolled: 1-line block ×3, first 2 shown]
	v_add_f64 v[50:51], v[36:37], v[28:29]
	v_add_f64 v[40:41], v[38:39], -v[46:47]
	v_add_f64 v[17:18], v[17:18], v[34:35]
	v_cvt_i32_f64_e32 v45, v[50:51]
	v_add_f64 v[21:22], v[21:22], v[40:41]
	v_cvt_f64_i32_e32 v[43:44], v45
	v_add_f64 v[28:29], v[28:29], -v[43:44]
	v_add_f64 v[17:18], v[21:22], v[17:18]
	v_add_f64 v[21:22], v[36:37], v[28:29]
	;; [unrolled: 1-line block ×3, first 2 shown]
	v_add_f64 v[19:20], v[21:22], -v[28:29]
	v_cmp_le_f64_e32 vcc, 0.5, v[21:22]
	v_add_f64 v[17:18], v[23:24], v[17:18]
	v_mov_b32_e32 v23, 0x3ff00000
	v_add_f64 v[19:20], v[36:37], -v[19:20]
	v_cndmask_b32_e32 v43, 0, v23, vcc
	v_add_f64 v[17:18], v[17:18], v[19:20]
	v_add_f64 v[19:20], v[21:22], -v[42:43]
	v_add_f64 v[21:22], v[19:20], v[17:18]
	v_mul_f64 v[23:24], v[21:22], s[2:3]
	v_add_f64 v[19:20], v[21:22], -v[19:20]
	v_fma_f64 v[28:29], v[21:22], s[2:3], -v[23:24]
	v_add_f64 v[17:18], v[17:18], -v[19:20]
	v_fma_f64 v[19:20], v[21:22], s[12:13], v[28:29]
	v_addc_co_u32_e32 v28, vcc, 0, v45, vcc
	v_fma_f64 v[19:20], v[17:18], s[2:3], v[19:20]
	v_add_f64 v[17:18], v[23:24], v[19:20]
	v_add_f64 v[21:22], v[17:18], -v[23:24]
	v_add_f64 v[19:20], v[19:20], -v[21:22]
.LBB2_11:
	s_andn2_saveexec_b64 s[0:1], s[0:1]
	s_cbranch_execz .LBB2_13
; %bb.12:
	s_mov_b32 s2, 0x6dc9c883
	s_mov_b32 s3, 0x3fe45f30
	v_mul_f64 v[17:18], |v[1:2]|, s[2:3]
	s_mov_b32 s2, 0x54442d18
	s_mov_b32 s3, 0xbff921fb
	s_mov_b32 s13, 0xbc91a626
	s_mov_b32 s12, 0x33145c00
	v_rndne_f64_e32 v[21:22], v[17:18]
	v_fma_f64 v[17:18], v[21:22], s[2:3], |v[1:2]|
	v_mul_f64 v[19:20], v[21:22], s[12:13]
	s_mov_b32 s2, 0x252049c0
	s_mov_b32 s3, 0xb97b839a
	v_fma_f64 v[30:31], v[21:22], s[12:13], v[17:18]
	v_add_f64 v[23:24], v[17:18], v[19:20]
	s_mov_b32 s13, 0x3c91a626
	v_add_f64 v[28:29], v[17:18], -v[23:24]
	v_add_f64 v[23:24], v[23:24], -v[30:31]
	v_add_f64 v[17:18], v[28:29], v[19:20]
	v_fma_f64 v[19:20], v[21:22], s[12:13], v[19:20]
	v_cvt_i32_f64_e32 v28, v[21:22]
	v_add_f64 v[17:18], v[23:24], v[17:18]
	v_add_f64 v[17:18], v[17:18], -v[19:20]
	v_fma_f64 v[19:20], v[21:22], s[2:3], v[17:18]
	v_add_f64 v[17:18], v[30:31], v[19:20]
	v_add_f64 v[23:24], v[17:18], -v[30:31]
	v_add_f64 v[19:20], v[19:20], -v[23:24]
.LBB2_13:
	s_or_b64 exec, exec, s[0:1]
	s_mov_b32 s0, 0
	s_mov_b32 s1, 0x41d00000
	v_cmp_nlt_f64_e64 s[0:1], |v[3:4]|, s[0:1]
                                        ; implicit-def: $vgpr29
                                        ; implicit-def: $vgpr21_vgpr22
                                        ; implicit-def: $vgpr23_vgpr24
	s_and_saveexec_b64 s[2:3], s[0:1]
	s_xor_b64 s[2:3], exec, s[2:3]
	s_cbranch_execz .LBB2_15
; %bb.14:
	v_trig_preop_f64 v[21:22], |v[3:4]|, 0
	s_mov_b32 s0, 0
	s_mov_b32 s1, 0x7b000000
	s_movk_i32 s5, 0xff80
	v_ldexp_f64 v[29:30], |v[3:4]|, s5
	v_cmp_ge_f64_e64 vcc, |v[3:4]|, s[0:1]
	v_trig_preop_f64 v[23:24], |v[3:4]|, 1
	v_and_b32_e32 v31, 0x7fffffff, v4
	v_trig_preop_f64 v[37:38], |v[3:4]|, 2
	s_mov_b32 s0, 0
	s_mov_b32 s1, 0x7ff00000
	v_mov_b32_e32 v48, 0x40100000
	v_mov_b32_e32 v47, 0
	v_cndmask_b32_e32 v30, v31, v30, vcc
	v_cndmask_b32_e32 v29, v3, v29, vcc
	s_mov_b32 s12, 0x33145c07
	v_mul_f64 v[31:32], v[21:22], v[29:30]
	s_mov_b32 s13, 0x3c91a626
	v_mul_f64 v[33:34], v[23:24], v[29:30]
	v_mul_f64 v[43:44], v[37:38], v[29:30]
	v_fma_f64 v[21:22], v[21:22], v[29:30], -v[31:32]
	v_fma_f64 v[23:24], v[23:24], v[29:30], -v[33:34]
	;; [unrolled: 1-line block ×3, first 2 shown]
	v_add_f64 v[35:36], v[33:34], v[21:22]
	v_add_f64 v[39:40], v[35:36], -v[33:34]
	v_add_f64 v[45:46], v[31:32], v[35:36]
	v_add_f64 v[41:42], v[35:36], -v[39:40]
	v_add_f64 v[21:22], v[21:22], -v[39:40]
	v_add_f64 v[39:40], v[43:44], v[23:24]
	v_add_f64 v[31:32], v[45:46], -v[31:32]
	v_add_f64 v[33:34], v[33:34], -v[41:42]
	v_ldexp_f64 v[41:42], v[45:46], -2
	v_add_f64 v[49:50], v[39:40], -v[43:44]
	v_add_f64 v[31:32], v[35:36], -v[31:32]
	v_add_f64 v[21:22], v[21:22], v[33:34]
	v_fract_f64_e32 v[33:34], v[41:42]
	v_cmp_neq_f64_e64 vcc, |v[41:42]|, s[0:1]
	v_add_f64 v[23:24], v[23:24], -v[49:50]
	v_add_f64 v[35:36], v[39:40], v[21:22]
	v_ldexp_f64 v[33:34], v[33:34], 2
	v_add_f64 v[41:42], v[31:32], v[35:36]
	v_cndmask_b32_e32 v34, 0, v34, vcc
	v_cndmask_b32_e32 v33, 0, v33, vcc
	v_add_f64 v[51:52], v[35:36], -v[39:40]
	v_add_f64 v[45:46], v[41:42], v[33:34]
	v_add_f64 v[31:32], v[41:42], -v[31:32]
	v_add_f64 v[53:54], v[35:36], -v[51:52]
	;; [unrolled: 1-line block ×3, first 2 shown]
	v_cmp_gt_f64_e32 vcc, 0, v[45:46]
	v_add_f64 v[45:46], v[39:40], -v[49:50]
	v_add_f64 v[31:32], v[35:36], -v[31:32]
	;; [unrolled: 1-line block ×3, first 2 shown]
	v_cndmask_b32_e32 v48, 0, v48, vcc
	v_add_f64 v[33:34], v[33:34], v[47:48]
	v_add_f64 v[45:46], v[43:44], -v[45:46]
	v_add_f64 v[21:22], v[21:22], v[39:40]
	v_add_f64 v[55:56], v[41:42], v[33:34]
	v_add_f64 v[23:24], v[23:24], v[45:46]
	v_cvt_i32_f64_e32 v50, v[55:56]
	v_add_f64 v[21:22], v[23:24], v[21:22]
	v_cvt_f64_i32_e32 v[48:49], v50
	v_add_f64 v[33:34], v[33:34], -v[48:49]
	v_add_f64 v[21:22], v[29:30], v[21:22]
	v_add_f64 v[23:24], v[41:42], v[33:34]
	v_add_f64 v[21:22], v[31:32], v[21:22]
	v_mov_b32_e32 v32, 0x3ff00000
	v_add_f64 v[29:30], v[23:24], -v[33:34]
	v_cmp_le_f64_e32 vcc, 0.5, v[23:24]
	v_add_f64 v[30:31], v[41:42], -v[29:30]
	v_cndmask_b32_e32 v48, 0, v32, vcc
	v_add_f64 v[23:24], v[23:24], -v[47:48]
	v_addc_co_u32_e64 v29, s[0:1], 0, v50, vcc
	s_mov_b32 s0, 0x54442d18
	s_mov_b32 s1, 0x3ff921fb
	v_add_f64 v[21:22], v[21:22], v[30:31]
	v_add_f64 v[30:31], v[23:24], v[21:22]
	v_mul_f64 v[32:33], v[30:31], s[0:1]
	v_add_f64 v[23:24], v[30:31], -v[23:24]
	v_fma_f64 v[34:35], v[30:31], s[0:1], -v[32:33]
	v_add_f64 v[21:22], v[21:22], -v[23:24]
	v_fma_f64 v[23:24], v[30:31], s[12:13], v[34:35]
	v_fma_f64 v[23:24], v[21:22], s[0:1], v[23:24]
	v_add_f64 v[21:22], v[32:33], v[23:24]
	v_add_f64 v[30:31], v[21:22], -v[32:33]
	v_add_f64 v[23:24], v[23:24], -v[30:31]
.LBB2_15:
	s_andn2_saveexec_b64 s[0:1], s[2:3]
	s_cbranch_execz .LBB2_17
; %bb.16:
	s_mov_b32 s2, 0x6dc9c883
	s_mov_b32 s3, 0x3fe45f30
	v_mul_f64 v[21:22], |v[3:4]|, s[2:3]
	s_mov_b32 s2, 0x54442d18
	s_mov_b32 s3, 0xbff921fb
	;; [unrolled: 1-line block ×4, first 2 shown]
	v_rndne_f64_e32 v[29:30], v[21:22]
	v_fma_f64 v[21:22], v[29:30], s[2:3], |v[3:4]|
	v_mul_f64 v[23:24], v[29:30], s[12:13]
	s_mov_b32 s2, 0x252049c0
	s_mov_b32 s3, 0xb97b839a
	v_fma_f64 v[35:36], v[29:30], s[12:13], v[21:22]
	v_add_f64 v[31:32], v[21:22], v[23:24]
	s_mov_b32 s13, 0x3c91a626
	v_add_f64 v[33:34], v[21:22], -v[31:32]
	v_add_f64 v[31:32], v[31:32], -v[35:36]
	v_add_f64 v[21:22], v[33:34], v[23:24]
	v_fma_f64 v[23:24], v[29:30], s[12:13], v[23:24]
	v_add_f64 v[21:22], v[31:32], v[21:22]
	v_add_f64 v[21:22], v[21:22], -v[23:24]
	v_fma_f64 v[23:24], v[29:30], s[2:3], v[21:22]
	v_cvt_i32_f64_e32 v29, v[29:30]
	v_add_f64 v[21:22], v[35:36], v[23:24]
	v_add_f64 v[31:32], v[21:22], -v[35:36]
	v_add_f64 v[23:24], v[23:24], -v[31:32]
.LBB2_17:
	s_or_b64 exec, exec, s[0:1]
	v_mul_f64 v[30:31], v[17:18], v[17:18]
	s_mov_b32 s12, 0xb42fdfa7
	s_mov_b32 s13, 0xbe5ae600
	;; [unrolled: 1-line block ×3, first 2 shown]
	v_mov_b32_e32 v33, s13
	s_mov_b32 s3, 0x3de5e0b2
	v_mov_b32_e32 v32, s12
	s_mov_b32 s14, 0x9037ab78
	v_fma_f64 v[34:35], v[30:31], s[2:3], v[32:33]
	s_mov_b32 s15, 0x3e21eeb6
	s_mov_b32 s0, 0x796cde01
	;; [unrolled: 1-line block ×3, first 2 shown]
	v_mov_b32_e32 v37, s15
	s_mov_b32 s1, 0x3ec71de3
	s_mov_b32 s13, 0xbda907db
	v_mov_b32_e32 v36, s14
	v_fma_f64 v[38:39], v[30:31], s[12:13], v[36:37]
	v_mul_f64 v[40:41], v[30:31], 0.5
	v_fma_f64 v[34:35], v[30:31], v[34:35], s[0:1]
	s_mov_b32 s14, 0x19e83e5c
	s_mov_b32 s16, 0xa17f65f6
	;; [unrolled: 1-line block ×4, first 2 shown]
	v_mul_f64 v[46:47], v[13:14], v[13:14]
	v_fma_f64 v[38:39], v[30:31], v[38:39], s[16:17]
	v_add_f64 v[44:45], -v[40:41], 1.0
	v_fma_f64 v[34:35], v[30:31], v[34:35], s[14:15]
	s_mov_b32 s18, 0x11110bb3
	s_mov_b32 s20, 0x19f4ec90
	;; [unrolled: 1-line block ×4, first 2 shown]
	v_mul_f64 v[42:43], v[17:18], -v[30:31]
	v_fma_f64 v[38:39], v[30:31], v[38:39], s[20:21]
	v_mul_f64 v[48:49], v[19:20], 0.5
	v_add_f64 v[50:51], -v[44:45], 1.0
	v_fma_f64 v[34:35], v[30:31], v[34:35], s[18:19]
	v_fma_f64 v[52:53], v[46:47], s[2:3], v[32:33]
	s_mov_b32 s24, 0x16c16967
	s_mov_b32 s25, 0xbf56c16c
	v_mul_f64 v[54:55], v[46:47], 0.5
	v_fma_f64 v[38:39], v[30:31], v[38:39], s[24:25]
	s_mov_b32 s22, 0x55555555
	v_add_f64 v[40:41], v[50:51], -v[40:41]
	v_fma_f64 v[34:35], v[42:43], v[34:35], v[48:49]
	v_fma_f64 v[50:51], v[46:47], v[52:53], s[0:1]
	;; [unrolled: 1-line block ×3, first 2 shown]
	s_mov_b32 s23, 0xbfc55555
	s_mov_b32 s27, 0x3fa55555
	;; [unrolled: 1-line block ×3, first 2 shown]
	v_mul_f64 v[48:49], v[30:31], v[30:31]
	v_fma_f64 v[38:39], v[30:31], v[38:39], s[26:27]
	v_fma_f64 v[40:41], v[17:18], -v[19:20], v[40:41]
	v_fma_f64 v[19:20], v[30:31], v[34:35], -v[19:20]
	v_fma_f64 v[30:31], v[46:47], v[50:51], s[14:15]
	v_fma_f64 v[34:35], v[46:47], v[52:53], s[16:17]
	v_add_f64 v[50:51], -v[54:55], 1.0
	s_movk_i32 s5, 0x1f8
	v_mul_f64 v[52:53], v[23:24], 0.5
	v_mov_b32_e32 v56, 0x7ff80000
	v_fma_f64 v[38:39], v[48:49], v[38:39], v[40:41]
	v_fma_f64 v[19:20], v[42:43], s[22:23], v[19:20]
	v_mul_f64 v[40:41], v[15:16], 0.5
	v_mul_f64 v[42:43], v[13:14], -v[46:47]
	v_fma_f64 v[30:31], v[46:47], v[30:31], s[18:19]
	v_fma_f64 v[34:35], v[46:47], v[34:35], s[20:21]
	v_add_f64 v[48:49], -v[50:51], 1.0
	v_add_f64 v[38:39], v[44:45], v[38:39]
	v_add_f64 v[17:18], v[17:18], -v[19:20]
	v_mul_f64 v[19:20], v[9:10], v[9:10]
	v_and_b32_e32 v44, 1, v28
	v_fma_f64 v[30:31], v[42:43], v[30:31], v[40:41]
	v_fma_f64 v[34:35], v[46:47], v[34:35], s[24:25]
	v_add_f64 v[40:41], v[48:49], -v[54:55]
	v_lshlrev_b32_e32 v28, 30, v28
	v_cmp_eq_u32_e32 vcc, 0, v44
	v_cndmask_b32_e32 v44, v38, v17, vcc
	v_xor_b32_e32 v17, v28, v2
	v_cndmask_b32_e32 v45, v39, v18, vcc
	v_and_b32_e32 v28, 0x80000000, v17
	v_fma_f64 v[17:18], v[46:47], v[30:31], -v[15:16]
	v_mul_f64 v[30:31], v[46:47], v[46:47]
	v_fma_f64 v[34:35], v[46:47], v[34:35], s[26:27]
	v_fma_f64 v[38:39], v[19:20], s[2:3], v[32:33]
	v_fma_f64 v[15:16], v[13:14], -v[15:16], v[40:41]
	v_mul_f64 v[40:41], v[21:22], v[21:22]
	v_cmp_class_f64_e64 vcc, v[1:2], s5
	v_xor_b32_e32 v28, v45, v28
	v_fma_f64 v[17:18], v[42:43], s[22:23], v[17:18]
	v_mul_f64 v[46:47], v[11:12], 0.5
	v_mul_f64 v[54:55], v[19:20], v[19:20]
	v_fma_f64 v[38:39], v[19:20], v[38:39], s[0:1]
	v_fma_f64 v[15:16], v[30:31], v[34:35], v[15:16]
	;; [unrolled: 1-line block ×3, first 2 shown]
	v_mul_f64 v[34:35], v[19:20], 0.5
	v_fma_f64 v[32:33], v[40:41], s[2:3], v[32:33]
	v_add_f64 v[13:14], v[13:14], -v[17:18]
	v_mul_f64 v[42:43], v[40:41], 0.5
	v_fma_f64 v[36:37], v[40:41], s[12:13], v[36:37]
	v_fma_f64 v[17:18], v[19:20], v[38:39], s[14:15]
	v_cndmask_b32_e32 v1, 0, v44, vcc
	v_fma_f64 v[30:31], v[19:20], v[30:31], s[16:17]
	v_add_f64 v[38:39], -v[34:35], 1.0
	v_fma_f64 v[32:33], v[40:41], v[32:33], s[0:1]
	v_add_f64 v[15:16], v[50:51], v[15:16]
	v_mul_f64 v[44:45], v[9:10], -v[19:20]
	v_add_f64 v[50:51], -v[42:43], 1.0
	v_fma_f64 v[17:18], v[19:20], v[17:18], s[18:19]
	v_fma_f64 v[36:37], v[40:41], v[36:37], s[16:17]
	;; [unrolled: 1-line block ×3, first 2 shown]
	v_add_f64 v[48:49], -v[38:39], 1.0
	v_fma_f64 v[32:33], v[40:41], v[32:33], s[14:15]
	v_cndmask_b32_e32 v2, v56, v28, vcc
	v_and_b32_e32 v28, 1, v27
	v_cmp_eq_u32_e32 vcc, 0, v28
	v_fma_f64 v[17:18], v[44:45], v[17:18], v[46:47]
	v_add_f64 v[46:47], -v[50:51], 1.0
	v_fma_f64 v[30:31], v[19:20], v[30:31], s[24:25]
	v_add_f64 v[34:35], v[48:49], -v[34:35]
	v_fma_f64 v[36:37], v[40:41], v[36:37], s[20:21]
	v_fma_f64 v[32:33], v[40:41], v[32:33], s[18:19]
	v_mul_f64 v[48:49], v[21:22], -v[40:41]
	v_cndmask_b32_e32 v28, v15, v13, vcc
	v_fma_f64 v[17:18], v[19:20], v[17:18], -v[11:12]
	v_cmp_class_f64_e64 s[0:1], v[7:8], s5
	v_fma_f64 v[19:20], v[19:20], v[30:31], s[26:27]
	v_fma_f64 v[11:12], v[9:10], -v[11:12], v[34:35]
	v_fma_f64 v[30:31], v[40:41], v[36:37], s[24:25]
	v_add_f64 v[34:35], v[46:47], -v[42:43]
	v_fma_f64 v[32:33], v[48:49], v[32:33], v[52:53]
	v_cndmask_b32_e32 v7, v16, v14, vcc
	v_fma_f64 v[13:14], v[44:45], s[22:23], v[17:18]
	v_mul_f64 v[15:16], v[40:41], v[40:41]
	v_lshlrev_b32_e32 v27, 30, v27
	v_fma_f64 v[11:12], v[54:55], v[19:20], v[11:12]
	v_fma_f64 v[17:18], v[40:41], v[30:31], s[26:27]
	v_fma_f64 v[19:20], v[21:22], -v[23:24], v[34:35]
	v_fma_f64 v[23:24], v[40:41], v[32:33], -v[23:24]
	v_xor_b32_e32 v8, v27, v8
	v_add_f64 v[9:10], v[9:10], -v[13:14]
	v_and_b32_e32 v8, 0x80000000, v8
	v_xor_b32_e32 v8, v7, v8
	v_add_f64 v[11:12], v[38:39], v[11:12]
	v_cndmask_b32_e64 v7, 0, v28, s[0:1]
	v_fma_f64 v[13:14], v[15:16], v[17:18], v[19:20]
	v_fma_f64 v[15:16], v[48:49], s[22:23], v[23:24]
	v_and_b32_e32 v17, 1, v26
	v_cmp_eq_u32_e32 vcc, 0, v17
	v_cndmask_b32_e64 v8, v56, v8, s[0:1]
	v_cmp_class_f64_e64 s[0:1], v[5:6], s5
	v_cndmask_b32_e32 v17, v11, v9, vcc
	v_cndmask_b32_e32 v5, v12, v10, vcc
	v_add_f64 v[9:10], v[50:51], v[13:14]
	v_add_f64 v[11:12], v[21:22], -v[15:16]
	v_cmp_class_f64_e64 s[2:3], v[3:4], s5
	v_lshlrev_b32_e32 v13, 30, v26
	v_xor_b32_e32 v6, v13, v6
	v_and_b32_e32 v13, 1, v29
	v_cmp_eq_u32_e32 vcc, 0, v13
	v_and_b32_e32 v6, 0x80000000, v6
	v_xor_b32_e32 v6, v5, v6
	v_cndmask_b32_e32 v3, v10, v12, vcc
	v_lshlrev_b32_e32 v10, 30, v29
	v_xor_b32_e32 v4, v10, v4
	v_cndmask_b32_e64 v5, 0, v17, s[0:1]
	v_cndmask_b32_e64 v6, v56, v6, s[0:1]
	v_and_b32_e32 v4, 0x80000000, v4
	s_add_u32 s0, s8, s6
	v_cndmask_b32_e32 v9, v9, v11, vcc
	v_xor_b32_e32 v4, v3, v4
	s_addc_u32 s1, s9, s7
	v_cndmask_b32_e64 v3, 0, v9, s[2:3]
	v_cndmask_b32_e64 v4, v56, v4, s[2:3]
	global_store_dwordx4 v25, v[5:8], s[0:1]
	global_store_dwordx4 v25, v[1:4], s[0:1] offset:16
	s_mov_b64 s[0:1], 0
.LBB2_18:
	s_and_b64 vcc, exec, s[0:1]
	s_cbranch_vccz .LBB2_51
; %bb.19:
	v_mov_b32_e32 v10, 0
	v_mov_b32_e32 v16, 0
	v_cmp_gt_i32_e32 vcc, s28, v0
	v_mov_b32_e32 v11, 0
	v_or_b32_e32 v1, s4, v0
	v_mov_b32_e32 v17, 0
	v_mov_b32_e32 v6, v0
	s_and_saveexec_b64 s[2:3], vcc
	s_cbranch_execz .LBB2_21
; %bb.20:
	v_mov_b32_e32 v2, 0
	v_lshlrev_b64 v[2:3], 3, v[1:2]
	v_mov_b32_e32 v4, s11
	v_add_co_u32_e64 v2, s[0:1], s10, v2
	v_addc_co_u32_e64 v3, s[0:1], v4, v3, s[0:1]
	global_load_dwordx2 v[16:17], v[2:3], off
	v_or_b32_e32 v6, 0x100, v0
.LBB2_21:
	s_or_b64 exec, exec, s[2:3]
	v_cmp_gt_i32_e64 s[0:1], s28, v6
	s_and_saveexec_b64 s[2:3], s[0:1]
	s_cbranch_execz .LBB2_23
; %bb.22:
	v_add_u32_e32 v2, s4, v6
	v_mov_b32_e32 v3, 0
	v_lshlrev_b64 v[2:3], 3, v[2:3]
	v_mov_b32_e32 v4, s11
	v_add_co_u32_e64 v2, s[0:1], s10, v2
	v_addc_co_u32_e64 v3, s[0:1], v4, v3, s[0:1]
	global_load_dwordx2 v[10:11], v[2:3], off
	v_add_u32_e32 v6, 0x100, v6
.LBB2_23:
	s_or_b64 exec, exec, s[2:3]
	v_mov_b32_e32 v2, 0
	v_mov_b32_e32 v4, 0
	;; [unrolled: 1-line block ×4, first 2 shown]
	v_cmp_gt_i32_e64 s[0:1], s28, v6
	s_and_saveexec_b64 s[2:3], s[0:1]
	s_cbranch_execz .LBB2_25
; %bb.24:
	v_add_u32_e32 v4, s4, v6
	v_mov_b32_e32 v5, 0
	v_lshlrev_b64 v[4:5], 3, v[4:5]
	v_mov_b32_e32 v7, s11
	v_add_co_u32_e64 v4, s[0:1], s10, v4
	v_addc_co_u32_e64 v5, s[0:1], v7, v5, s[0:1]
	global_load_dwordx2 v[4:5], v[4:5], off
	v_add_u32_e32 v6, 0x100, v6
.LBB2_25:
	s_or_b64 exec, exec, s[2:3]
	v_cmp_gt_i32_e64 s[0:1], s28, v6
	s_and_saveexec_b64 s[2:3], s[0:1]
	s_cbranch_execz .LBB2_27
; %bb.26:
	v_add_u32_e32 v2, s4, v6
	v_mov_b32_e32 v3, 0
	v_lshlrev_b64 v[2:3], 3, v[2:3]
	v_mov_b32_e32 v6, s11
	v_add_co_u32_e64 v2, s[0:1], s10, v2
	v_addc_co_u32_e64 v3, s[0:1], v6, v3, s[0:1]
	global_load_dwordx2 v[2:3], v[2:3], off
.LBB2_27:
	s_or_b64 exec, exec, s[2:3]
	v_mov_b32_e32 v6, 0
	v_mov_b32_e32 v7, v6
	;; [unrolled: 1-line block ×8, first 2 shown]
	s_and_saveexec_b64 s[6:7], vcc
	s_cbranch_execz .LBB2_33
; %bb.28:
	s_mov_b32 s0, 0
	s_mov_b32 s1, 0x41d00000
	s_waitcnt vmcnt(0)
	v_cmp_nlt_f64_e64 s[0:1], |v[16:17]|, s[0:1]
                                        ; implicit-def: $vgpr12
                                        ; implicit-def: $vgpr6_vgpr7
                                        ; implicit-def: $vgpr8_vgpr9
	s_and_saveexec_b64 s[2:3], s[0:1]
	s_xor_b64 s[10:11], exec, s[2:3]
	s_cbranch_execz .LBB2_30
; %bb.29:
	v_trig_preop_f64 v[6:7], |v[16:17]|, 0
	s_mov_b32 s0, 0
	s_mov_b32 s1, 0x7b000000
	s_movk_i32 s2, 0xff80
	v_ldexp_f64 v[12:13], |v[16:17]|, s2
	v_cmp_ge_f64_e64 s[0:1], |v[16:17]|, s[0:1]
	v_trig_preop_f64 v[8:9], |v[16:17]|, 1
	v_and_b32_e32 v14, 0x7fffffff, v17
	v_trig_preop_f64 v[22:23], |v[16:17]|, 2
	v_mov_b32_e32 v33, 0x40100000
	v_mov_b32_e32 v32, 0
	v_cndmask_b32_e64 v13, v14, v13, s[0:1]
	v_cndmask_b32_e64 v12, v16, v12, s[0:1]
	s_mov_b32 s0, 0
	v_mul_f64 v[14:15], v[6:7], v[12:13]
	s_mov_b32 s1, 0x7ff00000
	v_mul_f64 v[18:19], v[8:9], v[12:13]
	v_mul_f64 v[28:29], v[22:23], v[12:13]
	v_fma_f64 v[6:7], v[6:7], v[12:13], -v[14:15]
	v_fma_f64 v[8:9], v[8:9], v[12:13], -v[18:19]
	;; [unrolled: 1-line block ×3, first 2 shown]
	v_add_f64 v[20:21], v[18:19], v[6:7]
	v_add_f64 v[24:25], v[20:21], -v[18:19]
	v_add_f64 v[30:31], v[14:15], v[20:21]
	v_add_f64 v[26:27], v[20:21], -v[24:25]
	v_add_f64 v[6:7], v[6:7], -v[24:25]
	v_add_f64 v[24:25], v[28:29], v[8:9]
	v_add_f64 v[14:15], v[30:31], -v[14:15]
	v_add_f64 v[18:19], v[18:19], -v[26:27]
	v_ldexp_f64 v[26:27], v[30:31], -2
	v_add_f64 v[34:35], v[24:25], -v[28:29]
	v_add_f64 v[14:15], v[20:21], -v[14:15]
	v_add_f64 v[6:7], v[6:7], v[18:19]
	v_fract_f64_e32 v[18:19], v[26:27]
	v_cmp_neq_f64_e64 s[0:1], |v[26:27]|, s[0:1]
	v_add_f64 v[8:9], v[8:9], -v[34:35]
	v_add_f64 v[20:21], v[24:25], v[6:7]
	v_ldexp_f64 v[18:19], v[18:19], 2
	v_add_f64 v[26:27], v[14:15], v[20:21]
	v_cndmask_b32_e64 v19, 0, v19, s[0:1]
	v_cndmask_b32_e64 v18, 0, v18, s[0:1]
	v_add_f64 v[36:37], v[20:21], -v[24:25]
	v_add_f64 v[30:31], v[26:27], v[18:19]
	v_add_f64 v[14:15], v[26:27], -v[14:15]
	v_add_f64 v[38:39], v[20:21], -v[36:37]
	;; [unrolled: 1-line block ×3, first 2 shown]
	v_cmp_gt_f64_e64 s[0:1], 0, v[30:31]
	v_add_f64 v[30:31], v[24:25], -v[34:35]
	v_add_f64 v[14:15], v[20:21], -v[14:15]
	;; [unrolled: 1-line block ×3, first 2 shown]
	v_cndmask_b32_e64 v33, 0, v33, s[0:1]
	v_add_f64 v[18:19], v[18:19], v[32:33]
	v_add_f64 v[30:31], v[28:29], -v[30:31]
	v_add_f64 v[6:7], v[6:7], v[24:25]
	v_add_f64 v[40:41], v[26:27], v[18:19]
	;; [unrolled: 1-line block ×3, first 2 shown]
	v_cvt_i32_f64_e32 v35, v[40:41]
	v_add_f64 v[6:7], v[8:9], v[6:7]
	v_cvt_f64_i32_e32 v[33:34], v35
	v_add_f64 v[18:19], v[18:19], -v[33:34]
	v_add_f64 v[6:7], v[12:13], v[6:7]
	v_add_f64 v[8:9], v[26:27], v[18:19]
	;; [unrolled: 1-line block ×3, first 2 shown]
	v_mov_b32_e32 v15, 0x3ff00000
	v_add_f64 v[12:13], v[8:9], -v[18:19]
	v_cmp_le_f64_e64 s[0:1], 0.5, v[8:9]
	v_add_f64 v[13:14], v[26:27], -v[12:13]
	v_cndmask_b32_e64 v33, 0, v15, s[0:1]
	v_add_f64 v[8:9], v[8:9], -v[32:33]
	v_addc_co_u32_e64 v12, s[2:3], 0, v35, s[0:1]
	s_mov_b32 s0, 0x54442d18
	s_mov_b32 s1, 0x3ff921fb
	;; [unrolled: 1-line block ×3, first 2 shown]
	v_add_f64 v[6:7], v[6:7], v[13:14]
	s_mov_b32 s3, 0x3c91a626
	v_add_f64 v[13:14], v[8:9], v[6:7]
	v_mul_f64 v[18:19], v[13:14], s[0:1]
	v_add_f64 v[8:9], v[13:14], -v[8:9]
	v_fma_f64 v[20:21], v[13:14], s[0:1], -v[18:19]
	v_add_f64 v[6:7], v[6:7], -v[8:9]
	v_fma_f64 v[8:9], v[13:14], s[2:3], v[20:21]
	v_fma_f64 v[8:9], v[6:7], s[0:1], v[8:9]
	v_add_f64 v[6:7], v[18:19], v[8:9]
	v_add_f64 v[13:14], v[6:7], -v[18:19]
	v_add_f64 v[8:9], v[8:9], -v[13:14]
.LBB2_30:
	s_andn2_saveexec_b64 s[0:1], s[10:11]
	s_cbranch_execz .LBB2_32
; %bb.31:
	s_mov_b32 s2, 0x6dc9c883
	s_mov_b32 s3, 0x3fe45f30
	v_mul_f64 v[6:7], |v[16:17]|, s[2:3]
	s_mov_b32 s2, 0x54442d18
	s_mov_b32 s3, 0xbff921fb
	;; [unrolled: 1-line block ×4, first 2 shown]
	v_rndne_f64_e32 v[12:13], v[6:7]
	v_fma_f64 v[6:7], v[12:13], s[2:3], |v[16:17]|
	v_mul_f64 v[8:9], v[12:13], s[10:11]
	s_mov_b32 s2, 0x252049c0
	s_mov_b32 s3, 0xb97b839a
	v_fma_f64 v[20:21], v[12:13], s[10:11], v[6:7]
	v_add_f64 v[14:15], v[6:7], v[8:9]
	s_mov_b32 s11, 0x3c91a626
	v_add_f64 v[18:19], v[6:7], -v[14:15]
	v_add_f64 v[14:15], v[14:15], -v[20:21]
	v_add_f64 v[6:7], v[18:19], v[8:9]
	v_fma_f64 v[8:9], v[12:13], s[10:11], v[8:9]
	v_add_f64 v[6:7], v[14:15], v[6:7]
	v_add_f64 v[6:7], v[6:7], -v[8:9]
	v_fma_f64 v[8:9], v[12:13], s[2:3], v[6:7]
	v_cvt_i32_f64_e32 v12, v[12:13]
	v_add_f64 v[6:7], v[20:21], v[8:9]
	v_add_f64 v[14:15], v[6:7], -v[20:21]
	v_add_f64 v[8:9], v[8:9], -v[14:15]
.LBB2_32:
	s_or_b64 exec, exec, s[0:1]
	v_mul_f64 v[13:14], v[6:7], v[6:7]
	s_mov_b32 s0, 0xf9a43bb8
	v_mov_b32_e32 v19, 0xb42fdfa7
	v_mov_b32_e32 v20, 0xbe5ae600
	s_mov_b32 s1, 0x3de5e0b2
	s_mov_b32 s2, 0x796cde01
	v_mov_b32_e32 v18, 0x9037ab78
	s_mov_b32 s3, 0x3ec71de3
	v_fma_f64 v[20:21], v[13:14], s[0:1], v[19:20]
	s_mov_b32 s0, 0x46cc5e42
	v_mov_b32_e32 v19, 0x3e21eeb6
	s_mov_b32 s1, 0xbda907db
	v_fma_f64 v[18:19], v[13:14], s[0:1], v[18:19]
	v_mul_f64 v[22:23], v[13:14], 0.5
	s_mov_b32 s0, 0xa17f65f6
	s_mov_b32 s10, 0x19e83e5c
	v_fma_f64 v[20:21], v[13:14], v[20:21], s[2:3]
	s_mov_b32 s1, 0xbe927e4f
	s_mov_b32 s11, 0xbf2a01a0
	;; [unrolled: 1-line block ×3, first 2 shown]
	v_fma_f64 v[18:19], v[13:14], v[18:19], s[0:1]
	v_add_f64 v[24:25], -v[22:23], 1.0
	s_mov_b32 s0, 0x11110bb3
	s_mov_b32 s3, 0x3efa01a0
	v_fma_f64 v[20:21], v[13:14], v[20:21], s[10:11]
	s_mov_b32 s1, 0x3f811111
	v_mul_f64 v[26:27], v[8:9], 0.5
	v_mul_f64 v[28:29], v[6:7], -v[13:14]
	v_fma_f64 v[18:19], v[13:14], v[18:19], s[2:3]
	v_add_f64 v[30:31], -v[24:25], 1.0
	s_movk_i32 s2, 0x1f8
	v_cmp_class_f64_e64 s[2:3], v[16:17], s2
	v_fma_f64 v[20:21], v[13:14], v[20:21], s[0:1]
	s_mov_b32 s0, 0x16c16967
	s_mov_b32 s1, 0xbf56c16c
	v_fma_f64 v[18:19], v[13:14], v[18:19], s[0:1]
	v_add_f64 v[22:23], v[30:31], -v[22:23]
	s_mov_b32 s1, 0x3fa55555
	s_mov_b32 s0, 0x55555555
	v_fma_f64 v[20:21], v[28:29], v[20:21], v[26:27]
	v_mul_f64 v[26:27], v[13:14], v[13:14]
	v_fma_f64 v[18:19], v[13:14], v[18:19], s[0:1]
	v_fma_f64 v[22:23], v[6:7], -v[8:9], v[22:23]
	s_mov_b32 s1, 0xbfc55555
	v_fma_f64 v[8:9], v[13:14], v[20:21], -v[8:9]
	v_and_b32_e32 v20, 1, v12
	v_fma_f64 v[13:14], v[26:27], v[18:19], v[22:23]
	v_fma_f64 v[8:9], v[28:29], s[0:1], v[8:9]
	v_cmp_eq_u32_e64 s[0:1], 0, v20
	v_add_f64 v[18:19], v[24:25], v[13:14]
	v_mov_b32_e32 v14, 0
	v_mov_b32_e32 v15, v14
	v_add_f64 v[6:7], v[6:7], -v[8:9]
	v_lshlrev_b32_e32 v8, 30, v12
	v_xor_b32_e32 v21, v8, v17
	v_and_b32_e32 v16, 0x80000000, v21
	v_mov_b32_e32 v9, 0x7ff80000
	v_mov_b32_e32 v12, v14
	;; [unrolled: 1-line block ×4, first 2 shown]
	v_cndmask_b32_e64 v7, v19, v7, s[0:1]
	v_cndmask_b32_e64 v6, v18, v6, s[0:1]
	v_xor_b32_e32 v7, v7, v16
	v_cndmask_b32_e64 v6, 0, v6, s[2:3]
	v_cndmask_b32_e64 v7, v9, v7, s[2:3]
	v_mov_b32_e32 v9, v14
.LBB2_33:
	s_or_b64 exec, exec, s[6:7]
	v_or_b32_e32 v18, 0x100, v0
	v_cmp_gt_i32_e64 s[0:1], s28, v18
	s_and_saveexec_b64 s[6:7], s[0:1]
	s_cbranch_execz .LBB2_39
; %bb.34:
	s_mov_b32 s0, 0
	s_mov_b32 s1, 0x41d00000
	s_waitcnt vmcnt(0)
	v_cmp_nlt_f64_e64 s[0:1], |v[10:11]|, s[0:1]
                                        ; implicit-def: $vgpr19
                                        ; implicit-def: $vgpr14_vgpr15
                                        ; implicit-def: $vgpr16_vgpr17
	s_and_saveexec_b64 s[2:3], s[0:1]
	s_xor_b64 s[10:11], exec, s[2:3]
	s_cbranch_execz .LBB2_36
; %bb.35:
	v_trig_preop_f64 v[14:15], |v[10:11]|, 0
	s_mov_b32 s0, 0
	s_mov_b32 s1, 0x7b000000
	s_movk_i32 s2, 0xff80
	v_ldexp_f64 v[19:20], |v[10:11]|, s2
	v_cmp_ge_f64_e64 s[0:1], |v[10:11]|, s[0:1]
	v_trig_preop_f64 v[16:17], |v[10:11]|, 1
	v_and_b32_e32 v21, 0x7fffffff, v11
	v_trig_preop_f64 v[27:28], |v[10:11]|, 2
	v_mov_b32_e32 v38, 0x40100000
	v_mov_b32_e32 v37, 0
	v_cndmask_b32_e64 v20, v21, v20, s[0:1]
	v_cndmask_b32_e64 v19, v10, v19, s[0:1]
	s_mov_b32 s0, 0
	v_mul_f64 v[21:22], v[14:15], v[19:20]
	s_mov_b32 s1, 0x7ff00000
	v_mul_f64 v[23:24], v[16:17], v[19:20]
	v_mul_f64 v[33:34], v[27:28], v[19:20]
	v_fma_f64 v[14:15], v[14:15], v[19:20], -v[21:22]
	v_fma_f64 v[16:17], v[16:17], v[19:20], -v[23:24]
	;; [unrolled: 1-line block ×3, first 2 shown]
	v_add_f64 v[25:26], v[23:24], v[14:15]
	v_add_f64 v[29:30], v[25:26], -v[23:24]
	v_add_f64 v[35:36], v[21:22], v[25:26]
	v_add_f64 v[31:32], v[25:26], -v[29:30]
	v_add_f64 v[14:15], v[14:15], -v[29:30]
	v_add_f64 v[29:30], v[33:34], v[16:17]
	v_add_f64 v[21:22], v[35:36], -v[21:22]
	v_add_f64 v[23:24], v[23:24], -v[31:32]
	v_ldexp_f64 v[31:32], v[35:36], -2
	v_add_f64 v[39:40], v[29:30], -v[33:34]
	v_add_f64 v[21:22], v[25:26], -v[21:22]
	v_add_f64 v[14:15], v[14:15], v[23:24]
	v_fract_f64_e32 v[23:24], v[31:32]
	v_cmp_neq_f64_e64 s[0:1], |v[31:32]|, s[0:1]
	v_add_f64 v[16:17], v[16:17], -v[39:40]
	v_add_f64 v[25:26], v[29:30], v[14:15]
	v_ldexp_f64 v[23:24], v[23:24], 2
	v_add_f64 v[31:32], v[21:22], v[25:26]
	v_cndmask_b32_e64 v24, 0, v24, s[0:1]
	v_cndmask_b32_e64 v23, 0, v23, s[0:1]
	v_add_f64 v[41:42], v[25:26], -v[29:30]
	v_add_f64 v[35:36], v[31:32], v[23:24]
	v_add_f64 v[21:22], v[31:32], -v[21:22]
	v_add_f64 v[43:44], v[25:26], -v[41:42]
	;; [unrolled: 1-line block ×3, first 2 shown]
	v_cmp_gt_f64_e64 s[0:1], 0, v[35:36]
	v_add_f64 v[35:36], v[29:30], -v[39:40]
	v_add_f64 v[21:22], v[25:26], -v[21:22]
	;; [unrolled: 1-line block ×3, first 2 shown]
	v_cndmask_b32_e64 v38, 0, v38, s[0:1]
	v_add_f64 v[23:24], v[23:24], v[37:38]
	v_add_f64 v[35:36], v[33:34], -v[35:36]
	v_add_f64 v[14:15], v[14:15], v[29:30]
	v_add_f64 v[45:46], v[31:32], v[23:24]
	;; [unrolled: 1-line block ×3, first 2 shown]
	v_cvt_i32_f64_e32 v40, v[45:46]
	v_add_f64 v[14:15], v[16:17], v[14:15]
	v_cvt_f64_i32_e32 v[38:39], v40
	v_add_f64 v[23:24], v[23:24], -v[38:39]
	v_add_f64 v[14:15], v[19:20], v[14:15]
	v_add_f64 v[16:17], v[31:32], v[23:24]
	;; [unrolled: 1-line block ×3, first 2 shown]
	v_mov_b32_e32 v22, 0x3ff00000
	v_add_f64 v[19:20], v[16:17], -v[23:24]
	v_cmp_le_f64_e64 s[0:1], 0.5, v[16:17]
	v_add_f64 v[20:21], v[31:32], -v[19:20]
	v_cndmask_b32_e64 v38, 0, v22, s[0:1]
	v_add_f64 v[16:17], v[16:17], -v[37:38]
	v_addc_co_u32_e64 v19, s[2:3], 0, v40, s[0:1]
	s_mov_b32 s0, 0x54442d18
	s_mov_b32 s1, 0x3ff921fb
	;; [unrolled: 1-line block ×3, first 2 shown]
	v_add_f64 v[14:15], v[14:15], v[20:21]
	s_mov_b32 s3, 0x3c91a626
	v_add_f64 v[20:21], v[16:17], v[14:15]
	v_mul_f64 v[22:23], v[20:21], s[0:1]
	v_add_f64 v[16:17], v[20:21], -v[16:17]
	v_fma_f64 v[24:25], v[20:21], s[0:1], -v[22:23]
	v_add_f64 v[14:15], v[14:15], -v[16:17]
	v_fma_f64 v[16:17], v[20:21], s[2:3], v[24:25]
	v_fma_f64 v[16:17], v[14:15], s[0:1], v[16:17]
	v_add_f64 v[14:15], v[22:23], v[16:17]
	v_add_f64 v[20:21], v[14:15], -v[22:23]
	v_add_f64 v[16:17], v[16:17], -v[20:21]
.LBB2_36:
	s_andn2_saveexec_b64 s[0:1], s[10:11]
	s_cbranch_execz .LBB2_38
; %bb.37:
	s_mov_b32 s2, 0x6dc9c883
	s_mov_b32 s3, 0x3fe45f30
	v_mul_f64 v[14:15], |v[10:11]|, s[2:3]
	s_mov_b32 s2, 0x54442d18
	s_mov_b32 s3, 0xbff921fb
	;; [unrolled: 1-line block ×4, first 2 shown]
	v_rndne_f64_e32 v[19:20], v[14:15]
	v_fma_f64 v[14:15], v[19:20], s[2:3], |v[10:11]|
	v_mul_f64 v[16:17], v[19:20], s[10:11]
	s_mov_b32 s2, 0x252049c0
	s_mov_b32 s3, 0xb97b839a
	v_fma_f64 v[25:26], v[19:20], s[10:11], v[14:15]
	v_add_f64 v[21:22], v[14:15], v[16:17]
	s_mov_b32 s11, 0x3c91a626
	v_add_f64 v[23:24], v[14:15], -v[21:22]
	v_add_f64 v[21:22], v[21:22], -v[25:26]
	v_add_f64 v[14:15], v[23:24], v[16:17]
	v_fma_f64 v[16:17], v[19:20], s[10:11], v[16:17]
	v_add_f64 v[14:15], v[21:22], v[14:15]
	v_add_f64 v[14:15], v[14:15], -v[16:17]
	v_fma_f64 v[16:17], v[19:20], s[2:3], v[14:15]
	v_cvt_i32_f64_e32 v19, v[19:20]
	v_add_f64 v[14:15], v[25:26], v[16:17]
	v_add_f64 v[21:22], v[14:15], -v[25:26]
	v_add_f64 v[16:17], v[16:17], -v[21:22]
.LBB2_38:
	s_or_b64 exec, exec, s[0:1]
	v_mul_f64 v[20:21], v[14:15], v[14:15]
	s_mov_b32 s0, 0xf9a43bb8
	v_mov_b32_e32 v23, 0xb42fdfa7
	v_mov_b32_e32 v24, 0xbe5ae600
	s_mov_b32 s1, 0x3de5e0b2
	s_mov_b32 s2, 0x796cde01
	v_mov_b32_e32 v22, 0x9037ab78
	s_mov_b32 s3, 0x3ec71de3
	v_fma_f64 v[24:25], v[20:21], s[0:1], v[23:24]
	s_mov_b32 s0, 0x46cc5e42
	v_mov_b32_e32 v23, 0x3e21eeb6
	s_mov_b32 s1, 0xbda907db
	v_fma_f64 v[22:23], v[20:21], s[0:1], v[22:23]
	v_mul_f64 v[26:27], v[20:21], 0.5
	s_mov_b32 s0, 0xa17f65f6
	s_mov_b32 s10, 0x19e83e5c
	v_fma_f64 v[24:25], v[20:21], v[24:25], s[2:3]
	s_mov_b32 s1, 0xbe927e4f
	s_mov_b32 s11, 0xbf2a01a0
	;; [unrolled: 1-line block ×3, first 2 shown]
	v_fma_f64 v[22:23], v[20:21], v[22:23], s[0:1]
	v_add_f64 v[28:29], -v[26:27], 1.0
	s_mov_b32 s0, 0x11110bb3
	s_mov_b32 s3, 0x3efa01a0
	v_fma_f64 v[24:25], v[20:21], v[24:25], s[10:11]
	s_mov_b32 s1, 0x3f811111
	v_mul_f64 v[30:31], v[16:17], 0.5
	v_mul_f64 v[32:33], v[14:15], -v[20:21]
	v_fma_f64 v[22:23], v[20:21], v[22:23], s[2:3]
	v_add_f64 v[34:35], -v[28:29], 1.0
	s_movk_i32 s2, 0x1f8
	v_fma_f64 v[24:25], v[20:21], v[24:25], s[0:1]
	s_mov_b32 s0, 0x16c16967
	s_mov_b32 s1, 0xbf56c16c
	v_fma_f64 v[22:23], v[20:21], v[22:23], s[0:1]
	v_add_f64 v[26:27], v[34:35], -v[26:27]
	s_mov_b32 s1, 0x3fa55555
	s_mov_b32 s0, 0x55555555
	v_fma_f64 v[24:25], v[32:33], v[24:25], v[30:31]
	v_mul_f64 v[30:31], v[20:21], v[20:21]
	v_fma_f64 v[22:23], v[20:21], v[22:23], s[0:1]
	v_fma_f64 v[26:27], v[14:15], -v[16:17], v[26:27]
	s_mov_b32 s1, 0xbfc55555
	v_fma_f64 v[16:17], v[20:21], v[24:25], -v[16:17]
	v_fma_f64 v[20:21], v[30:31], v[22:23], v[26:27]
	v_fma_f64 v[16:17], v[32:33], s[0:1], v[16:17]
	v_add_f64 v[20:21], v[28:29], v[20:21]
	v_add_f64 v[14:15], v[14:15], -v[16:17]
	v_and_b32_e32 v16, 1, v19
	v_cmp_eq_u32_e64 s[0:1], 0, v16
	v_lshlrev_b32_e32 v17, 30, v19
	v_xor_b32_e32 v17, v17, v11
	v_and_b32_e32 v17, 0x80000000, v17
	v_mov_b32_e32 v19, 0x7ff80000
	v_cndmask_b32_e64 v14, v20, v14, s[0:1]
	v_cndmask_b32_e64 v15, v21, v15, s[0:1]
	v_cmp_class_f64_e64 s[0:1], v[10:11], s2
	v_xor_b32_e32 v15, v15, v17
	v_cndmask_b32_e64 v15, v19, v15, s[0:1]
	v_cndmask_b32_e64 v14, 0, v14, s[0:1]
.LBB2_39:
	s_or_b64 exec, exec, s[6:7]
	s_waitcnt vmcnt(0)
	v_or_b32_e32 v10, 0x200, v0
	v_cmp_gt_i32_e64 s[0:1], s28, v10
	s_and_saveexec_b64 s[6:7], s[0:1]
	s_cbranch_execz .LBB2_45
; %bb.40:
	s_mov_b32 s0, 0
	s_mov_b32 s1, 0x41d00000
	v_cmp_nlt_f64_e64 s[0:1], |v[4:5]|, s[0:1]
                                        ; implicit-def: $vgpr16
                                        ; implicit-def: $vgpr10_vgpr11
                                        ; implicit-def: $vgpr12_vgpr13
	s_and_saveexec_b64 s[2:3], s[0:1]
	s_xor_b64 s[10:11], exec, s[2:3]
	s_cbranch_execz .LBB2_42
; %bb.41:
	v_trig_preop_f64 v[10:11], |v[4:5]|, 0
	s_mov_b32 s0, 0
	s_mov_b32 s1, 0x7b000000
	s_movk_i32 s2, 0xff80
	v_ldexp_f64 v[16:17], |v[4:5]|, s2
	v_cmp_ge_f64_e64 s[0:1], |v[4:5]|, s[0:1]
	v_trig_preop_f64 v[12:13], |v[4:5]|, 1
	v_and_b32_e32 v19, 0x7fffffff, v5
	v_trig_preop_f64 v[25:26], |v[4:5]|, 2
	v_mov_b32_e32 v36, 0x40100000
	v_mov_b32_e32 v35, 0
	v_cndmask_b32_e64 v17, v19, v17, s[0:1]
	v_cndmask_b32_e64 v16, v4, v16, s[0:1]
	s_mov_b32 s0, 0
	v_mul_f64 v[19:20], v[10:11], v[16:17]
	s_mov_b32 s1, 0x7ff00000
	v_mul_f64 v[21:22], v[12:13], v[16:17]
	v_mul_f64 v[31:32], v[25:26], v[16:17]
	v_fma_f64 v[10:11], v[10:11], v[16:17], -v[19:20]
	v_fma_f64 v[12:13], v[12:13], v[16:17], -v[21:22]
	;; [unrolled: 1-line block ×3, first 2 shown]
	v_add_f64 v[23:24], v[21:22], v[10:11]
	v_add_f64 v[27:28], v[23:24], -v[21:22]
	v_add_f64 v[33:34], v[19:20], v[23:24]
	v_add_f64 v[29:30], v[23:24], -v[27:28]
	v_add_f64 v[10:11], v[10:11], -v[27:28]
	v_add_f64 v[27:28], v[31:32], v[12:13]
	v_add_f64 v[19:20], v[33:34], -v[19:20]
	v_add_f64 v[21:22], v[21:22], -v[29:30]
	v_ldexp_f64 v[29:30], v[33:34], -2
	v_add_f64 v[37:38], v[27:28], -v[31:32]
	v_add_f64 v[19:20], v[23:24], -v[19:20]
	v_add_f64 v[10:11], v[10:11], v[21:22]
	v_fract_f64_e32 v[21:22], v[29:30]
	v_cmp_neq_f64_e64 s[0:1], |v[29:30]|, s[0:1]
	v_add_f64 v[12:13], v[12:13], -v[37:38]
	v_add_f64 v[23:24], v[27:28], v[10:11]
	v_ldexp_f64 v[21:22], v[21:22], 2
	v_add_f64 v[29:30], v[19:20], v[23:24]
	v_cndmask_b32_e64 v22, 0, v22, s[0:1]
	v_cndmask_b32_e64 v21, 0, v21, s[0:1]
	v_add_f64 v[39:40], v[23:24], -v[27:28]
	v_add_f64 v[33:34], v[29:30], v[21:22]
	v_add_f64 v[19:20], v[29:30], -v[19:20]
	v_add_f64 v[41:42], v[23:24], -v[39:40]
	;; [unrolled: 1-line block ×3, first 2 shown]
	v_cmp_gt_f64_e64 s[0:1], 0, v[33:34]
	v_add_f64 v[33:34], v[27:28], -v[37:38]
	v_add_f64 v[19:20], v[23:24], -v[19:20]
	;; [unrolled: 1-line block ×3, first 2 shown]
	v_cndmask_b32_e64 v36, 0, v36, s[0:1]
	v_add_f64 v[21:22], v[21:22], v[35:36]
	v_add_f64 v[33:34], v[31:32], -v[33:34]
	v_add_f64 v[10:11], v[10:11], v[27:28]
	v_add_f64 v[43:44], v[29:30], v[21:22]
	;; [unrolled: 1-line block ×3, first 2 shown]
	v_cvt_i32_f64_e32 v38, v[43:44]
	v_add_f64 v[10:11], v[12:13], v[10:11]
	v_cvt_f64_i32_e32 v[36:37], v38
	v_add_f64 v[21:22], v[21:22], -v[36:37]
	v_add_f64 v[10:11], v[16:17], v[10:11]
	v_add_f64 v[12:13], v[29:30], v[21:22]
	;; [unrolled: 1-line block ×3, first 2 shown]
	v_add_f64 v[16:17], v[12:13], -v[21:22]
	v_cmp_le_f64_e64 s[0:1], 0.5, v[12:13]
	v_add_f64 v[19:20], v[29:30], -v[16:17]
	v_mov_b32_e32 v17, 0x3ff00000
	v_cndmask_b32_e64 v36, 0, v17, s[0:1]
	v_add_f64 v[12:13], v[12:13], -v[35:36]
	v_addc_co_u32_e64 v16, s[2:3], 0, v38, s[0:1]
	s_mov_b32 s0, 0x54442d18
	s_mov_b32 s1, 0x3ff921fb
	v_add_f64 v[10:11], v[10:11], v[19:20]
	s_mov_b32 s2, 0x33145c07
	s_mov_b32 s3, 0x3c91a626
	v_add_f64 v[19:20], v[12:13], v[10:11]
	v_mul_f64 v[21:22], v[19:20], s[0:1]
	v_add_f64 v[12:13], v[19:20], -v[12:13]
	v_fma_f64 v[23:24], v[19:20], s[0:1], -v[21:22]
	v_add_f64 v[10:11], v[10:11], -v[12:13]
	v_fma_f64 v[12:13], v[19:20], s[2:3], v[23:24]
	v_fma_f64 v[12:13], v[10:11], s[0:1], v[12:13]
	v_add_f64 v[10:11], v[21:22], v[12:13]
	v_add_f64 v[19:20], v[10:11], -v[21:22]
	v_add_f64 v[12:13], v[12:13], -v[19:20]
.LBB2_42:
	s_andn2_saveexec_b64 s[0:1], s[10:11]
	s_cbranch_execz .LBB2_44
; %bb.43:
	s_mov_b32 s2, 0x6dc9c883
	s_mov_b32 s3, 0x3fe45f30
	v_mul_f64 v[10:11], |v[4:5]|, s[2:3]
	s_mov_b32 s2, 0x54442d18
	s_mov_b32 s3, 0xbff921fb
	;; [unrolled: 1-line block ×4, first 2 shown]
	v_rndne_f64_e32 v[16:17], v[10:11]
	v_fma_f64 v[10:11], v[16:17], s[2:3], |v[4:5]|
	v_mul_f64 v[12:13], v[16:17], s[10:11]
	s_mov_b32 s2, 0x252049c0
	s_mov_b32 s3, 0xb97b839a
	v_fma_f64 v[23:24], v[16:17], s[10:11], v[10:11]
	v_add_f64 v[19:20], v[10:11], v[12:13]
	s_mov_b32 s11, 0x3c91a626
	v_add_f64 v[21:22], v[10:11], -v[19:20]
	v_add_f64 v[19:20], v[19:20], -v[23:24]
	v_add_f64 v[10:11], v[21:22], v[12:13]
	v_fma_f64 v[12:13], v[16:17], s[10:11], v[12:13]
	v_add_f64 v[10:11], v[19:20], v[10:11]
	v_add_f64 v[10:11], v[10:11], -v[12:13]
	v_fma_f64 v[12:13], v[16:17], s[2:3], v[10:11]
	v_cvt_i32_f64_e32 v16, v[16:17]
	v_add_f64 v[10:11], v[23:24], v[12:13]
	v_add_f64 v[19:20], v[10:11], -v[23:24]
	v_add_f64 v[12:13], v[12:13], -v[19:20]
.LBB2_44:
	s_or_b64 exec, exec, s[0:1]
	v_mul_f64 v[19:20], v[10:11], v[10:11]
	s_mov_b32 s0, 0xf9a43bb8
	v_mov_b32_e32 v22, 0xb42fdfa7
	v_mov_b32_e32 v23, 0xbe5ae600
	s_mov_b32 s1, 0x3de5e0b2
	s_mov_b32 s2, 0x796cde01
	v_mov_b32_e32 v21, 0x9037ab78
	s_mov_b32 s3, 0x3ec71de3
	v_fma_f64 v[23:24], v[19:20], s[0:1], v[22:23]
	s_mov_b32 s0, 0x46cc5e42
	v_mov_b32_e32 v22, 0x3e21eeb6
	s_mov_b32 s1, 0xbda907db
	v_fma_f64 v[21:22], v[19:20], s[0:1], v[21:22]
	v_mul_f64 v[25:26], v[19:20], 0.5
	s_mov_b32 s0, 0xa17f65f6
	s_mov_b32 s10, 0x19e83e5c
	v_fma_f64 v[23:24], v[19:20], v[23:24], s[2:3]
	s_mov_b32 s1, 0xbe927e4f
	s_mov_b32 s11, 0xbf2a01a0
	;; [unrolled: 1-line block ×3, first 2 shown]
	v_fma_f64 v[21:22], v[19:20], v[21:22], s[0:1]
	v_add_f64 v[27:28], -v[25:26], 1.0
	s_mov_b32 s0, 0x11110bb3
	s_mov_b32 s3, 0x3efa01a0
	v_fma_f64 v[23:24], v[19:20], v[23:24], s[10:11]
	s_mov_b32 s1, 0x3f811111
	v_mul_f64 v[29:30], v[12:13], 0.5
	v_mul_f64 v[31:32], v[10:11], -v[19:20]
	v_fma_f64 v[21:22], v[19:20], v[21:22], s[2:3]
	v_add_f64 v[33:34], -v[27:28], 1.0
	s_movk_i32 s2, 0x1f8
	v_fma_f64 v[23:24], v[19:20], v[23:24], s[0:1]
	s_mov_b32 s0, 0x16c16967
	s_mov_b32 s1, 0xbf56c16c
	v_fma_f64 v[21:22], v[19:20], v[21:22], s[0:1]
	v_add_f64 v[25:26], v[33:34], -v[25:26]
	s_mov_b32 s1, 0x3fa55555
	s_mov_b32 s0, 0x55555555
	v_fma_f64 v[23:24], v[31:32], v[23:24], v[29:30]
	v_mul_f64 v[29:30], v[19:20], v[19:20]
	v_fma_f64 v[21:22], v[19:20], v[21:22], s[0:1]
	v_fma_f64 v[25:26], v[10:11], -v[12:13], v[25:26]
	s_mov_b32 s1, 0xbfc55555
	v_fma_f64 v[12:13], v[19:20], v[23:24], -v[12:13]
	v_fma_f64 v[19:20], v[29:30], v[21:22], v[25:26]
	v_fma_f64 v[12:13], v[31:32], s[0:1], v[12:13]
	v_add_f64 v[19:20], v[27:28], v[19:20]
	v_add_f64 v[10:11], v[10:11], -v[12:13]
	v_and_b32_e32 v12, 1, v16
	v_cmp_eq_u32_e64 s[0:1], 0, v12
	v_lshlrev_b32_e32 v13, 30, v16
	v_xor_b32_e32 v13, v13, v5
	v_and_b32_e32 v13, 0x80000000, v13
	v_mov_b32_e32 v16, 0x7ff80000
	v_cndmask_b32_e64 v10, v19, v10, s[0:1]
	v_cndmask_b32_e64 v11, v20, v11, s[0:1]
	v_cmp_class_f64_e64 s[0:1], v[4:5], s2
	v_xor_b32_e32 v11, v11, v13
	v_cndmask_b32_e64 v13, v16, v11, s[0:1]
	v_cndmask_b32_e64 v12, 0, v10, s[0:1]
.LBB2_45:
	s_or_b64 exec, exec, s[6:7]
	v_or_b32_e32 v4, 0x300, v0
	v_cmp_gt_i32_e64 s[0:1], s28, v4
	s_and_saveexec_b64 s[6:7], s[0:1]
	s_cbranch_execnz .LBB2_52
; %bb.46:
	s_or_b64 exec, exec, s[6:7]
	s_and_saveexec_b64 s[0:1], vcc
	s_xor_b64 s[0:1], exec, s[0:1]
	s_cbranch_execnz .LBB2_57
.LBB2_47:
	s_or_b64 exec, exec, s[0:1]
	v_cmp_gt_i32_e32 vcc, s28, v0
	s_and_saveexec_b64 s[0:1], vcc
	s_cbranch_execnz .LBB2_58
.LBB2_48:
	s_or_b64 exec, exec, s[0:1]
	v_cmp_gt_i32_e32 vcc, s28, v0
	s_and_saveexec_b64 s[0:1], vcc
	s_cbranch_execnz .LBB2_59
.LBB2_49:
	s_or_b64 exec, exec, s[0:1]
	v_cmp_gt_i32_e32 vcc, s28, v0
	s_and_saveexec_b64 s[0:1], vcc
	s_cbranch_execz .LBB2_51
.LBB2_50:
	v_add_u32_e32 v0, s4, v0
	v_mov_b32_e32 v1, 0
	v_lshlrev_b64 v[0:1], 3, v[0:1]
	v_mov_b32_e32 v2, s9
	v_add_co_u32_e32 v0, vcc, s8, v0
	v_addc_co_u32_e32 v1, vcc, v2, v1, vcc
	global_store_dwordx2 v[0:1], v[8:9], off
.LBB2_51:
	s_endpgm
.LBB2_52:
	s_mov_b32 s0, 0
	s_mov_b32 s1, 0x41d00000
	v_cmp_nlt_f64_e64 s[0:1], |v[2:3]|, s[0:1]
                                        ; implicit-def: $vgpr10
                                        ; implicit-def: $vgpr4_vgpr5
                                        ; implicit-def: $vgpr8_vgpr9
	s_and_saveexec_b64 s[2:3], s[0:1]
	s_xor_b64 s[10:11], exec, s[2:3]
	s_cbranch_execz .LBB2_54
; %bb.53:
	v_trig_preop_f64 v[4:5], |v[2:3]|, 0
	s_mov_b32 s0, 0
	s_mov_b32 s1, 0x7b000000
	s_movk_i32 s2, 0xff80
	v_ldexp_f64 v[10:11], |v[2:3]|, s2
	v_cmp_ge_f64_e64 s[0:1], |v[2:3]|, s[0:1]
	v_trig_preop_f64 v[8:9], |v[2:3]|, 1
	v_and_b32_e32 v16, 0x7fffffff, v3
	v_trig_preop_f64 v[23:24], |v[2:3]|, 2
	v_mov_b32_e32 v34, 0x40100000
	v_mov_b32_e32 v33, 0
	v_cndmask_b32_e64 v11, v16, v11, s[0:1]
	v_cndmask_b32_e64 v10, v2, v10, s[0:1]
	s_mov_b32 s0, 0
	v_mul_f64 v[16:17], v[4:5], v[10:11]
	s_mov_b32 s1, 0x7ff00000
	v_mul_f64 v[19:20], v[8:9], v[10:11]
	v_mul_f64 v[29:30], v[23:24], v[10:11]
	v_fma_f64 v[4:5], v[4:5], v[10:11], -v[16:17]
	v_fma_f64 v[8:9], v[8:9], v[10:11], -v[19:20]
	;; [unrolled: 1-line block ×3, first 2 shown]
	v_add_f64 v[21:22], v[19:20], v[4:5]
	v_add_f64 v[25:26], v[21:22], -v[19:20]
	v_add_f64 v[31:32], v[16:17], v[21:22]
	v_add_f64 v[27:28], v[21:22], -v[25:26]
	v_add_f64 v[4:5], v[4:5], -v[25:26]
	v_add_f64 v[25:26], v[29:30], v[8:9]
	v_add_f64 v[16:17], v[31:32], -v[16:17]
	v_add_f64 v[19:20], v[19:20], -v[27:28]
	v_ldexp_f64 v[27:28], v[31:32], -2
	v_add_f64 v[35:36], v[25:26], -v[29:30]
	v_add_f64 v[16:17], v[21:22], -v[16:17]
	v_add_f64 v[4:5], v[4:5], v[19:20]
	v_fract_f64_e32 v[19:20], v[27:28]
	v_cmp_neq_f64_e64 s[0:1], |v[27:28]|, s[0:1]
	v_add_f64 v[8:9], v[8:9], -v[35:36]
	v_add_f64 v[21:22], v[25:26], v[4:5]
	v_ldexp_f64 v[19:20], v[19:20], 2
	v_add_f64 v[27:28], v[16:17], v[21:22]
	v_cndmask_b32_e64 v20, 0, v20, s[0:1]
	v_cndmask_b32_e64 v19, 0, v19, s[0:1]
	v_add_f64 v[37:38], v[21:22], -v[25:26]
	v_add_f64 v[31:32], v[27:28], v[19:20]
	v_add_f64 v[16:17], v[27:28], -v[16:17]
	v_add_f64 v[39:40], v[21:22], -v[37:38]
	;; [unrolled: 1-line block ×3, first 2 shown]
	v_cmp_gt_f64_e64 s[0:1], 0, v[31:32]
	v_add_f64 v[31:32], v[25:26], -v[35:36]
	v_add_f64 v[16:17], v[21:22], -v[16:17]
	;; [unrolled: 1-line block ×3, first 2 shown]
	v_cndmask_b32_e64 v34, 0, v34, s[0:1]
	v_add_f64 v[19:20], v[19:20], v[33:34]
	v_add_f64 v[31:32], v[29:30], -v[31:32]
	v_add_f64 v[4:5], v[4:5], v[25:26]
	v_add_f64 v[41:42], v[27:28], v[19:20]
	;; [unrolled: 1-line block ×3, first 2 shown]
	v_cvt_i32_f64_e32 v36, v[41:42]
	v_add_f64 v[4:5], v[8:9], v[4:5]
	v_cvt_f64_i32_e32 v[34:35], v36
	v_add_f64 v[19:20], v[19:20], -v[34:35]
	v_add_f64 v[4:5], v[10:11], v[4:5]
	v_add_f64 v[8:9], v[27:28], v[19:20]
	;; [unrolled: 1-line block ×3, first 2 shown]
	v_add_f64 v[10:11], v[8:9], -v[19:20]
	v_cmp_le_f64_e64 s[0:1], 0.5, v[8:9]
	v_add_f64 v[16:17], v[27:28], -v[10:11]
	v_mov_b32_e32 v11, 0x3ff00000
	v_cndmask_b32_e64 v34, 0, v11, s[0:1]
	v_add_f64 v[8:9], v[8:9], -v[33:34]
	v_addc_co_u32_e64 v10, s[2:3], 0, v36, s[0:1]
	s_mov_b32 s0, 0x54442d18
	s_mov_b32 s1, 0x3ff921fb
	v_add_f64 v[4:5], v[4:5], v[16:17]
	s_mov_b32 s2, 0x33145c07
	s_mov_b32 s3, 0x3c91a626
	v_add_f64 v[16:17], v[8:9], v[4:5]
	v_mul_f64 v[19:20], v[16:17], s[0:1]
	v_add_f64 v[8:9], v[16:17], -v[8:9]
	v_fma_f64 v[21:22], v[16:17], s[0:1], -v[19:20]
	v_add_f64 v[4:5], v[4:5], -v[8:9]
	v_fma_f64 v[8:9], v[16:17], s[2:3], v[21:22]
	v_fma_f64 v[8:9], v[4:5], s[0:1], v[8:9]
	v_add_f64 v[4:5], v[19:20], v[8:9]
	v_add_f64 v[16:17], v[4:5], -v[19:20]
	v_add_f64 v[8:9], v[8:9], -v[16:17]
.LBB2_54:
	s_andn2_saveexec_b64 s[0:1], s[10:11]
	s_cbranch_execz .LBB2_56
; %bb.55:
	s_mov_b32 s2, 0x6dc9c883
	s_mov_b32 s3, 0x3fe45f30
	v_mul_f64 v[4:5], |v[2:3]|, s[2:3]
	s_mov_b32 s2, 0x54442d18
	s_mov_b32 s3, 0xbff921fb
	;; [unrolled: 1-line block ×4, first 2 shown]
	v_rndne_f64_e32 v[10:11], v[4:5]
	v_fma_f64 v[4:5], v[10:11], s[2:3], |v[2:3]|
	v_mul_f64 v[8:9], v[10:11], s[10:11]
	s_mov_b32 s2, 0x252049c0
	s_mov_b32 s3, 0xb97b839a
	v_fma_f64 v[21:22], v[10:11], s[10:11], v[4:5]
	v_add_f64 v[16:17], v[4:5], v[8:9]
	s_mov_b32 s11, 0x3c91a626
	v_add_f64 v[19:20], v[4:5], -v[16:17]
	v_add_f64 v[16:17], v[16:17], -v[21:22]
	v_add_f64 v[4:5], v[19:20], v[8:9]
	v_fma_f64 v[8:9], v[10:11], s[10:11], v[8:9]
	v_add_f64 v[4:5], v[16:17], v[4:5]
	v_add_f64 v[4:5], v[4:5], -v[8:9]
	v_fma_f64 v[8:9], v[10:11], s[2:3], v[4:5]
	v_cvt_i32_f64_e32 v10, v[10:11]
	v_add_f64 v[4:5], v[21:22], v[8:9]
	v_add_f64 v[16:17], v[4:5], -v[21:22]
	v_add_f64 v[8:9], v[8:9], -v[16:17]
.LBB2_56:
	s_or_b64 exec, exec, s[0:1]
	v_mul_f64 v[16:17], v[4:5], v[4:5]
	s_mov_b32 s0, 0xf9a43bb8
	v_mov_b32_e32 v20, 0xb42fdfa7
	v_mov_b32_e32 v21, 0xbe5ae600
	s_mov_b32 s1, 0x3de5e0b2
	s_mov_b32 s2, 0x796cde01
	v_mov_b32_e32 v19, 0x9037ab78
	s_mov_b32 s3, 0x3ec71de3
	v_fma_f64 v[21:22], v[16:17], s[0:1], v[20:21]
	s_mov_b32 s0, 0x46cc5e42
	v_mov_b32_e32 v20, 0x3e21eeb6
	s_mov_b32 s1, 0xbda907db
	v_fma_f64 v[19:20], v[16:17], s[0:1], v[19:20]
	v_mul_f64 v[23:24], v[16:17], 0.5
	s_mov_b32 s0, 0xa17f65f6
	s_mov_b32 s10, 0x19e83e5c
	v_fma_f64 v[21:22], v[16:17], v[21:22], s[2:3]
	s_mov_b32 s1, 0xbe927e4f
	s_mov_b32 s11, 0xbf2a01a0
	s_mov_b32 s2, 0x19f4ec90
	v_fma_f64 v[19:20], v[16:17], v[19:20], s[0:1]
	v_add_f64 v[25:26], -v[23:24], 1.0
	s_mov_b32 s0, 0x11110bb3
	s_mov_b32 s3, 0x3efa01a0
	v_fma_f64 v[21:22], v[16:17], v[21:22], s[10:11]
	s_mov_b32 s1, 0x3f811111
	v_mul_f64 v[27:28], v[8:9], 0.5
	v_mul_f64 v[29:30], v[4:5], -v[16:17]
	v_fma_f64 v[19:20], v[16:17], v[19:20], s[2:3]
	v_add_f64 v[31:32], -v[25:26], 1.0
	s_movk_i32 s2, 0x1f8
	v_fma_f64 v[21:22], v[16:17], v[21:22], s[0:1]
	s_mov_b32 s0, 0x16c16967
	s_mov_b32 s1, 0xbf56c16c
	v_fma_f64 v[19:20], v[16:17], v[19:20], s[0:1]
	v_add_f64 v[23:24], v[31:32], -v[23:24]
	s_mov_b32 s1, 0x3fa55555
	s_mov_b32 s0, 0x55555555
	v_fma_f64 v[21:22], v[29:30], v[21:22], v[27:28]
	v_mul_f64 v[27:28], v[16:17], v[16:17]
	v_fma_f64 v[19:20], v[16:17], v[19:20], s[0:1]
	v_fma_f64 v[23:24], v[4:5], -v[8:9], v[23:24]
	s_mov_b32 s1, 0xbfc55555
	v_fma_f64 v[8:9], v[16:17], v[21:22], -v[8:9]
	v_fma_f64 v[16:17], v[27:28], v[19:20], v[23:24]
	v_fma_f64 v[8:9], v[29:30], s[0:1], v[8:9]
	v_add_f64 v[16:17], v[25:26], v[16:17]
	v_add_f64 v[4:5], v[4:5], -v[8:9]
	v_and_b32_e32 v8, 1, v10
	v_cmp_eq_u32_e64 s[0:1], 0, v8
	v_lshlrev_b32_e32 v9, 30, v10
	v_xor_b32_e32 v9, v9, v3
	v_and_b32_e32 v9, 0x80000000, v9
	v_mov_b32_e32 v10, 0x7ff80000
	v_cndmask_b32_e64 v4, v16, v4, s[0:1]
	v_cndmask_b32_e64 v5, v17, v5, s[0:1]
	v_cmp_class_f64_e64 s[0:1], v[2:3], s2
	v_xor_b32_e32 v5, v5, v9
	v_cndmask_b32_e64 v9, v10, v5, s[0:1]
	v_cndmask_b32_e64 v8, 0, v4, s[0:1]
	s_or_b64 exec, exec, s[6:7]
	s_and_saveexec_b64 s[0:1], vcc
	s_xor_b64 s[0:1], exec, s[0:1]
	s_cbranch_execz .LBB2_47
.LBB2_57:
	v_mov_b32_e32 v2, 0
	v_lshlrev_b64 v[0:1], 3, v[1:2]
	v_mov_b32_e32 v2, s9
	v_add_co_u32_e32 v0, vcc, s8, v0
	v_addc_co_u32_e32 v1, vcc, v2, v1, vcc
	global_store_dwordx2 v[0:1], v[6:7], off
	v_mov_b32_e32 v0, v18
	s_or_b64 exec, exec, s[0:1]
	v_cmp_gt_i32_e32 vcc, s28, v0
	s_and_saveexec_b64 s[0:1], vcc
	s_cbranch_execz .LBB2_48
.LBB2_58:
	v_add_u32_e32 v1, s4, v0
	v_mov_b32_e32 v2, 0
	v_lshlrev_b64 v[1:2], 3, v[1:2]
	v_mov_b32_e32 v3, s9
	v_add_co_u32_e32 v1, vcc, s8, v1
	v_addc_co_u32_e32 v2, vcc, v3, v2, vcc
	v_add_u32_e32 v0, 0x100, v0
	global_store_dwordx2 v[1:2], v[14:15], off
	s_or_b64 exec, exec, s[0:1]
	v_cmp_gt_i32_e32 vcc, s28, v0
	s_and_saveexec_b64 s[0:1], vcc
	s_cbranch_execz .LBB2_49
.LBB2_59:
	v_add_u32_e32 v1, s4, v0
	v_mov_b32_e32 v2, 0
	v_lshlrev_b64 v[1:2], 3, v[1:2]
	v_mov_b32_e32 v3, s9
	v_add_co_u32_e32 v1, vcc, s8, v1
	v_addc_co_u32_e32 v2, vcc, v3, v2, vcc
	v_add_u32_e32 v0, 0x100, v0
	global_store_dwordx2 v[1:2], v[12:13], off
	s_or_b64 exec, exec, s[0:1]
	v_cmp_gt_i32_e32 vcc, s28, v0
	s_and_saveexec_b64 s[0:1], vcc
	s_cbranch_execnz .LBB2_50
	s_branch .LBB2_51
	.section	.rodata,"a",@progbits
	.p2align	6, 0x0
	.amdhsa_kernel _ZN2at6native29vectorized_elementwise_kernelILi4EZZZNS0_15sin_kernel_cudaERNS_18TensorIteratorBaseEENKUlvE0_clEvENKUlvE_clEvEUldE_St5arrayIPcLm2EEEEviT0_T1_
		.amdhsa_group_segment_fixed_size 0
		.amdhsa_private_segment_fixed_size 0
		.amdhsa_kernarg_size 24
		.amdhsa_user_sgpr_count 6
		.amdhsa_user_sgpr_private_segment_buffer 1
		.amdhsa_user_sgpr_dispatch_ptr 0
		.amdhsa_user_sgpr_queue_ptr 0
		.amdhsa_user_sgpr_kernarg_segment_ptr 1
		.amdhsa_user_sgpr_dispatch_id 0
		.amdhsa_user_sgpr_flat_scratch_init 0
		.amdhsa_user_sgpr_private_segment_size 0
		.amdhsa_uses_dynamic_stack 0
		.amdhsa_system_sgpr_private_segment_wavefront_offset 0
		.amdhsa_system_sgpr_workgroup_id_x 1
		.amdhsa_system_sgpr_workgroup_id_y 0
		.amdhsa_system_sgpr_workgroup_id_z 0
		.amdhsa_system_sgpr_workgroup_info 0
		.amdhsa_system_vgpr_workitem_id 0
		.amdhsa_next_free_vgpr 57
		.amdhsa_next_free_sgpr 29
		.amdhsa_reserve_vcc 1
		.amdhsa_reserve_flat_scratch 0
		.amdhsa_float_round_mode_32 0
		.amdhsa_float_round_mode_16_64 0
		.amdhsa_float_denorm_mode_32 3
		.amdhsa_float_denorm_mode_16_64 3
		.amdhsa_dx10_clamp 1
		.amdhsa_ieee_mode 1
		.amdhsa_fp16_overflow 0
		.amdhsa_exception_fp_ieee_invalid_op 0
		.amdhsa_exception_fp_denorm_src 0
		.amdhsa_exception_fp_ieee_div_zero 0
		.amdhsa_exception_fp_ieee_overflow 0
		.amdhsa_exception_fp_ieee_underflow 0
		.amdhsa_exception_fp_ieee_inexact 0
		.amdhsa_exception_int_div_zero 0
	.end_amdhsa_kernel
	.section	.text._ZN2at6native29vectorized_elementwise_kernelILi4EZZZNS0_15sin_kernel_cudaERNS_18TensorIteratorBaseEENKUlvE0_clEvENKUlvE_clEvEUldE_St5arrayIPcLm2EEEEviT0_T1_,"axG",@progbits,_ZN2at6native29vectorized_elementwise_kernelILi4EZZZNS0_15sin_kernel_cudaERNS_18TensorIteratorBaseEENKUlvE0_clEvENKUlvE_clEvEUldE_St5arrayIPcLm2EEEEviT0_T1_,comdat
.Lfunc_end2:
	.size	_ZN2at6native29vectorized_elementwise_kernelILi4EZZZNS0_15sin_kernel_cudaERNS_18TensorIteratorBaseEENKUlvE0_clEvENKUlvE_clEvEUldE_St5arrayIPcLm2EEEEviT0_T1_, .Lfunc_end2-_ZN2at6native29vectorized_elementwise_kernelILi4EZZZNS0_15sin_kernel_cudaERNS_18TensorIteratorBaseEENKUlvE0_clEvENKUlvE_clEvEUldE_St5arrayIPcLm2EEEEviT0_T1_
                                        ; -- End function
	.set _ZN2at6native29vectorized_elementwise_kernelILi4EZZZNS0_15sin_kernel_cudaERNS_18TensorIteratorBaseEENKUlvE0_clEvENKUlvE_clEvEUldE_St5arrayIPcLm2EEEEviT0_T1_.num_vgpr, 57
	.set _ZN2at6native29vectorized_elementwise_kernelILi4EZZZNS0_15sin_kernel_cudaERNS_18TensorIteratorBaseEENKUlvE0_clEvENKUlvE_clEvEUldE_St5arrayIPcLm2EEEEviT0_T1_.num_agpr, 0
	.set _ZN2at6native29vectorized_elementwise_kernelILi4EZZZNS0_15sin_kernel_cudaERNS_18TensorIteratorBaseEENKUlvE0_clEvENKUlvE_clEvEUldE_St5arrayIPcLm2EEEEviT0_T1_.numbered_sgpr, 29
	.set _ZN2at6native29vectorized_elementwise_kernelILi4EZZZNS0_15sin_kernel_cudaERNS_18TensorIteratorBaseEENKUlvE0_clEvENKUlvE_clEvEUldE_St5arrayIPcLm2EEEEviT0_T1_.num_named_barrier, 0
	.set _ZN2at6native29vectorized_elementwise_kernelILi4EZZZNS0_15sin_kernel_cudaERNS_18TensorIteratorBaseEENKUlvE0_clEvENKUlvE_clEvEUldE_St5arrayIPcLm2EEEEviT0_T1_.private_seg_size, 0
	.set _ZN2at6native29vectorized_elementwise_kernelILi4EZZZNS0_15sin_kernel_cudaERNS_18TensorIteratorBaseEENKUlvE0_clEvENKUlvE_clEvEUldE_St5arrayIPcLm2EEEEviT0_T1_.uses_vcc, 1
	.set _ZN2at6native29vectorized_elementwise_kernelILi4EZZZNS0_15sin_kernel_cudaERNS_18TensorIteratorBaseEENKUlvE0_clEvENKUlvE_clEvEUldE_St5arrayIPcLm2EEEEviT0_T1_.uses_flat_scratch, 0
	.set _ZN2at6native29vectorized_elementwise_kernelILi4EZZZNS0_15sin_kernel_cudaERNS_18TensorIteratorBaseEENKUlvE0_clEvENKUlvE_clEvEUldE_St5arrayIPcLm2EEEEviT0_T1_.has_dyn_sized_stack, 0
	.set _ZN2at6native29vectorized_elementwise_kernelILi4EZZZNS0_15sin_kernel_cudaERNS_18TensorIteratorBaseEENKUlvE0_clEvENKUlvE_clEvEUldE_St5arrayIPcLm2EEEEviT0_T1_.has_recursion, 0
	.set _ZN2at6native29vectorized_elementwise_kernelILi4EZZZNS0_15sin_kernel_cudaERNS_18TensorIteratorBaseEENKUlvE0_clEvENKUlvE_clEvEUldE_St5arrayIPcLm2EEEEviT0_T1_.has_indirect_call, 0
	.section	.AMDGPU.csdata,"",@progbits
; Kernel info:
; codeLenInByte = 10980
; TotalNumSgprs: 33
; NumVgprs: 57
; ScratchSize: 0
; MemoryBound: 1
; FloatMode: 240
; IeeeMode: 1
; LDSByteSize: 0 bytes/workgroup (compile time only)
; SGPRBlocks: 4
; VGPRBlocks: 14
; NumSGPRsForWavesPerEU: 33
; NumVGPRsForWavesPerEU: 57
; Occupancy: 4
; WaveLimiterHint : 0
; COMPUTE_PGM_RSRC2:SCRATCH_EN: 0
; COMPUTE_PGM_RSRC2:USER_SGPR: 6
; COMPUTE_PGM_RSRC2:TRAP_HANDLER: 0
; COMPUTE_PGM_RSRC2:TGID_X_EN: 1
; COMPUTE_PGM_RSRC2:TGID_Y_EN: 0
; COMPUTE_PGM_RSRC2:TGID_Z_EN: 0
; COMPUTE_PGM_RSRC2:TIDIG_COMP_CNT: 0
	.section	.text._ZN2at6native29vectorized_elementwise_kernelILi2EZZZNS0_15sin_kernel_cudaERNS_18TensorIteratorBaseEENKUlvE0_clEvENKUlvE_clEvEUldE_St5arrayIPcLm2EEEEviT0_T1_,"axG",@progbits,_ZN2at6native29vectorized_elementwise_kernelILi2EZZZNS0_15sin_kernel_cudaERNS_18TensorIteratorBaseEENKUlvE0_clEvENKUlvE_clEvEUldE_St5arrayIPcLm2EEEEviT0_T1_,comdat
	.globl	_ZN2at6native29vectorized_elementwise_kernelILi2EZZZNS0_15sin_kernel_cudaERNS_18TensorIteratorBaseEENKUlvE0_clEvENKUlvE_clEvEUldE_St5arrayIPcLm2EEEEviT0_T1_ ; -- Begin function _ZN2at6native29vectorized_elementwise_kernelILi2EZZZNS0_15sin_kernel_cudaERNS_18TensorIteratorBaseEENKUlvE0_clEvENKUlvE_clEvEUldE_St5arrayIPcLm2EEEEviT0_T1_
	.p2align	8
	.type	_ZN2at6native29vectorized_elementwise_kernelILi2EZZZNS0_15sin_kernel_cudaERNS_18TensorIteratorBaseEENKUlvE0_clEvENKUlvE_clEvEUldE_St5arrayIPcLm2EEEEviT0_T1_,@function
_ZN2at6native29vectorized_elementwise_kernelILi2EZZZNS0_15sin_kernel_cudaERNS_18TensorIteratorBaseEENKUlvE0_clEvENKUlvE_clEvEUldE_St5arrayIPcLm2EEEEviT0_T1_: ; @_ZN2at6native29vectorized_elementwise_kernelILi2EZZZNS0_15sin_kernel_cudaERNS_18TensorIteratorBaseEENKUlvE0_clEvENKUlvE_clEvEUldE_St5arrayIPcLm2EEEEviT0_T1_
; %bb.0:
	s_load_dword s0, s[4:5], 0x0
	s_load_dwordx4 s[8:11], s[4:5], 0x8
	s_lshl_b32 s4, s6, 10
	s_waitcnt lgkmcnt(0)
	s_sub_i32 s28, s0, s4
	s_cmpk_gt_i32 s28, 0x3ff
	s_mov_b64 s[0:1], -1
	s_cbranch_scc0 .LBB3_18
; %bb.1:
	s_ashr_i32 s5, s4, 31
	s_lshl_b64 s[6:7], s[4:5], 3
	s_add_u32 s0, s10, s6
	s_addc_u32 s1, s11, s7
	v_lshlrev_b32_e32 v25, 4, v0
	global_load_dwordx4 v[5:8], v25, s[0:1]
	v_mov_b32_e32 v1, s1
	v_add_co_u32_e32 v2, vcc, s0, v25
	v_addc_co_u32_e32 v3, vcc, 0, v1, vcc
	v_add_co_u32_e32 v1, vcc, 0x1000, v2
	v_addc_co_u32_e32 v2, vcc, 0, v3, vcc
	global_load_dwordx4 v[1:4], v[1:2], off
	s_mov_b32 s0, 0
	s_mov_b32 s1, 0x41d00000
	v_mov_b32_e32 v13, 0
                                        ; implicit-def: $vgpr26
                                        ; implicit-def: $vgpr9_vgpr10
                                        ; implicit-def: $vgpr11_vgpr12
	s_waitcnt vmcnt(1)
	v_cmp_nlt_f64_e64 s[0:1], |v[5:6]|, s[0:1]
	s_and_saveexec_b64 s[2:3], s[0:1]
	s_xor_b64 s[2:3], exec, s[2:3]
	s_cbranch_execz .LBB3_3
; %bb.2:
	v_trig_preop_f64 v[9:10], |v[5:6]|, 0
	s_mov_b32 s0, 0
	s_mov_b32 s1, 0x7b000000
	s_movk_i32 s5, 0xff80
	v_ldexp_f64 v[14:15], |v[5:6]|, s5
	v_cmp_ge_f64_e64 vcc, |v[5:6]|, s[0:1]
	v_trig_preop_f64 v[11:12], |v[5:6]|, 1
	v_and_b32_e32 v16, 0x7fffffff, v6
	v_trig_preop_f64 v[23:24], |v[5:6]|, 2
	s_mov_b32 s0, 0
	s_mov_b32 s1, 0x7ff00000
	;; [unrolled: 1-line block ×4, first 2 shown]
	v_cndmask_b32_e32 v16, v16, v15, vcc
	v_cndmask_b32_e32 v15, v5, v14, vcc
	v_mov_b32_e32 v14, 0x40100000
	v_mul_f64 v[17:18], v[9:10], v[15:16]
	v_mul_f64 v[19:20], v[11:12], v[15:16]
	;; [unrolled: 1-line block ×3, first 2 shown]
	v_fma_f64 v[9:10], v[9:10], v[15:16], -v[17:18]
	v_fma_f64 v[11:12], v[11:12], v[15:16], -v[19:20]
	v_add_f64 v[21:22], v[19:20], v[9:10]
	v_add_f64 v[26:27], v[21:22], -v[19:20]
	v_add_f64 v[32:33], v[17:18], v[21:22]
	v_add_f64 v[28:29], v[21:22], -v[26:27]
	v_add_f64 v[9:10], v[9:10], -v[26:27]
	v_add_f64 v[26:27], v[30:31], v[11:12]
	v_add_f64 v[17:18], v[32:33], -v[17:18]
	v_add_f64 v[19:20], v[19:20], -v[28:29]
	v_ldexp_f64 v[28:29], v[32:33], -2
	v_add_f64 v[34:35], v[26:27], -v[30:31]
	v_add_f64 v[17:18], v[21:22], -v[17:18]
	v_add_f64 v[9:10], v[9:10], v[19:20]
	v_fract_f64_e32 v[19:20], v[28:29]
	v_cmp_neq_f64_e64 vcc, |v[28:29]|, s[0:1]
	v_add_f64 v[11:12], v[11:12], -v[34:35]
	v_add_f64 v[21:22], v[26:27], v[9:10]
	v_ldexp_f64 v[19:20], v[19:20], 2
	v_add_f64 v[28:29], v[17:18], v[21:22]
	v_cndmask_b32_e32 v20, 0, v20, vcc
	v_cndmask_b32_e32 v19, 0, v19, vcc
	v_add_f64 v[36:37], v[21:22], -v[26:27]
	v_add_f64 v[32:33], v[28:29], v[19:20]
	v_add_f64 v[38:39], v[21:22], -v[36:37]
	v_add_f64 v[9:10], v[9:10], -v[36:37]
	v_cmp_gt_f64_e32 vcc, 0, v[32:33]
	v_add_f64 v[32:33], v[26:27], -v[34:35]
	v_add_f64 v[26:27], v[26:27], -v[38:39]
	v_cndmask_b32_e32 v14, 0, v14, vcc
	v_add_f64 v[19:20], v[19:20], v[13:14]
	v_add_f64 v[32:33], v[30:31], -v[32:33]
	v_add_f64 v[9:10], v[9:10], v[26:27]
	v_fma_f64 v[14:15], v[23:24], v[15:16], -v[30:31]
	v_add_f64 v[16:17], v[28:29], -v[17:18]
	v_add_f64 v[40:41], v[28:29], v[19:20]
	v_add_f64 v[11:12], v[11:12], v[32:33]
	v_add_f64 v[16:17], v[21:22], -v[16:17]
	v_cvt_i32_f64_e32 v36, v[40:41]
	v_add_f64 v[9:10], v[11:12], v[9:10]
	v_cvt_f64_i32_e32 v[34:35], v36
	v_add_f64 v[19:20], v[19:20], -v[34:35]
	v_add_f64 v[9:10], v[14:15], v[9:10]
	v_add_f64 v[11:12], v[28:29], v[19:20]
	;; [unrolled: 1-line block ×3, first 2 shown]
	v_add_f64 v[14:15], v[11:12], -v[19:20]
	v_cmp_le_f64_e32 vcc, 0.5, v[11:12]
	v_add_f64 v[15:16], v[28:29], -v[14:15]
	v_mov_b32_e32 v14, 0x3ff00000
	v_cndmask_b32_e32 v14, 0, v14, vcc
	v_add_f64 v[11:12], v[11:12], -v[13:14]
	v_addc_co_u32_e64 v26, s[0:1], 0, v36, vcc
	s_mov_b32 s0, 0x54442d18
	s_mov_b32 s1, 0x3ff921fb
	v_add_f64 v[9:10], v[9:10], v[15:16]
	v_add_f64 v[13:14], v[11:12], v[9:10]
	v_mul_f64 v[15:16], v[13:14], s[0:1]
	v_add_f64 v[11:12], v[13:14], -v[11:12]
	v_fma_f64 v[17:18], v[13:14], s[0:1], -v[15:16]
	v_add_f64 v[9:10], v[9:10], -v[11:12]
	v_fma_f64 v[11:12], v[13:14], s[12:13], v[17:18]
	v_fma_f64 v[11:12], v[9:10], s[0:1], v[11:12]
	v_add_f64 v[9:10], v[15:16], v[11:12]
	v_add_f64 v[13:14], v[9:10], -v[15:16]
	v_add_f64 v[11:12], v[11:12], -v[13:14]
.LBB3_3:
	s_andn2_saveexec_b64 s[0:1], s[2:3]
	s_cbranch_execz .LBB3_5
; %bb.4:
	s_mov_b32 s2, 0x6dc9c883
	s_mov_b32 s3, 0x3fe45f30
	v_mul_f64 v[9:10], |v[5:6]|, s[2:3]
	s_mov_b32 s2, 0x54442d18
	s_mov_b32 s3, 0xbff921fb
	;; [unrolled: 1-line block ×4, first 2 shown]
	v_rndne_f64_e32 v[13:14], v[9:10]
	v_fma_f64 v[9:10], v[13:14], s[2:3], |v[5:6]|
	v_mul_f64 v[11:12], v[13:14], s[12:13]
	s_mov_b32 s2, 0x252049c0
	s_mov_b32 s3, 0xb97b839a
	v_cvt_i32_f64_e32 v26, v[13:14]
	v_fma_f64 v[19:20], v[13:14], s[12:13], v[9:10]
	v_add_f64 v[15:16], v[9:10], v[11:12]
	s_mov_b32 s13, 0x3c91a626
	v_add_f64 v[17:18], v[9:10], -v[15:16]
	v_add_f64 v[15:16], v[15:16], -v[19:20]
	v_add_f64 v[9:10], v[17:18], v[11:12]
	v_fma_f64 v[11:12], v[13:14], s[12:13], v[11:12]
	v_add_f64 v[9:10], v[15:16], v[9:10]
	v_add_f64 v[9:10], v[9:10], -v[11:12]
	v_fma_f64 v[11:12], v[13:14], s[2:3], v[9:10]
	v_add_f64 v[9:10], v[19:20], v[11:12]
	v_add_f64 v[15:16], v[9:10], -v[19:20]
	v_add_f64 v[11:12], v[11:12], -v[15:16]
.LBB3_5:
	s_or_b64 exec, exec, s[0:1]
	s_mov_b32 s0, 0
	s_mov_b32 s1, 0x41d00000
	v_cmp_nlt_f64_e64 s[0:1], |v[7:8]|, s[0:1]
                                        ; implicit-def: $vgpr27
                                        ; implicit-def: $vgpr13_vgpr14
                                        ; implicit-def: $vgpr15_vgpr16
	s_and_saveexec_b64 s[2:3], s[0:1]
	s_xor_b64 s[2:3], exec, s[2:3]
	s_cbranch_execz .LBB3_7
; %bb.6:
	v_trig_preop_f64 v[13:14], |v[7:8]|, 0
	s_mov_b32 s0, 0
	s_mov_b32 s1, 0x7b000000
	s_movk_i32 s5, 0xff80
	v_ldexp_f64 v[17:18], |v[7:8]|, s5
	v_cmp_ge_f64_e64 vcc, |v[7:8]|, s[0:1]
	v_trig_preop_f64 v[15:16], |v[7:8]|, 1
	v_and_b32_e32 v19, 0x7fffffff, v8
	v_trig_preop_f64 v[27:28], |v[7:8]|, 2
	s_mov_b32 s0, 0
	s_mov_b32 s1, 0x7ff00000
	v_mov_b32_e32 v38, 0x40100000
	v_mov_b32_e32 v37, 0
	v_cndmask_b32_e32 v18, v19, v18, vcc
	v_cndmask_b32_e32 v17, v7, v17, vcc
	s_mov_b32 s12, 0x33145c07
	v_mul_f64 v[19:20], v[13:14], v[17:18]
	s_mov_b32 s13, 0x3c91a626
	v_mul_f64 v[21:22], v[15:16], v[17:18]
	v_mul_f64 v[33:34], v[27:28], v[17:18]
	v_fma_f64 v[13:14], v[13:14], v[17:18], -v[19:20]
	v_fma_f64 v[15:16], v[15:16], v[17:18], -v[21:22]
	;; [unrolled: 1-line block ×3, first 2 shown]
	v_add_f64 v[23:24], v[21:22], v[13:14]
	v_add_f64 v[29:30], v[23:24], -v[21:22]
	v_add_f64 v[35:36], v[19:20], v[23:24]
	v_add_f64 v[31:32], v[23:24], -v[29:30]
	v_add_f64 v[13:14], v[13:14], -v[29:30]
	v_add_f64 v[29:30], v[33:34], v[15:16]
	v_add_f64 v[19:20], v[35:36], -v[19:20]
	v_add_f64 v[21:22], v[21:22], -v[31:32]
	v_ldexp_f64 v[31:32], v[35:36], -2
	v_add_f64 v[39:40], v[29:30], -v[33:34]
	v_add_f64 v[19:20], v[23:24], -v[19:20]
	v_add_f64 v[13:14], v[13:14], v[21:22]
	v_fract_f64_e32 v[21:22], v[31:32]
	v_cmp_neq_f64_e64 vcc, |v[31:32]|, s[0:1]
	v_add_f64 v[15:16], v[15:16], -v[39:40]
	v_add_f64 v[23:24], v[29:30], v[13:14]
	v_ldexp_f64 v[21:22], v[21:22], 2
	v_add_f64 v[31:32], v[19:20], v[23:24]
	v_cndmask_b32_e32 v22, 0, v22, vcc
	v_cndmask_b32_e32 v21, 0, v21, vcc
	v_add_f64 v[41:42], v[23:24], -v[29:30]
	v_add_f64 v[35:36], v[31:32], v[21:22]
	v_add_f64 v[19:20], v[31:32], -v[19:20]
	v_add_f64 v[43:44], v[23:24], -v[41:42]
	v_add_f64 v[13:14], v[13:14], -v[41:42]
	v_cmp_gt_f64_e32 vcc, 0, v[35:36]
	v_add_f64 v[35:36], v[29:30], -v[39:40]
	v_add_f64 v[19:20], v[23:24], -v[19:20]
	;; [unrolled: 1-line block ×3, first 2 shown]
	v_cndmask_b32_e32 v38, 0, v38, vcc
	v_add_f64 v[21:22], v[21:22], v[37:38]
	v_add_f64 v[35:36], v[33:34], -v[35:36]
	v_add_f64 v[13:14], v[13:14], v[29:30]
	v_add_f64 v[45:46], v[31:32], v[21:22]
	;; [unrolled: 1-line block ×3, first 2 shown]
	v_cvt_i32_f64_e32 v40, v[45:46]
	v_add_f64 v[13:14], v[15:16], v[13:14]
	v_cvt_f64_i32_e32 v[38:39], v40
	v_add_f64 v[21:22], v[21:22], -v[38:39]
	v_add_f64 v[13:14], v[17:18], v[13:14]
	v_add_f64 v[15:16], v[31:32], v[21:22]
	;; [unrolled: 1-line block ×3, first 2 shown]
	v_mov_b32_e32 v19, 0x3ff00000
	v_add_f64 v[17:18], v[15:16], -v[21:22]
	v_cmp_le_f64_e32 vcc, 0.5, v[15:16]
	v_add_f64 v[17:18], v[31:32], -v[17:18]
	v_cndmask_b32_e32 v38, 0, v19, vcc
	v_add_f64 v[15:16], v[15:16], -v[37:38]
	v_addc_co_u32_e64 v27, s[0:1], 0, v40, vcc
	s_mov_b32 s0, 0x54442d18
	s_mov_b32 s1, 0x3ff921fb
	v_add_f64 v[13:14], v[13:14], v[17:18]
	v_add_f64 v[17:18], v[15:16], v[13:14]
	v_mul_f64 v[19:20], v[17:18], s[0:1]
	v_add_f64 v[15:16], v[17:18], -v[15:16]
	v_fma_f64 v[21:22], v[17:18], s[0:1], -v[19:20]
	v_add_f64 v[13:14], v[13:14], -v[15:16]
	v_fma_f64 v[15:16], v[17:18], s[12:13], v[21:22]
	v_fma_f64 v[15:16], v[13:14], s[0:1], v[15:16]
	v_add_f64 v[13:14], v[19:20], v[15:16]
	v_add_f64 v[17:18], v[13:14], -v[19:20]
	v_add_f64 v[15:16], v[15:16], -v[17:18]
.LBB3_7:
	s_andn2_saveexec_b64 s[0:1], s[2:3]
	s_cbranch_execz .LBB3_9
; %bb.8:
	s_mov_b32 s2, 0x6dc9c883
	s_mov_b32 s3, 0x3fe45f30
	v_mul_f64 v[13:14], |v[7:8]|, s[2:3]
	s_mov_b32 s2, 0x54442d18
	s_mov_b32 s3, 0xbff921fb
	;; [unrolled: 1-line block ×4, first 2 shown]
	v_rndne_f64_e32 v[17:18], v[13:14]
	v_fma_f64 v[13:14], v[17:18], s[2:3], |v[7:8]|
	v_mul_f64 v[15:16], v[17:18], s[12:13]
	s_mov_b32 s2, 0x252049c0
	s_mov_b32 s3, 0xb97b839a
	v_cvt_i32_f64_e32 v27, v[17:18]
	v_fma_f64 v[23:24], v[17:18], s[12:13], v[13:14]
	v_add_f64 v[19:20], v[13:14], v[15:16]
	s_mov_b32 s13, 0x3c91a626
	v_add_f64 v[21:22], v[13:14], -v[19:20]
	v_add_f64 v[19:20], v[19:20], -v[23:24]
	v_add_f64 v[13:14], v[21:22], v[15:16]
	v_fma_f64 v[15:16], v[17:18], s[12:13], v[15:16]
	v_add_f64 v[13:14], v[19:20], v[13:14]
	v_add_f64 v[13:14], v[13:14], -v[15:16]
	v_fma_f64 v[15:16], v[17:18], s[2:3], v[13:14]
	v_add_f64 v[13:14], v[23:24], v[15:16]
	v_add_f64 v[19:20], v[13:14], -v[23:24]
	v_add_f64 v[15:16], v[15:16], -v[19:20]
.LBB3_9:
	s_or_b64 exec, exec, s[0:1]
	s_mov_b32 s0, 0
	s_mov_b32 s1, 0x41d00000
	s_waitcnt vmcnt(0)
	v_cmp_nlt_f64_e64 s[0:1], |v[1:2]|, s[0:1]
                                        ; implicit-def: $vgpr28
                                        ; implicit-def: $vgpr17_vgpr18
                                        ; implicit-def: $vgpr19_vgpr20
	s_and_saveexec_b64 s[2:3], s[0:1]
	s_xor_b64 s[0:1], exec, s[2:3]
	s_cbranch_execz .LBB3_11
; %bb.10:
	v_trig_preop_f64 v[17:18], |v[1:2]|, 0
	s_mov_b32 s2, 0
	s_mov_b32 s3, 0x7b000000
	s_movk_i32 s5, 0xff80
	v_ldexp_f64 v[19:20], |v[1:2]|, s5
	v_cmp_ge_f64_e64 vcc, |v[1:2]|, s[2:3]
	v_trig_preop_f64 v[21:22], |v[1:2]|, 1
	v_and_b32_e32 v23, 0x7fffffff, v2
	v_trig_preop_f64 v[32:33], |v[1:2]|, 2
	s_mov_b32 s2, 0
	s_mov_b32 s3, 0x7ff00000
	v_mov_b32_e32 v43, 0x40100000
	v_mov_b32_e32 v42, 0
	v_cndmask_b32_e32 v20, v23, v20, vcc
	v_cndmask_b32_e32 v19, v1, v19, vcc
	s_mov_b32 s12, 0x33145c07
	v_mul_f64 v[23:24], v[17:18], v[19:20]
	s_mov_b32 s13, 0x3c91a626
	v_mul_f64 v[28:29], v[21:22], v[19:20]
	v_mul_f64 v[38:39], v[32:33], v[19:20]
	v_fma_f64 v[17:18], v[17:18], v[19:20], -v[23:24]
	v_fma_f64 v[21:22], v[21:22], v[19:20], -v[28:29]
	;; [unrolled: 1-line block ×3, first 2 shown]
	v_add_f64 v[30:31], v[28:29], v[17:18]
	v_add_f64 v[34:35], v[30:31], -v[28:29]
	v_add_f64 v[40:41], v[23:24], v[30:31]
	v_add_f64 v[36:37], v[30:31], -v[34:35]
	v_add_f64 v[17:18], v[17:18], -v[34:35]
	v_add_f64 v[34:35], v[38:39], v[21:22]
	v_add_f64 v[23:24], v[40:41], -v[23:24]
	v_add_f64 v[28:29], v[28:29], -v[36:37]
	v_ldexp_f64 v[36:37], v[40:41], -2
	v_add_f64 v[23:24], v[30:31], -v[23:24]
	v_add_f64 v[17:18], v[17:18], v[28:29]
	v_fract_f64_e32 v[28:29], v[36:37]
	v_cmp_neq_f64_e64 vcc, |v[36:37]|, s[2:3]
	s_mov_b32 s2, 0x54442d18
	s_mov_b32 s3, 0x3ff921fb
	v_add_f64 v[30:31], v[34:35], v[17:18]
	v_ldexp_f64 v[28:29], v[28:29], 2
	v_add_f64 v[36:37], v[23:24], v[30:31]
	v_cndmask_b32_e32 v29, 0, v29, vcc
	v_cndmask_b32_e32 v28, 0, v28, vcc
	v_add_f64 v[44:45], v[30:31], -v[34:35]
	v_add_f64 v[40:41], v[36:37], v[28:29]
	v_add_f64 v[23:24], v[36:37], -v[23:24]
	v_add_f64 v[48:49], v[30:31], -v[44:45]
	v_add_f64 v[17:18], v[17:18], -v[44:45]
	v_cmp_gt_f64_e32 vcc, 0, v[40:41]
	v_add_f64 v[40:41], v[34:35], -v[38:39]
	v_add_f64 v[23:24], v[30:31], -v[23:24]
	v_cndmask_b32_e32 v43, 0, v43, vcc
	v_add_f64 v[28:29], v[28:29], v[42:43]
	v_add_f64 v[46:47], v[34:35], -v[40:41]
	v_add_f64 v[21:22], v[21:22], -v[40:41]
	v_add_f64 v[34:35], v[34:35], -v[48:49]
	v_add_f64 v[50:51], v[36:37], v[28:29]
	v_add_f64 v[40:41], v[38:39], -v[46:47]
	v_add_f64 v[17:18], v[17:18], v[34:35]
	v_cvt_i32_f64_e32 v45, v[50:51]
	v_add_f64 v[21:22], v[21:22], v[40:41]
	v_cvt_f64_i32_e32 v[43:44], v45
	v_add_f64 v[28:29], v[28:29], -v[43:44]
	v_add_f64 v[17:18], v[21:22], v[17:18]
	v_add_f64 v[21:22], v[36:37], v[28:29]
	;; [unrolled: 1-line block ×3, first 2 shown]
	v_add_f64 v[19:20], v[21:22], -v[28:29]
	v_cmp_le_f64_e32 vcc, 0.5, v[21:22]
	v_add_f64 v[17:18], v[23:24], v[17:18]
	v_mov_b32_e32 v23, 0x3ff00000
	v_add_f64 v[19:20], v[36:37], -v[19:20]
	v_cndmask_b32_e32 v43, 0, v23, vcc
	v_add_f64 v[17:18], v[17:18], v[19:20]
	v_add_f64 v[19:20], v[21:22], -v[42:43]
	v_add_f64 v[21:22], v[19:20], v[17:18]
	v_mul_f64 v[23:24], v[21:22], s[2:3]
	v_add_f64 v[19:20], v[21:22], -v[19:20]
	v_fma_f64 v[28:29], v[21:22], s[2:3], -v[23:24]
	v_add_f64 v[17:18], v[17:18], -v[19:20]
	v_fma_f64 v[19:20], v[21:22], s[12:13], v[28:29]
	v_addc_co_u32_e32 v28, vcc, 0, v45, vcc
	v_fma_f64 v[19:20], v[17:18], s[2:3], v[19:20]
	v_add_f64 v[17:18], v[23:24], v[19:20]
	v_add_f64 v[21:22], v[17:18], -v[23:24]
	v_add_f64 v[19:20], v[19:20], -v[21:22]
.LBB3_11:
	s_andn2_saveexec_b64 s[0:1], s[0:1]
	s_cbranch_execz .LBB3_13
; %bb.12:
	s_mov_b32 s2, 0x6dc9c883
	s_mov_b32 s3, 0x3fe45f30
	v_mul_f64 v[17:18], |v[1:2]|, s[2:3]
	s_mov_b32 s2, 0x54442d18
	s_mov_b32 s3, 0xbff921fb
	;; [unrolled: 1-line block ×4, first 2 shown]
	v_rndne_f64_e32 v[21:22], v[17:18]
	v_fma_f64 v[17:18], v[21:22], s[2:3], |v[1:2]|
	v_mul_f64 v[19:20], v[21:22], s[12:13]
	s_mov_b32 s2, 0x252049c0
	s_mov_b32 s3, 0xb97b839a
	v_fma_f64 v[30:31], v[21:22], s[12:13], v[17:18]
	v_add_f64 v[23:24], v[17:18], v[19:20]
	s_mov_b32 s13, 0x3c91a626
	v_add_f64 v[28:29], v[17:18], -v[23:24]
	v_add_f64 v[23:24], v[23:24], -v[30:31]
	v_add_f64 v[17:18], v[28:29], v[19:20]
	v_fma_f64 v[19:20], v[21:22], s[12:13], v[19:20]
	v_cvt_i32_f64_e32 v28, v[21:22]
	v_add_f64 v[17:18], v[23:24], v[17:18]
	v_add_f64 v[17:18], v[17:18], -v[19:20]
	v_fma_f64 v[19:20], v[21:22], s[2:3], v[17:18]
	v_add_f64 v[17:18], v[30:31], v[19:20]
	v_add_f64 v[23:24], v[17:18], -v[30:31]
	v_add_f64 v[19:20], v[19:20], -v[23:24]
.LBB3_13:
	s_or_b64 exec, exec, s[0:1]
	s_mov_b32 s0, 0
	s_mov_b32 s1, 0x41d00000
	v_cmp_nlt_f64_e64 s[0:1], |v[3:4]|, s[0:1]
                                        ; implicit-def: $vgpr29
                                        ; implicit-def: $vgpr21_vgpr22
                                        ; implicit-def: $vgpr23_vgpr24
	s_and_saveexec_b64 s[2:3], s[0:1]
	s_xor_b64 s[2:3], exec, s[2:3]
	s_cbranch_execz .LBB3_15
; %bb.14:
	v_trig_preop_f64 v[21:22], |v[3:4]|, 0
	s_mov_b32 s0, 0
	s_mov_b32 s1, 0x7b000000
	s_movk_i32 s5, 0xff80
	v_ldexp_f64 v[29:30], |v[3:4]|, s5
	v_cmp_ge_f64_e64 vcc, |v[3:4]|, s[0:1]
	v_trig_preop_f64 v[23:24], |v[3:4]|, 1
	v_and_b32_e32 v31, 0x7fffffff, v4
	v_trig_preop_f64 v[37:38], |v[3:4]|, 2
	s_mov_b32 s0, 0
	s_mov_b32 s1, 0x7ff00000
	v_mov_b32_e32 v48, 0x40100000
	v_mov_b32_e32 v47, 0
	v_cndmask_b32_e32 v30, v31, v30, vcc
	v_cndmask_b32_e32 v29, v3, v29, vcc
	s_mov_b32 s12, 0x33145c07
	v_mul_f64 v[31:32], v[21:22], v[29:30]
	s_mov_b32 s13, 0x3c91a626
	v_mul_f64 v[33:34], v[23:24], v[29:30]
	v_mul_f64 v[43:44], v[37:38], v[29:30]
	v_fma_f64 v[21:22], v[21:22], v[29:30], -v[31:32]
	v_fma_f64 v[23:24], v[23:24], v[29:30], -v[33:34]
	;; [unrolled: 1-line block ×3, first 2 shown]
	v_add_f64 v[35:36], v[33:34], v[21:22]
	v_add_f64 v[39:40], v[35:36], -v[33:34]
	v_add_f64 v[45:46], v[31:32], v[35:36]
	v_add_f64 v[41:42], v[35:36], -v[39:40]
	v_add_f64 v[21:22], v[21:22], -v[39:40]
	v_add_f64 v[39:40], v[43:44], v[23:24]
	v_add_f64 v[31:32], v[45:46], -v[31:32]
	v_add_f64 v[33:34], v[33:34], -v[41:42]
	v_ldexp_f64 v[41:42], v[45:46], -2
	v_add_f64 v[49:50], v[39:40], -v[43:44]
	v_add_f64 v[31:32], v[35:36], -v[31:32]
	v_add_f64 v[21:22], v[21:22], v[33:34]
	v_fract_f64_e32 v[33:34], v[41:42]
	v_cmp_neq_f64_e64 vcc, |v[41:42]|, s[0:1]
	v_add_f64 v[23:24], v[23:24], -v[49:50]
	v_add_f64 v[35:36], v[39:40], v[21:22]
	v_ldexp_f64 v[33:34], v[33:34], 2
	v_add_f64 v[41:42], v[31:32], v[35:36]
	v_cndmask_b32_e32 v34, 0, v34, vcc
	v_cndmask_b32_e32 v33, 0, v33, vcc
	v_add_f64 v[51:52], v[35:36], -v[39:40]
	v_add_f64 v[45:46], v[41:42], v[33:34]
	v_add_f64 v[31:32], v[41:42], -v[31:32]
	v_add_f64 v[53:54], v[35:36], -v[51:52]
	;; [unrolled: 1-line block ×3, first 2 shown]
	v_cmp_gt_f64_e32 vcc, 0, v[45:46]
	v_add_f64 v[45:46], v[39:40], -v[49:50]
	v_add_f64 v[31:32], v[35:36], -v[31:32]
	;; [unrolled: 1-line block ×3, first 2 shown]
	v_cndmask_b32_e32 v48, 0, v48, vcc
	v_add_f64 v[33:34], v[33:34], v[47:48]
	v_add_f64 v[45:46], v[43:44], -v[45:46]
	v_add_f64 v[21:22], v[21:22], v[39:40]
	v_add_f64 v[55:56], v[41:42], v[33:34]
	;; [unrolled: 1-line block ×3, first 2 shown]
	v_cvt_i32_f64_e32 v50, v[55:56]
	v_add_f64 v[21:22], v[23:24], v[21:22]
	v_cvt_f64_i32_e32 v[48:49], v50
	v_add_f64 v[33:34], v[33:34], -v[48:49]
	v_add_f64 v[21:22], v[29:30], v[21:22]
	v_add_f64 v[23:24], v[41:42], v[33:34]
	;; [unrolled: 1-line block ×3, first 2 shown]
	v_mov_b32_e32 v32, 0x3ff00000
	v_add_f64 v[29:30], v[23:24], -v[33:34]
	v_cmp_le_f64_e32 vcc, 0.5, v[23:24]
	v_add_f64 v[30:31], v[41:42], -v[29:30]
	v_cndmask_b32_e32 v48, 0, v32, vcc
	v_add_f64 v[23:24], v[23:24], -v[47:48]
	v_addc_co_u32_e64 v29, s[0:1], 0, v50, vcc
	s_mov_b32 s0, 0x54442d18
	s_mov_b32 s1, 0x3ff921fb
	v_add_f64 v[21:22], v[21:22], v[30:31]
	v_add_f64 v[30:31], v[23:24], v[21:22]
	v_mul_f64 v[32:33], v[30:31], s[0:1]
	v_add_f64 v[23:24], v[30:31], -v[23:24]
	v_fma_f64 v[34:35], v[30:31], s[0:1], -v[32:33]
	v_add_f64 v[21:22], v[21:22], -v[23:24]
	v_fma_f64 v[23:24], v[30:31], s[12:13], v[34:35]
	v_fma_f64 v[23:24], v[21:22], s[0:1], v[23:24]
	v_add_f64 v[21:22], v[32:33], v[23:24]
	v_add_f64 v[30:31], v[21:22], -v[32:33]
	v_add_f64 v[23:24], v[23:24], -v[30:31]
.LBB3_15:
	s_andn2_saveexec_b64 s[0:1], s[2:3]
	s_cbranch_execz .LBB3_17
; %bb.16:
	s_mov_b32 s2, 0x6dc9c883
	s_mov_b32 s3, 0x3fe45f30
	v_mul_f64 v[21:22], |v[3:4]|, s[2:3]
	s_mov_b32 s2, 0x54442d18
	s_mov_b32 s3, 0xbff921fb
	;; [unrolled: 1-line block ×4, first 2 shown]
	v_rndne_f64_e32 v[29:30], v[21:22]
	v_fma_f64 v[21:22], v[29:30], s[2:3], |v[3:4]|
	v_mul_f64 v[23:24], v[29:30], s[12:13]
	s_mov_b32 s2, 0x252049c0
	s_mov_b32 s3, 0xb97b839a
	v_fma_f64 v[35:36], v[29:30], s[12:13], v[21:22]
	v_add_f64 v[31:32], v[21:22], v[23:24]
	s_mov_b32 s13, 0x3c91a626
	v_add_f64 v[33:34], v[21:22], -v[31:32]
	v_add_f64 v[31:32], v[31:32], -v[35:36]
	v_add_f64 v[21:22], v[33:34], v[23:24]
	v_fma_f64 v[23:24], v[29:30], s[12:13], v[23:24]
	v_add_f64 v[21:22], v[31:32], v[21:22]
	v_add_f64 v[21:22], v[21:22], -v[23:24]
	v_fma_f64 v[23:24], v[29:30], s[2:3], v[21:22]
	v_cvt_i32_f64_e32 v29, v[29:30]
	v_add_f64 v[21:22], v[35:36], v[23:24]
	v_add_f64 v[31:32], v[21:22], -v[35:36]
	v_add_f64 v[23:24], v[23:24], -v[31:32]
.LBB3_17:
	s_or_b64 exec, exec, s[0:1]
	v_mul_f64 v[30:31], v[17:18], v[17:18]
	s_mov_b32 s12, 0xb42fdfa7
	s_mov_b32 s13, 0xbe5ae600
	;; [unrolled: 1-line block ×3, first 2 shown]
	v_mov_b32_e32 v33, s13
	s_mov_b32 s3, 0x3de5e0b2
	v_mov_b32_e32 v32, s12
	s_mov_b32 s14, 0x9037ab78
	v_fma_f64 v[34:35], v[30:31], s[2:3], v[32:33]
	s_mov_b32 s15, 0x3e21eeb6
	s_mov_b32 s0, 0x796cde01
	;; [unrolled: 1-line block ×3, first 2 shown]
	v_mov_b32_e32 v37, s15
	s_mov_b32 s1, 0x3ec71de3
	s_mov_b32 s13, 0xbda907db
	v_mov_b32_e32 v36, s14
	v_fma_f64 v[38:39], v[30:31], s[12:13], v[36:37]
	v_mul_f64 v[40:41], v[30:31], 0.5
	v_fma_f64 v[34:35], v[30:31], v[34:35], s[0:1]
	s_mov_b32 s14, 0x19e83e5c
	s_mov_b32 s16, 0xa17f65f6
	s_mov_b32 s15, 0xbf2a01a0
	s_mov_b32 s17, 0xbe927e4f
	v_mul_f64 v[46:47], v[13:14], v[13:14]
	v_fma_f64 v[38:39], v[30:31], v[38:39], s[16:17]
	v_add_f64 v[44:45], -v[40:41], 1.0
	v_fma_f64 v[34:35], v[30:31], v[34:35], s[14:15]
	s_mov_b32 s18, 0x11110bb3
	s_mov_b32 s20, 0x19f4ec90
	;; [unrolled: 1-line block ×4, first 2 shown]
	v_mul_f64 v[42:43], v[17:18], -v[30:31]
	v_fma_f64 v[38:39], v[30:31], v[38:39], s[20:21]
	v_mul_f64 v[48:49], v[19:20], 0.5
	v_add_f64 v[50:51], -v[44:45], 1.0
	v_fma_f64 v[34:35], v[30:31], v[34:35], s[18:19]
	v_fma_f64 v[52:53], v[46:47], s[2:3], v[32:33]
	s_mov_b32 s24, 0x16c16967
	s_mov_b32 s25, 0xbf56c16c
	v_mul_f64 v[54:55], v[46:47], 0.5
	v_fma_f64 v[38:39], v[30:31], v[38:39], s[24:25]
	s_mov_b32 s22, 0x55555555
	v_add_f64 v[40:41], v[50:51], -v[40:41]
	v_fma_f64 v[34:35], v[42:43], v[34:35], v[48:49]
	v_fma_f64 v[50:51], v[46:47], v[52:53], s[0:1]
	v_fma_f64 v[52:53], v[46:47], s[12:13], v[36:37]
	s_mov_b32 s23, 0xbfc55555
	s_mov_b32 s27, 0x3fa55555
	;; [unrolled: 1-line block ×3, first 2 shown]
	v_mul_f64 v[48:49], v[30:31], v[30:31]
	v_fma_f64 v[38:39], v[30:31], v[38:39], s[26:27]
	v_fma_f64 v[40:41], v[17:18], -v[19:20], v[40:41]
	v_fma_f64 v[19:20], v[30:31], v[34:35], -v[19:20]
	v_fma_f64 v[30:31], v[46:47], v[50:51], s[14:15]
	v_fma_f64 v[34:35], v[46:47], v[52:53], s[16:17]
	v_add_f64 v[50:51], -v[54:55], 1.0
	s_movk_i32 s5, 0x1f8
	v_mul_f64 v[52:53], v[23:24], 0.5
	v_mov_b32_e32 v56, 0x7ff80000
	v_fma_f64 v[38:39], v[48:49], v[38:39], v[40:41]
	v_fma_f64 v[19:20], v[42:43], s[22:23], v[19:20]
	v_mul_f64 v[40:41], v[15:16], 0.5
	v_mul_f64 v[42:43], v[13:14], -v[46:47]
	v_fma_f64 v[30:31], v[46:47], v[30:31], s[18:19]
	v_fma_f64 v[34:35], v[46:47], v[34:35], s[20:21]
	v_add_f64 v[48:49], -v[50:51], 1.0
	v_add_f64 v[38:39], v[44:45], v[38:39]
	v_add_f64 v[17:18], v[17:18], -v[19:20]
	v_mul_f64 v[19:20], v[9:10], v[9:10]
	v_and_b32_e32 v44, 1, v28
	v_fma_f64 v[30:31], v[42:43], v[30:31], v[40:41]
	v_fma_f64 v[34:35], v[46:47], v[34:35], s[24:25]
	v_add_f64 v[40:41], v[48:49], -v[54:55]
	v_lshlrev_b32_e32 v28, 30, v28
	v_cmp_eq_u32_e32 vcc, 0, v44
	v_cndmask_b32_e32 v44, v38, v17, vcc
	v_xor_b32_e32 v17, v28, v2
	v_cndmask_b32_e32 v45, v39, v18, vcc
	v_and_b32_e32 v28, 0x80000000, v17
	v_fma_f64 v[17:18], v[46:47], v[30:31], -v[15:16]
	v_mul_f64 v[30:31], v[46:47], v[46:47]
	v_fma_f64 v[34:35], v[46:47], v[34:35], s[26:27]
	v_fma_f64 v[38:39], v[19:20], s[2:3], v[32:33]
	v_fma_f64 v[15:16], v[13:14], -v[15:16], v[40:41]
	v_mul_f64 v[40:41], v[21:22], v[21:22]
	v_cmp_class_f64_e64 vcc, v[1:2], s5
	v_xor_b32_e32 v28, v45, v28
	v_fma_f64 v[17:18], v[42:43], s[22:23], v[17:18]
	v_mul_f64 v[46:47], v[11:12], 0.5
	v_mul_f64 v[54:55], v[19:20], v[19:20]
	v_fma_f64 v[38:39], v[19:20], v[38:39], s[0:1]
	v_fma_f64 v[15:16], v[30:31], v[34:35], v[15:16]
	;; [unrolled: 1-line block ×3, first 2 shown]
	v_mul_f64 v[34:35], v[19:20], 0.5
	v_fma_f64 v[32:33], v[40:41], s[2:3], v[32:33]
	v_add_f64 v[13:14], v[13:14], -v[17:18]
	v_mul_f64 v[42:43], v[40:41], 0.5
	v_fma_f64 v[36:37], v[40:41], s[12:13], v[36:37]
	v_fma_f64 v[17:18], v[19:20], v[38:39], s[14:15]
	v_cndmask_b32_e32 v1, 0, v44, vcc
	v_fma_f64 v[30:31], v[19:20], v[30:31], s[16:17]
	v_add_f64 v[38:39], -v[34:35], 1.0
	v_fma_f64 v[32:33], v[40:41], v[32:33], s[0:1]
	v_add_f64 v[15:16], v[50:51], v[15:16]
	v_mul_f64 v[44:45], v[9:10], -v[19:20]
	v_add_f64 v[50:51], -v[42:43], 1.0
	v_fma_f64 v[17:18], v[19:20], v[17:18], s[18:19]
	v_fma_f64 v[36:37], v[40:41], v[36:37], s[16:17]
	;; [unrolled: 1-line block ×3, first 2 shown]
	v_add_f64 v[48:49], -v[38:39], 1.0
	v_fma_f64 v[32:33], v[40:41], v[32:33], s[14:15]
	v_cndmask_b32_e32 v2, v56, v28, vcc
	v_and_b32_e32 v28, 1, v27
	v_cmp_eq_u32_e32 vcc, 0, v28
	v_fma_f64 v[17:18], v[44:45], v[17:18], v[46:47]
	v_add_f64 v[46:47], -v[50:51], 1.0
	v_fma_f64 v[30:31], v[19:20], v[30:31], s[24:25]
	v_add_f64 v[34:35], v[48:49], -v[34:35]
	v_fma_f64 v[36:37], v[40:41], v[36:37], s[20:21]
	v_fma_f64 v[32:33], v[40:41], v[32:33], s[18:19]
	v_mul_f64 v[48:49], v[21:22], -v[40:41]
	v_cndmask_b32_e32 v28, v15, v13, vcc
	v_fma_f64 v[17:18], v[19:20], v[17:18], -v[11:12]
	v_cmp_class_f64_e64 s[0:1], v[7:8], s5
	v_fma_f64 v[19:20], v[19:20], v[30:31], s[26:27]
	v_fma_f64 v[11:12], v[9:10], -v[11:12], v[34:35]
	v_fma_f64 v[30:31], v[40:41], v[36:37], s[24:25]
	v_add_f64 v[34:35], v[46:47], -v[42:43]
	v_fma_f64 v[32:33], v[48:49], v[32:33], v[52:53]
	v_cndmask_b32_e32 v7, v16, v14, vcc
	v_fma_f64 v[13:14], v[44:45], s[22:23], v[17:18]
	v_mul_f64 v[15:16], v[40:41], v[40:41]
	v_lshlrev_b32_e32 v27, 30, v27
	v_fma_f64 v[11:12], v[54:55], v[19:20], v[11:12]
	v_fma_f64 v[17:18], v[40:41], v[30:31], s[26:27]
	v_fma_f64 v[19:20], v[21:22], -v[23:24], v[34:35]
	v_fma_f64 v[23:24], v[40:41], v[32:33], -v[23:24]
	v_xor_b32_e32 v8, v27, v8
	v_add_f64 v[9:10], v[9:10], -v[13:14]
	v_and_b32_e32 v8, 0x80000000, v8
	v_xor_b32_e32 v8, v7, v8
	v_add_f64 v[11:12], v[38:39], v[11:12]
	v_cndmask_b32_e64 v7, 0, v28, s[0:1]
	v_fma_f64 v[13:14], v[15:16], v[17:18], v[19:20]
	v_fma_f64 v[15:16], v[48:49], s[22:23], v[23:24]
	v_and_b32_e32 v17, 1, v26
	v_cmp_eq_u32_e32 vcc, 0, v17
	v_cndmask_b32_e64 v8, v56, v8, s[0:1]
	v_cmp_class_f64_e64 s[0:1], v[5:6], s5
	v_cndmask_b32_e32 v17, v11, v9, vcc
	v_cndmask_b32_e32 v5, v12, v10, vcc
	v_add_f64 v[9:10], v[50:51], v[13:14]
	v_add_f64 v[11:12], v[21:22], -v[15:16]
	v_cmp_class_f64_e64 s[2:3], v[3:4], s5
	v_lshlrev_b32_e32 v13, 30, v26
	v_xor_b32_e32 v6, v13, v6
	v_and_b32_e32 v13, 1, v29
	v_and_b32_e32 v6, 0x80000000, v6
	v_cmp_eq_u32_e32 vcc, 0, v13
	v_xor_b32_e32 v6, v5, v6
	v_cndmask_b32_e32 v3, v10, v12, vcc
	v_lshlrev_b32_e32 v10, 30, v29
	v_cndmask_b32_e64 v5, 0, v17, s[0:1]
	v_cndmask_b32_e64 v6, v56, v6, s[0:1]
	v_xor_b32_e32 v4, v10, v4
	s_add_u32 s0, s8, s6
	v_cndmask_b32_e32 v9, v9, v11, vcc
	v_and_b32_e32 v4, 0x80000000, v4
	s_addc_u32 s1, s9, s7
	v_xor_b32_e32 v4, v3, v4
	v_cndmask_b32_e64 v3, 0, v9, s[2:3]
	v_mov_b32_e32 v9, s1
	v_add_co_u32_e32 v10, vcc, s0, v25
	v_addc_co_u32_e32 v9, vcc, 0, v9, vcc
	global_store_dwordx4 v25, v[5:8], s[0:1]
	v_cndmask_b32_e64 v4, v56, v4, s[2:3]
	v_add_co_u32_e32 v5, vcc, 0x1000, v10
	v_addc_co_u32_e32 v6, vcc, 0, v9, vcc
	s_mov_b64 s[0:1], 0
	global_store_dwordx4 v[5:6], v[1:4], off
.LBB3_18:
	s_and_b64 vcc, exec, s[0:1]
	s_cbranch_vccz .LBB3_51
; %bb.19:
	v_mov_b32_e32 v10, 0
	v_mov_b32_e32 v16, 0
	v_cmp_gt_i32_e32 vcc, s28, v0
	v_mov_b32_e32 v11, 0
	v_or_b32_e32 v1, s4, v0
	v_mov_b32_e32 v17, 0
	v_mov_b32_e32 v6, v0
	s_and_saveexec_b64 s[2:3], vcc
	s_cbranch_execz .LBB3_21
; %bb.20:
	v_mov_b32_e32 v2, 0
	v_lshlrev_b64 v[2:3], 3, v[1:2]
	v_mov_b32_e32 v4, s11
	v_add_co_u32_e64 v2, s[0:1], s10, v2
	v_addc_co_u32_e64 v3, s[0:1], v4, v3, s[0:1]
	global_load_dwordx2 v[16:17], v[2:3], off
	v_or_b32_e32 v6, 0x100, v0
.LBB3_21:
	s_or_b64 exec, exec, s[2:3]
	v_cmp_gt_i32_e64 s[0:1], s28, v6
	s_and_saveexec_b64 s[2:3], s[0:1]
	s_cbranch_execz .LBB3_23
; %bb.22:
	v_add_u32_e32 v2, s4, v6
	v_mov_b32_e32 v3, 0
	v_lshlrev_b64 v[2:3], 3, v[2:3]
	v_mov_b32_e32 v4, s11
	v_add_co_u32_e64 v2, s[0:1], s10, v2
	v_addc_co_u32_e64 v3, s[0:1], v4, v3, s[0:1]
	global_load_dwordx2 v[10:11], v[2:3], off
	v_add_u32_e32 v6, 0x100, v6
.LBB3_23:
	s_or_b64 exec, exec, s[2:3]
	v_mov_b32_e32 v2, 0
	v_mov_b32_e32 v4, 0
	;; [unrolled: 1-line block ×4, first 2 shown]
	v_cmp_gt_i32_e64 s[0:1], s28, v6
	s_and_saveexec_b64 s[2:3], s[0:1]
	s_cbranch_execz .LBB3_25
; %bb.24:
	v_add_u32_e32 v4, s4, v6
	v_mov_b32_e32 v5, 0
	v_lshlrev_b64 v[4:5], 3, v[4:5]
	v_mov_b32_e32 v7, s11
	v_add_co_u32_e64 v4, s[0:1], s10, v4
	v_addc_co_u32_e64 v5, s[0:1], v7, v5, s[0:1]
	global_load_dwordx2 v[4:5], v[4:5], off
	v_add_u32_e32 v6, 0x100, v6
.LBB3_25:
	s_or_b64 exec, exec, s[2:3]
	v_cmp_gt_i32_e64 s[0:1], s28, v6
	s_and_saveexec_b64 s[2:3], s[0:1]
	s_cbranch_execz .LBB3_27
; %bb.26:
	v_add_u32_e32 v2, s4, v6
	v_mov_b32_e32 v3, 0
	v_lshlrev_b64 v[2:3], 3, v[2:3]
	v_mov_b32_e32 v6, s11
	v_add_co_u32_e64 v2, s[0:1], s10, v2
	v_addc_co_u32_e64 v3, s[0:1], v6, v3, s[0:1]
	global_load_dwordx2 v[2:3], v[2:3], off
.LBB3_27:
	s_or_b64 exec, exec, s[2:3]
	v_mov_b32_e32 v6, 0
	v_mov_b32_e32 v7, v6
	;; [unrolled: 1-line block ×8, first 2 shown]
	s_and_saveexec_b64 s[6:7], vcc
	s_cbranch_execz .LBB3_33
; %bb.28:
	s_mov_b32 s0, 0
	s_mov_b32 s1, 0x41d00000
	s_waitcnt vmcnt(0)
	v_cmp_nlt_f64_e64 s[0:1], |v[16:17]|, s[0:1]
                                        ; implicit-def: $vgpr12
                                        ; implicit-def: $vgpr6_vgpr7
                                        ; implicit-def: $vgpr8_vgpr9
	s_and_saveexec_b64 s[2:3], s[0:1]
	s_xor_b64 s[10:11], exec, s[2:3]
	s_cbranch_execz .LBB3_30
; %bb.29:
	v_trig_preop_f64 v[6:7], |v[16:17]|, 0
	s_mov_b32 s0, 0
	s_mov_b32 s1, 0x7b000000
	s_movk_i32 s2, 0xff80
	v_ldexp_f64 v[12:13], |v[16:17]|, s2
	v_cmp_ge_f64_e64 s[0:1], |v[16:17]|, s[0:1]
	v_trig_preop_f64 v[8:9], |v[16:17]|, 1
	v_and_b32_e32 v14, 0x7fffffff, v17
	v_trig_preop_f64 v[22:23], |v[16:17]|, 2
	v_mov_b32_e32 v33, 0x40100000
	v_mov_b32_e32 v32, 0
	v_cndmask_b32_e64 v13, v14, v13, s[0:1]
	v_cndmask_b32_e64 v12, v16, v12, s[0:1]
	s_mov_b32 s0, 0
	v_mul_f64 v[14:15], v[6:7], v[12:13]
	s_mov_b32 s1, 0x7ff00000
	v_mul_f64 v[18:19], v[8:9], v[12:13]
	v_mul_f64 v[28:29], v[22:23], v[12:13]
	v_fma_f64 v[6:7], v[6:7], v[12:13], -v[14:15]
	v_fma_f64 v[8:9], v[8:9], v[12:13], -v[18:19]
	;; [unrolled: 1-line block ×3, first 2 shown]
	v_add_f64 v[20:21], v[18:19], v[6:7]
	v_add_f64 v[24:25], v[20:21], -v[18:19]
	v_add_f64 v[30:31], v[14:15], v[20:21]
	v_add_f64 v[26:27], v[20:21], -v[24:25]
	v_add_f64 v[6:7], v[6:7], -v[24:25]
	v_add_f64 v[24:25], v[28:29], v[8:9]
	v_add_f64 v[14:15], v[30:31], -v[14:15]
	v_add_f64 v[18:19], v[18:19], -v[26:27]
	v_ldexp_f64 v[26:27], v[30:31], -2
	v_add_f64 v[34:35], v[24:25], -v[28:29]
	v_add_f64 v[14:15], v[20:21], -v[14:15]
	v_add_f64 v[6:7], v[6:7], v[18:19]
	v_fract_f64_e32 v[18:19], v[26:27]
	v_cmp_neq_f64_e64 s[0:1], |v[26:27]|, s[0:1]
	v_add_f64 v[8:9], v[8:9], -v[34:35]
	v_add_f64 v[20:21], v[24:25], v[6:7]
	v_ldexp_f64 v[18:19], v[18:19], 2
	v_add_f64 v[26:27], v[14:15], v[20:21]
	v_cndmask_b32_e64 v19, 0, v19, s[0:1]
	v_cndmask_b32_e64 v18, 0, v18, s[0:1]
	v_add_f64 v[36:37], v[20:21], -v[24:25]
	v_add_f64 v[30:31], v[26:27], v[18:19]
	v_add_f64 v[14:15], v[26:27], -v[14:15]
	v_add_f64 v[38:39], v[20:21], -v[36:37]
	;; [unrolled: 1-line block ×3, first 2 shown]
	v_cmp_gt_f64_e64 s[0:1], 0, v[30:31]
	v_add_f64 v[30:31], v[24:25], -v[34:35]
	v_add_f64 v[14:15], v[20:21], -v[14:15]
	;; [unrolled: 1-line block ×3, first 2 shown]
	v_cndmask_b32_e64 v33, 0, v33, s[0:1]
	v_add_f64 v[18:19], v[18:19], v[32:33]
	v_add_f64 v[30:31], v[28:29], -v[30:31]
	v_add_f64 v[6:7], v[6:7], v[24:25]
	v_add_f64 v[40:41], v[26:27], v[18:19]
	;; [unrolled: 1-line block ×3, first 2 shown]
	v_cvt_i32_f64_e32 v35, v[40:41]
	v_add_f64 v[6:7], v[8:9], v[6:7]
	v_cvt_f64_i32_e32 v[33:34], v35
	v_add_f64 v[18:19], v[18:19], -v[33:34]
	v_add_f64 v[6:7], v[12:13], v[6:7]
	v_add_f64 v[8:9], v[26:27], v[18:19]
	;; [unrolled: 1-line block ×3, first 2 shown]
	v_mov_b32_e32 v15, 0x3ff00000
	v_add_f64 v[12:13], v[8:9], -v[18:19]
	v_cmp_le_f64_e64 s[0:1], 0.5, v[8:9]
	v_add_f64 v[13:14], v[26:27], -v[12:13]
	v_cndmask_b32_e64 v33, 0, v15, s[0:1]
	v_add_f64 v[8:9], v[8:9], -v[32:33]
	v_addc_co_u32_e64 v12, s[2:3], 0, v35, s[0:1]
	s_mov_b32 s0, 0x54442d18
	s_mov_b32 s1, 0x3ff921fb
	;; [unrolled: 1-line block ×3, first 2 shown]
	v_add_f64 v[6:7], v[6:7], v[13:14]
	s_mov_b32 s3, 0x3c91a626
	v_add_f64 v[13:14], v[8:9], v[6:7]
	v_mul_f64 v[18:19], v[13:14], s[0:1]
	v_add_f64 v[8:9], v[13:14], -v[8:9]
	v_fma_f64 v[20:21], v[13:14], s[0:1], -v[18:19]
	v_add_f64 v[6:7], v[6:7], -v[8:9]
	v_fma_f64 v[8:9], v[13:14], s[2:3], v[20:21]
	v_fma_f64 v[8:9], v[6:7], s[0:1], v[8:9]
	v_add_f64 v[6:7], v[18:19], v[8:9]
	v_add_f64 v[13:14], v[6:7], -v[18:19]
	v_add_f64 v[8:9], v[8:9], -v[13:14]
.LBB3_30:
	s_andn2_saveexec_b64 s[0:1], s[10:11]
	s_cbranch_execz .LBB3_32
; %bb.31:
	s_mov_b32 s2, 0x6dc9c883
	s_mov_b32 s3, 0x3fe45f30
	v_mul_f64 v[6:7], |v[16:17]|, s[2:3]
	s_mov_b32 s2, 0x54442d18
	s_mov_b32 s3, 0xbff921fb
	;; [unrolled: 1-line block ×4, first 2 shown]
	v_rndne_f64_e32 v[12:13], v[6:7]
	v_fma_f64 v[6:7], v[12:13], s[2:3], |v[16:17]|
	v_mul_f64 v[8:9], v[12:13], s[10:11]
	s_mov_b32 s2, 0x252049c0
	s_mov_b32 s3, 0xb97b839a
	v_fma_f64 v[20:21], v[12:13], s[10:11], v[6:7]
	v_add_f64 v[14:15], v[6:7], v[8:9]
	s_mov_b32 s11, 0x3c91a626
	v_add_f64 v[18:19], v[6:7], -v[14:15]
	v_add_f64 v[14:15], v[14:15], -v[20:21]
	v_add_f64 v[6:7], v[18:19], v[8:9]
	v_fma_f64 v[8:9], v[12:13], s[10:11], v[8:9]
	v_add_f64 v[6:7], v[14:15], v[6:7]
	v_add_f64 v[6:7], v[6:7], -v[8:9]
	v_fma_f64 v[8:9], v[12:13], s[2:3], v[6:7]
	v_cvt_i32_f64_e32 v12, v[12:13]
	v_add_f64 v[6:7], v[20:21], v[8:9]
	v_add_f64 v[14:15], v[6:7], -v[20:21]
	v_add_f64 v[8:9], v[8:9], -v[14:15]
.LBB3_32:
	s_or_b64 exec, exec, s[0:1]
	v_mul_f64 v[13:14], v[6:7], v[6:7]
	s_mov_b32 s0, 0xf9a43bb8
	v_mov_b32_e32 v19, 0xb42fdfa7
	v_mov_b32_e32 v20, 0xbe5ae600
	s_mov_b32 s1, 0x3de5e0b2
	s_mov_b32 s2, 0x796cde01
	v_mov_b32_e32 v18, 0x9037ab78
	s_mov_b32 s3, 0x3ec71de3
	v_fma_f64 v[20:21], v[13:14], s[0:1], v[19:20]
	s_mov_b32 s0, 0x46cc5e42
	v_mov_b32_e32 v19, 0x3e21eeb6
	s_mov_b32 s1, 0xbda907db
	v_fma_f64 v[18:19], v[13:14], s[0:1], v[18:19]
	v_mul_f64 v[22:23], v[13:14], 0.5
	s_mov_b32 s0, 0xa17f65f6
	s_mov_b32 s10, 0x19e83e5c
	v_fma_f64 v[20:21], v[13:14], v[20:21], s[2:3]
	s_mov_b32 s1, 0xbe927e4f
	s_mov_b32 s11, 0xbf2a01a0
	;; [unrolled: 1-line block ×3, first 2 shown]
	v_fma_f64 v[18:19], v[13:14], v[18:19], s[0:1]
	v_add_f64 v[24:25], -v[22:23], 1.0
	s_mov_b32 s0, 0x11110bb3
	s_mov_b32 s3, 0x3efa01a0
	v_fma_f64 v[20:21], v[13:14], v[20:21], s[10:11]
	s_mov_b32 s1, 0x3f811111
	v_mul_f64 v[26:27], v[8:9], 0.5
	v_mul_f64 v[28:29], v[6:7], -v[13:14]
	v_fma_f64 v[18:19], v[13:14], v[18:19], s[2:3]
	v_add_f64 v[30:31], -v[24:25], 1.0
	s_movk_i32 s2, 0x1f8
	v_cmp_class_f64_e64 s[2:3], v[16:17], s2
	v_fma_f64 v[20:21], v[13:14], v[20:21], s[0:1]
	s_mov_b32 s0, 0x16c16967
	s_mov_b32 s1, 0xbf56c16c
	v_fma_f64 v[18:19], v[13:14], v[18:19], s[0:1]
	v_add_f64 v[22:23], v[30:31], -v[22:23]
	s_mov_b32 s1, 0x3fa55555
	s_mov_b32 s0, 0x55555555
	v_fma_f64 v[20:21], v[28:29], v[20:21], v[26:27]
	v_mul_f64 v[26:27], v[13:14], v[13:14]
	v_fma_f64 v[18:19], v[13:14], v[18:19], s[0:1]
	v_fma_f64 v[22:23], v[6:7], -v[8:9], v[22:23]
	s_mov_b32 s1, 0xbfc55555
	v_fma_f64 v[8:9], v[13:14], v[20:21], -v[8:9]
	v_and_b32_e32 v20, 1, v12
	v_fma_f64 v[13:14], v[26:27], v[18:19], v[22:23]
	v_fma_f64 v[8:9], v[28:29], s[0:1], v[8:9]
	v_cmp_eq_u32_e64 s[0:1], 0, v20
	v_add_f64 v[18:19], v[24:25], v[13:14]
	v_mov_b32_e32 v14, 0
	v_mov_b32_e32 v15, v14
	v_add_f64 v[6:7], v[6:7], -v[8:9]
	v_lshlrev_b32_e32 v8, 30, v12
	v_xor_b32_e32 v21, v8, v17
	v_and_b32_e32 v16, 0x80000000, v21
	v_mov_b32_e32 v9, 0x7ff80000
	v_mov_b32_e32 v12, v14
	;; [unrolled: 1-line block ×4, first 2 shown]
	v_cndmask_b32_e64 v7, v19, v7, s[0:1]
	v_cndmask_b32_e64 v6, v18, v6, s[0:1]
	v_xor_b32_e32 v7, v7, v16
	v_cndmask_b32_e64 v6, 0, v6, s[2:3]
	v_cndmask_b32_e64 v7, v9, v7, s[2:3]
	v_mov_b32_e32 v9, v14
.LBB3_33:
	s_or_b64 exec, exec, s[6:7]
	v_or_b32_e32 v18, 0x100, v0
	v_cmp_gt_i32_e64 s[0:1], s28, v18
	s_and_saveexec_b64 s[6:7], s[0:1]
	s_cbranch_execz .LBB3_39
; %bb.34:
	s_mov_b32 s0, 0
	s_mov_b32 s1, 0x41d00000
	s_waitcnt vmcnt(0)
	v_cmp_nlt_f64_e64 s[0:1], |v[10:11]|, s[0:1]
                                        ; implicit-def: $vgpr19
                                        ; implicit-def: $vgpr14_vgpr15
                                        ; implicit-def: $vgpr16_vgpr17
	s_and_saveexec_b64 s[2:3], s[0:1]
	s_xor_b64 s[10:11], exec, s[2:3]
	s_cbranch_execz .LBB3_36
; %bb.35:
	v_trig_preop_f64 v[14:15], |v[10:11]|, 0
	s_mov_b32 s0, 0
	s_mov_b32 s1, 0x7b000000
	s_movk_i32 s2, 0xff80
	v_ldexp_f64 v[19:20], |v[10:11]|, s2
	v_cmp_ge_f64_e64 s[0:1], |v[10:11]|, s[0:1]
	v_trig_preop_f64 v[16:17], |v[10:11]|, 1
	v_and_b32_e32 v21, 0x7fffffff, v11
	v_trig_preop_f64 v[27:28], |v[10:11]|, 2
	v_mov_b32_e32 v38, 0x40100000
	v_mov_b32_e32 v37, 0
	v_cndmask_b32_e64 v20, v21, v20, s[0:1]
	v_cndmask_b32_e64 v19, v10, v19, s[0:1]
	s_mov_b32 s0, 0
	v_mul_f64 v[21:22], v[14:15], v[19:20]
	s_mov_b32 s1, 0x7ff00000
	v_mul_f64 v[23:24], v[16:17], v[19:20]
	v_mul_f64 v[33:34], v[27:28], v[19:20]
	v_fma_f64 v[14:15], v[14:15], v[19:20], -v[21:22]
	v_fma_f64 v[16:17], v[16:17], v[19:20], -v[23:24]
	;; [unrolled: 1-line block ×3, first 2 shown]
	v_add_f64 v[25:26], v[23:24], v[14:15]
	v_add_f64 v[29:30], v[25:26], -v[23:24]
	v_add_f64 v[35:36], v[21:22], v[25:26]
	v_add_f64 v[31:32], v[25:26], -v[29:30]
	v_add_f64 v[14:15], v[14:15], -v[29:30]
	v_add_f64 v[29:30], v[33:34], v[16:17]
	v_add_f64 v[21:22], v[35:36], -v[21:22]
	v_add_f64 v[23:24], v[23:24], -v[31:32]
	v_ldexp_f64 v[31:32], v[35:36], -2
	v_add_f64 v[39:40], v[29:30], -v[33:34]
	v_add_f64 v[21:22], v[25:26], -v[21:22]
	v_add_f64 v[14:15], v[14:15], v[23:24]
	v_fract_f64_e32 v[23:24], v[31:32]
	v_cmp_neq_f64_e64 s[0:1], |v[31:32]|, s[0:1]
	v_add_f64 v[16:17], v[16:17], -v[39:40]
	v_add_f64 v[25:26], v[29:30], v[14:15]
	v_ldexp_f64 v[23:24], v[23:24], 2
	v_add_f64 v[31:32], v[21:22], v[25:26]
	v_cndmask_b32_e64 v24, 0, v24, s[0:1]
	v_cndmask_b32_e64 v23, 0, v23, s[0:1]
	v_add_f64 v[41:42], v[25:26], -v[29:30]
	v_add_f64 v[35:36], v[31:32], v[23:24]
	v_add_f64 v[21:22], v[31:32], -v[21:22]
	v_add_f64 v[43:44], v[25:26], -v[41:42]
	;; [unrolled: 1-line block ×3, first 2 shown]
	v_cmp_gt_f64_e64 s[0:1], 0, v[35:36]
	v_add_f64 v[35:36], v[29:30], -v[39:40]
	v_add_f64 v[21:22], v[25:26], -v[21:22]
	;; [unrolled: 1-line block ×3, first 2 shown]
	v_cndmask_b32_e64 v38, 0, v38, s[0:1]
	v_add_f64 v[23:24], v[23:24], v[37:38]
	v_add_f64 v[35:36], v[33:34], -v[35:36]
	v_add_f64 v[14:15], v[14:15], v[29:30]
	v_add_f64 v[45:46], v[31:32], v[23:24]
	;; [unrolled: 1-line block ×3, first 2 shown]
	v_cvt_i32_f64_e32 v40, v[45:46]
	v_add_f64 v[14:15], v[16:17], v[14:15]
	v_cvt_f64_i32_e32 v[38:39], v40
	v_add_f64 v[23:24], v[23:24], -v[38:39]
	v_add_f64 v[14:15], v[19:20], v[14:15]
	v_add_f64 v[16:17], v[31:32], v[23:24]
	;; [unrolled: 1-line block ×3, first 2 shown]
	v_mov_b32_e32 v22, 0x3ff00000
	v_add_f64 v[19:20], v[16:17], -v[23:24]
	v_cmp_le_f64_e64 s[0:1], 0.5, v[16:17]
	v_add_f64 v[20:21], v[31:32], -v[19:20]
	v_cndmask_b32_e64 v38, 0, v22, s[0:1]
	v_add_f64 v[16:17], v[16:17], -v[37:38]
	v_addc_co_u32_e64 v19, s[2:3], 0, v40, s[0:1]
	s_mov_b32 s0, 0x54442d18
	s_mov_b32 s1, 0x3ff921fb
	;; [unrolled: 1-line block ×3, first 2 shown]
	v_add_f64 v[14:15], v[14:15], v[20:21]
	s_mov_b32 s3, 0x3c91a626
	v_add_f64 v[20:21], v[16:17], v[14:15]
	v_mul_f64 v[22:23], v[20:21], s[0:1]
	v_add_f64 v[16:17], v[20:21], -v[16:17]
	v_fma_f64 v[24:25], v[20:21], s[0:1], -v[22:23]
	v_add_f64 v[14:15], v[14:15], -v[16:17]
	v_fma_f64 v[16:17], v[20:21], s[2:3], v[24:25]
	v_fma_f64 v[16:17], v[14:15], s[0:1], v[16:17]
	v_add_f64 v[14:15], v[22:23], v[16:17]
	v_add_f64 v[20:21], v[14:15], -v[22:23]
	v_add_f64 v[16:17], v[16:17], -v[20:21]
.LBB3_36:
	s_andn2_saveexec_b64 s[0:1], s[10:11]
	s_cbranch_execz .LBB3_38
; %bb.37:
	s_mov_b32 s2, 0x6dc9c883
	s_mov_b32 s3, 0x3fe45f30
	v_mul_f64 v[14:15], |v[10:11]|, s[2:3]
	s_mov_b32 s2, 0x54442d18
	s_mov_b32 s3, 0xbff921fb
	;; [unrolled: 1-line block ×4, first 2 shown]
	v_rndne_f64_e32 v[19:20], v[14:15]
	v_fma_f64 v[14:15], v[19:20], s[2:3], |v[10:11]|
	v_mul_f64 v[16:17], v[19:20], s[10:11]
	s_mov_b32 s2, 0x252049c0
	s_mov_b32 s3, 0xb97b839a
	v_fma_f64 v[25:26], v[19:20], s[10:11], v[14:15]
	v_add_f64 v[21:22], v[14:15], v[16:17]
	s_mov_b32 s11, 0x3c91a626
	v_add_f64 v[23:24], v[14:15], -v[21:22]
	v_add_f64 v[21:22], v[21:22], -v[25:26]
	v_add_f64 v[14:15], v[23:24], v[16:17]
	v_fma_f64 v[16:17], v[19:20], s[10:11], v[16:17]
	v_add_f64 v[14:15], v[21:22], v[14:15]
	v_add_f64 v[14:15], v[14:15], -v[16:17]
	v_fma_f64 v[16:17], v[19:20], s[2:3], v[14:15]
	v_cvt_i32_f64_e32 v19, v[19:20]
	v_add_f64 v[14:15], v[25:26], v[16:17]
	v_add_f64 v[21:22], v[14:15], -v[25:26]
	v_add_f64 v[16:17], v[16:17], -v[21:22]
.LBB3_38:
	s_or_b64 exec, exec, s[0:1]
	v_mul_f64 v[20:21], v[14:15], v[14:15]
	s_mov_b32 s0, 0xf9a43bb8
	v_mov_b32_e32 v23, 0xb42fdfa7
	v_mov_b32_e32 v24, 0xbe5ae600
	s_mov_b32 s1, 0x3de5e0b2
	s_mov_b32 s2, 0x796cde01
	v_mov_b32_e32 v22, 0x9037ab78
	s_mov_b32 s3, 0x3ec71de3
	v_fma_f64 v[24:25], v[20:21], s[0:1], v[23:24]
	s_mov_b32 s0, 0x46cc5e42
	v_mov_b32_e32 v23, 0x3e21eeb6
	s_mov_b32 s1, 0xbda907db
	v_fma_f64 v[22:23], v[20:21], s[0:1], v[22:23]
	v_mul_f64 v[26:27], v[20:21], 0.5
	s_mov_b32 s0, 0xa17f65f6
	s_mov_b32 s10, 0x19e83e5c
	v_fma_f64 v[24:25], v[20:21], v[24:25], s[2:3]
	s_mov_b32 s1, 0xbe927e4f
	s_mov_b32 s11, 0xbf2a01a0
	;; [unrolled: 1-line block ×3, first 2 shown]
	v_fma_f64 v[22:23], v[20:21], v[22:23], s[0:1]
	v_add_f64 v[28:29], -v[26:27], 1.0
	s_mov_b32 s0, 0x11110bb3
	s_mov_b32 s3, 0x3efa01a0
	v_fma_f64 v[24:25], v[20:21], v[24:25], s[10:11]
	s_mov_b32 s1, 0x3f811111
	v_mul_f64 v[30:31], v[16:17], 0.5
	v_mul_f64 v[32:33], v[14:15], -v[20:21]
	v_fma_f64 v[22:23], v[20:21], v[22:23], s[2:3]
	v_add_f64 v[34:35], -v[28:29], 1.0
	s_movk_i32 s2, 0x1f8
	v_fma_f64 v[24:25], v[20:21], v[24:25], s[0:1]
	s_mov_b32 s0, 0x16c16967
	s_mov_b32 s1, 0xbf56c16c
	v_fma_f64 v[22:23], v[20:21], v[22:23], s[0:1]
	v_add_f64 v[26:27], v[34:35], -v[26:27]
	s_mov_b32 s1, 0x3fa55555
	s_mov_b32 s0, 0x55555555
	v_fma_f64 v[24:25], v[32:33], v[24:25], v[30:31]
	v_mul_f64 v[30:31], v[20:21], v[20:21]
	v_fma_f64 v[22:23], v[20:21], v[22:23], s[0:1]
	v_fma_f64 v[26:27], v[14:15], -v[16:17], v[26:27]
	s_mov_b32 s1, 0xbfc55555
	v_fma_f64 v[16:17], v[20:21], v[24:25], -v[16:17]
	v_fma_f64 v[20:21], v[30:31], v[22:23], v[26:27]
	v_fma_f64 v[16:17], v[32:33], s[0:1], v[16:17]
	v_add_f64 v[20:21], v[28:29], v[20:21]
	v_add_f64 v[14:15], v[14:15], -v[16:17]
	v_and_b32_e32 v16, 1, v19
	v_cmp_eq_u32_e64 s[0:1], 0, v16
	v_lshlrev_b32_e32 v17, 30, v19
	v_xor_b32_e32 v17, v17, v11
	v_and_b32_e32 v17, 0x80000000, v17
	v_mov_b32_e32 v19, 0x7ff80000
	v_cndmask_b32_e64 v14, v20, v14, s[0:1]
	v_cndmask_b32_e64 v15, v21, v15, s[0:1]
	v_cmp_class_f64_e64 s[0:1], v[10:11], s2
	v_xor_b32_e32 v15, v15, v17
	v_cndmask_b32_e64 v15, v19, v15, s[0:1]
	v_cndmask_b32_e64 v14, 0, v14, s[0:1]
.LBB3_39:
	s_or_b64 exec, exec, s[6:7]
	s_waitcnt vmcnt(0)
	v_or_b32_e32 v10, 0x200, v0
	v_cmp_gt_i32_e64 s[0:1], s28, v10
	s_and_saveexec_b64 s[6:7], s[0:1]
	s_cbranch_execz .LBB3_45
; %bb.40:
	s_mov_b32 s0, 0
	s_mov_b32 s1, 0x41d00000
	v_cmp_nlt_f64_e64 s[0:1], |v[4:5]|, s[0:1]
                                        ; implicit-def: $vgpr16
                                        ; implicit-def: $vgpr10_vgpr11
                                        ; implicit-def: $vgpr12_vgpr13
	s_and_saveexec_b64 s[2:3], s[0:1]
	s_xor_b64 s[10:11], exec, s[2:3]
	s_cbranch_execz .LBB3_42
; %bb.41:
	v_trig_preop_f64 v[10:11], |v[4:5]|, 0
	s_mov_b32 s0, 0
	s_mov_b32 s1, 0x7b000000
	s_movk_i32 s2, 0xff80
	v_ldexp_f64 v[16:17], |v[4:5]|, s2
	v_cmp_ge_f64_e64 s[0:1], |v[4:5]|, s[0:1]
	v_trig_preop_f64 v[12:13], |v[4:5]|, 1
	v_and_b32_e32 v19, 0x7fffffff, v5
	v_trig_preop_f64 v[25:26], |v[4:5]|, 2
	v_mov_b32_e32 v36, 0x40100000
	v_mov_b32_e32 v35, 0
	v_cndmask_b32_e64 v17, v19, v17, s[0:1]
	v_cndmask_b32_e64 v16, v4, v16, s[0:1]
	s_mov_b32 s0, 0
	v_mul_f64 v[19:20], v[10:11], v[16:17]
	s_mov_b32 s1, 0x7ff00000
	v_mul_f64 v[21:22], v[12:13], v[16:17]
	v_mul_f64 v[31:32], v[25:26], v[16:17]
	v_fma_f64 v[10:11], v[10:11], v[16:17], -v[19:20]
	v_fma_f64 v[12:13], v[12:13], v[16:17], -v[21:22]
	;; [unrolled: 1-line block ×3, first 2 shown]
	v_add_f64 v[23:24], v[21:22], v[10:11]
	v_add_f64 v[27:28], v[23:24], -v[21:22]
	v_add_f64 v[33:34], v[19:20], v[23:24]
	v_add_f64 v[29:30], v[23:24], -v[27:28]
	v_add_f64 v[10:11], v[10:11], -v[27:28]
	v_add_f64 v[27:28], v[31:32], v[12:13]
	v_add_f64 v[19:20], v[33:34], -v[19:20]
	v_add_f64 v[21:22], v[21:22], -v[29:30]
	v_ldexp_f64 v[29:30], v[33:34], -2
	v_add_f64 v[37:38], v[27:28], -v[31:32]
	v_add_f64 v[19:20], v[23:24], -v[19:20]
	v_add_f64 v[10:11], v[10:11], v[21:22]
	v_fract_f64_e32 v[21:22], v[29:30]
	v_cmp_neq_f64_e64 s[0:1], |v[29:30]|, s[0:1]
	v_add_f64 v[12:13], v[12:13], -v[37:38]
	v_add_f64 v[23:24], v[27:28], v[10:11]
	v_ldexp_f64 v[21:22], v[21:22], 2
	v_add_f64 v[29:30], v[19:20], v[23:24]
	v_cndmask_b32_e64 v22, 0, v22, s[0:1]
	v_cndmask_b32_e64 v21, 0, v21, s[0:1]
	v_add_f64 v[39:40], v[23:24], -v[27:28]
	v_add_f64 v[33:34], v[29:30], v[21:22]
	v_add_f64 v[19:20], v[29:30], -v[19:20]
	v_add_f64 v[41:42], v[23:24], -v[39:40]
	;; [unrolled: 1-line block ×3, first 2 shown]
	v_cmp_gt_f64_e64 s[0:1], 0, v[33:34]
	v_add_f64 v[33:34], v[27:28], -v[37:38]
	v_add_f64 v[19:20], v[23:24], -v[19:20]
	;; [unrolled: 1-line block ×3, first 2 shown]
	v_cndmask_b32_e64 v36, 0, v36, s[0:1]
	v_add_f64 v[21:22], v[21:22], v[35:36]
	v_add_f64 v[33:34], v[31:32], -v[33:34]
	v_add_f64 v[10:11], v[10:11], v[27:28]
	v_add_f64 v[43:44], v[29:30], v[21:22]
	;; [unrolled: 1-line block ×3, first 2 shown]
	v_cvt_i32_f64_e32 v38, v[43:44]
	v_add_f64 v[10:11], v[12:13], v[10:11]
	v_cvt_f64_i32_e32 v[36:37], v38
	v_add_f64 v[21:22], v[21:22], -v[36:37]
	v_add_f64 v[10:11], v[16:17], v[10:11]
	v_add_f64 v[12:13], v[29:30], v[21:22]
	;; [unrolled: 1-line block ×3, first 2 shown]
	v_add_f64 v[16:17], v[12:13], -v[21:22]
	v_cmp_le_f64_e64 s[0:1], 0.5, v[12:13]
	v_add_f64 v[19:20], v[29:30], -v[16:17]
	v_mov_b32_e32 v17, 0x3ff00000
	v_cndmask_b32_e64 v36, 0, v17, s[0:1]
	v_add_f64 v[12:13], v[12:13], -v[35:36]
	v_addc_co_u32_e64 v16, s[2:3], 0, v38, s[0:1]
	s_mov_b32 s0, 0x54442d18
	s_mov_b32 s1, 0x3ff921fb
	v_add_f64 v[10:11], v[10:11], v[19:20]
	s_mov_b32 s2, 0x33145c07
	s_mov_b32 s3, 0x3c91a626
	v_add_f64 v[19:20], v[12:13], v[10:11]
	v_mul_f64 v[21:22], v[19:20], s[0:1]
	v_add_f64 v[12:13], v[19:20], -v[12:13]
	v_fma_f64 v[23:24], v[19:20], s[0:1], -v[21:22]
	v_add_f64 v[10:11], v[10:11], -v[12:13]
	v_fma_f64 v[12:13], v[19:20], s[2:3], v[23:24]
	v_fma_f64 v[12:13], v[10:11], s[0:1], v[12:13]
	v_add_f64 v[10:11], v[21:22], v[12:13]
	v_add_f64 v[19:20], v[10:11], -v[21:22]
	v_add_f64 v[12:13], v[12:13], -v[19:20]
.LBB3_42:
	s_andn2_saveexec_b64 s[0:1], s[10:11]
	s_cbranch_execz .LBB3_44
; %bb.43:
	s_mov_b32 s2, 0x6dc9c883
	s_mov_b32 s3, 0x3fe45f30
	v_mul_f64 v[10:11], |v[4:5]|, s[2:3]
	s_mov_b32 s2, 0x54442d18
	s_mov_b32 s3, 0xbff921fb
	s_mov_b32 s11, 0xbc91a626
	s_mov_b32 s10, 0x33145c00
	v_rndne_f64_e32 v[16:17], v[10:11]
	v_fma_f64 v[10:11], v[16:17], s[2:3], |v[4:5]|
	v_mul_f64 v[12:13], v[16:17], s[10:11]
	s_mov_b32 s2, 0x252049c0
	s_mov_b32 s3, 0xb97b839a
	v_fma_f64 v[23:24], v[16:17], s[10:11], v[10:11]
	v_add_f64 v[19:20], v[10:11], v[12:13]
	s_mov_b32 s11, 0x3c91a626
	v_add_f64 v[21:22], v[10:11], -v[19:20]
	v_add_f64 v[19:20], v[19:20], -v[23:24]
	v_add_f64 v[10:11], v[21:22], v[12:13]
	v_fma_f64 v[12:13], v[16:17], s[10:11], v[12:13]
	v_add_f64 v[10:11], v[19:20], v[10:11]
	v_add_f64 v[10:11], v[10:11], -v[12:13]
	v_fma_f64 v[12:13], v[16:17], s[2:3], v[10:11]
	v_cvt_i32_f64_e32 v16, v[16:17]
	v_add_f64 v[10:11], v[23:24], v[12:13]
	v_add_f64 v[19:20], v[10:11], -v[23:24]
	v_add_f64 v[12:13], v[12:13], -v[19:20]
.LBB3_44:
	s_or_b64 exec, exec, s[0:1]
	v_mul_f64 v[19:20], v[10:11], v[10:11]
	s_mov_b32 s0, 0xf9a43bb8
	v_mov_b32_e32 v22, 0xb42fdfa7
	v_mov_b32_e32 v23, 0xbe5ae600
	s_mov_b32 s1, 0x3de5e0b2
	s_mov_b32 s2, 0x796cde01
	v_mov_b32_e32 v21, 0x9037ab78
	s_mov_b32 s3, 0x3ec71de3
	v_fma_f64 v[23:24], v[19:20], s[0:1], v[22:23]
	s_mov_b32 s0, 0x46cc5e42
	v_mov_b32_e32 v22, 0x3e21eeb6
	s_mov_b32 s1, 0xbda907db
	v_fma_f64 v[21:22], v[19:20], s[0:1], v[21:22]
	v_mul_f64 v[25:26], v[19:20], 0.5
	s_mov_b32 s0, 0xa17f65f6
	s_mov_b32 s10, 0x19e83e5c
	v_fma_f64 v[23:24], v[19:20], v[23:24], s[2:3]
	s_mov_b32 s1, 0xbe927e4f
	s_mov_b32 s11, 0xbf2a01a0
	;; [unrolled: 1-line block ×3, first 2 shown]
	v_fma_f64 v[21:22], v[19:20], v[21:22], s[0:1]
	v_add_f64 v[27:28], -v[25:26], 1.0
	s_mov_b32 s0, 0x11110bb3
	s_mov_b32 s3, 0x3efa01a0
	v_fma_f64 v[23:24], v[19:20], v[23:24], s[10:11]
	s_mov_b32 s1, 0x3f811111
	v_mul_f64 v[29:30], v[12:13], 0.5
	v_mul_f64 v[31:32], v[10:11], -v[19:20]
	v_fma_f64 v[21:22], v[19:20], v[21:22], s[2:3]
	v_add_f64 v[33:34], -v[27:28], 1.0
	s_movk_i32 s2, 0x1f8
	v_fma_f64 v[23:24], v[19:20], v[23:24], s[0:1]
	s_mov_b32 s0, 0x16c16967
	s_mov_b32 s1, 0xbf56c16c
	v_fma_f64 v[21:22], v[19:20], v[21:22], s[0:1]
	v_add_f64 v[25:26], v[33:34], -v[25:26]
	s_mov_b32 s1, 0x3fa55555
	s_mov_b32 s0, 0x55555555
	v_fma_f64 v[23:24], v[31:32], v[23:24], v[29:30]
	v_mul_f64 v[29:30], v[19:20], v[19:20]
	v_fma_f64 v[21:22], v[19:20], v[21:22], s[0:1]
	v_fma_f64 v[25:26], v[10:11], -v[12:13], v[25:26]
	s_mov_b32 s1, 0xbfc55555
	v_fma_f64 v[12:13], v[19:20], v[23:24], -v[12:13]
	v_fma_f64 v[19:20], v[29:30], v[21:22], v[25:26]
	v_fma_f64 v[12:13], v[31:32], s[0:1], v[12:13]
	v_add_f64 v[19:20], v[27:28], v[19:20]
	v_add_f64 v[10:11], v[10:11], -v[12:13]
	v_and_b32_e32 v12, 1, v16
	v_cmp_eq_u32_e64 s[0:1], 0, v12
	v_lshlrev_b32_e32 v13, 30, v16
	v_xor_b32_e32 v13, v13, v5
	v_and_b32_e32 v13, 0x80000000, v13
	v_mov_b32_e32 v16, 0x7ff80000
	v_cndmask_b32_e64 v10, v19, v10, s[0:1]
	v_cndmask_b32_e64 v11, v20, v11, s[0:1]
	v_cmp_class_f64_e64 s[0:1], v[4:5], s2
	v_xor_b32_e32 v11, v11, v13
	v_cndmask_b32_e64 v13, v16, v11, s[0:1]
	v_cndmask_b32_e64 v12, 0, v10, s[0:1]
.LBB3_45:
	s_or_b64 exec, exec, s[6:7]
	v_or_b32_e32 v4, 0x300, v0
	v_cmp_gt_i32_e64 s[0:1], s28, v4
	s_and_saveexec_b64 s[6:7], s[0:1]
	s_cbranch_execnz .LBB3_52
; %bb.46:
	s_or_b64 exec, exec, s[6:7]
	s_and_saveexec_b64 s[0:1], vcc
	s_xor_b64 s[0:1], exec, s[0:1]
	s_cbranch_execnz .LBB3_57
.LBB3_47:
	s_or_b64 exec, exec, s[0:1]
	v_cmp_gt_i32_e32 vcc, s28, v0
	s_and_saveexec_b64 s[0:1], vcc
	s_cbranch_execnz .LBB3_58
.LBB3_48:
	s_or_b64 exec, exec, s[0:1]
	v_cmp_gt_i32_e32 vcc, s28, v0
	s_and_saveexec_b64 s[0:1], vcc
	s_cbranch_execnz .LBB3_59
.LBB3_49:
	s_or_b64 exec, exec, s[0:1]
	v_cmp_gt_i32_e32 vcc, s28, v0
	s_and_saveexec_b64 s[0:1], vcc
	s_cbranch_execz .LBB3_51
.LBB3_50:
	v_add_u32_e32 v0, s4, v0
	v_mov_b32_e32 v1, 0
	v_lshlrev_b64 v[0:1], 3, v[0:1]
	v_mov_b32_e32 v2, s9
	v_add_co_u32_e32 v0, vcc, s8, v0
	v_addc_co_u32_e32 v1, vcc, v2, v1, vcc
	global_store_dwordx2 v[0:1], v[8:9], off
.LBB3_51:
	s_endpgm
.LBB3_52:
	s_mov_b32 s0, 0
	s_mov_b32 s1, 0x41d00000
	v_cmp_nlt_f64_e64 s[0:1], |v[2:3]|, s[0:1]
                                        ; implicit-def: $vgpr10
                                        ; implicit-def: $vgpr4_vgpr5
                                        ; implicit-def: $vgpr8_vgpr9
	s_and_saveexec_b64 s[2:3], s[0:1]
	s_xor_b64 s[10:11], exec, s[2:3]
	s_cbranch_execz .LBB3_54
; %bb.53:
	v_trig_preop_f64 v[4:5], |v[2:3]|, 0
	s_mov_b32 s0, 0
	s_mov_b32 s1, 0x7b000000
	s_movk_i32 s2, 0xff80
	v_ldexp_f64 v[10:11], |v[2:3]|, s2
	v_cmp_ge_f64_e64 s[0:1], |v[2:3]|, s[0:1]
	v_trig_preop_f64 v[8:9], |v[2:3]|, 1
	v_and_b32_e32 v16, 0x7fffffff, v3
	v_trig_preop_f64 v[23:24], |v[2:3]|, 2
	v_mov_b32_e32 v34, 0x40100000
	v_mov_b32_e32 v33, 0
	v_cndmask_b32_e64 v11, v16, v11, s[0:1]
	v_cndmask_b32_e64 v10, v2, v10, s[0:1]
	s_mov_b32 s0, 0
	v_mul_f64 v[16:17], v[4:5], v[10:11]
	s_mov_b32 s1, 0x7ff00000
	v_mul_f64 v[19:20], v[8:9], v[10:11]
	v_mul_f64 v[29:30], v[23:24], v[10:11]
	v_fma_f64 v[4:5], v[4:5], v[10:11], -v[16:17]
	v_fma_f64 v[8:9], v[8:9], v[10:11], -v[19:20]
	;; [unrolled: 1-line block ×3, first 2 shown]
	v_add_f64 v[21:22], v[19:20], v[4:5]
	v_add_f64 v[25:26], v[21:22], -v[19:20]
	v_add_f64 v[31:32], v[16:17], v[21:22]
	v_add_f64 v[27:28], v[21:22], -v[25:26]
	v_add_f64 v[4:5], v[4:5], -v[25:26]
	v_add_f64 v[25:26], v[29:30], v[8:9]
	v_add_f64 v[16:17], v[31:32], -v[16:17]
	v_add_f64 v[19:20], v[19:20], -v[27:28]
	v_ldexp_f64 v[27:28], v[31:32], -2
	v_add_f64 v[35:36], v[25:26], -v[29:30]
	v_add_f64 v[16:17], v[21:22], -v[16:17]
	v_add_f64 v[4:5], v[4:5], v[19:20]
	v_fract_f64_e32 v[19:20], v[27:28]
	v_cmp_neq_f64_e64 s[0:1], |v[27:28]|, s[0:1]
	v_add_f64 v[8:9], v[8:9], -v[35:36]
	v_add_f64 v[21:22], v[25:26], v[4:5]
	v_ldexp_f64 v[19:20], v[19:20], 2
	v_add_f64 v[27:28], v[16:17], v[21:22]
	v_cndmask_b32_e64 v20, 0, v20, s[0:1]
	v_cndmask_b32_e64 v19, 0, v19, s[0:1]
	v_add_f64 v[37:38], v[21:22], -v[25:26]
	v_add_f64 v[31:32], v[27:28], v[19:20]
	v_add_f64 v[16:17], v[27:28], -v[16:17]
	v_add_f64 v[39:40], v[21:22], -v[37:38]
	;; [unrolled: 1-line block ×3, first 2 shown]
	v_cmp_gt_f64_e64 s[0:1], 0, v[31:32]
	v_add_f64 v[31:32], v[25:26], -v[35:36]
	v_add_f64 v[16:17], v[21:22], -v[16:17]
	;; [unrolled: 1-line block ×3, first 2 shown]
	v_cndmask_b32_e64 v34, 0, v34, s[0:1]
	v_add_f64 v[19:20], v[19:20], v[33:34]
	v_add_f64 v[31:32], v[29:30], -v[31:32]
	v_add_f64 v[4:5], v[4:5], v[25:26]
	v_add_f64 v[41:42], v[27:28], v[19:20]
	;; [unrolled: 1-line block ×3, first 2 shown]
	v_cvt_i32_f64_e32 v36, v[41:42]
	v_add_f64 v[4:5], v[8:9], v[4:5]
	v_cvt_f64_i32_e32 v[34:35], v36
	v_add_f64 v[19:20], v[19:20], -v[34:35]
	v_add_f64 v[4:5], v[10:11], v[4:5]
	v_add_f64 v[8:9], v[27:28], v[19:20]
	;; [unrolled: 1-line block ×3, first 2 shown]
	v_add_f64 v[10:11], v[8:9], -v[19:20]
	v_cmp_le_f64_e64 s[0:1], 0.5, v[8:9]
	v_add_f64 v[16:17], v[27:28], -v[10:11]
	v_mov_b32_e32 v11, 0x3ff00000
	v_cndmask_b32_e64 v34, 0, v11, s[0:1]
	v_add_f64 v[8:9], v[8:9], -v[33:34]
	v_addc_co_u32_e64 v10, s[2:3], 0, v36, s[0:1]
	s_mov_b32 s0, 0x54442d18
	s_mov_b32 s1, 0x3ff921fb
	v_add_f64 v[4:5], v[4:5], v[16:17]
	s_mov_b32 s2, 0x33145c07
	s_mov_b32 s3, 0x3c91a626
	v_add_f64 v[16:17], v[8:9], v[4:5]
	v_mul_f64 v[19:20], v[16:17], s[0:1]
	v_add_f64 v[8:9], v[16:17], -v[8:9]
	v_fma_f64 v[21:22], v[16:17], s[0:1], -v[19:20]
	v_add_f64 v[4:5], v[4:5], -v[8:9]
	v_fma_f64 v[8:9], v[16:17], s[2:3], v[21:22]
	v_fma_f64 v[8:9], v[4:5], s[0:1], v[8:9]
	v_add_f64 v[4:5], v[19:20], v[8:9]
	v_add_f64 v[16:17], v[4:5], -v[19:20]
	v_add_f64 v[8:9], v[8:9], -v[16:17]
.LBB3_54:
	s_andn2_saveexec_b64 s[0:1], s[10:11]
	s_cbranch_execz .LBB3_56
; %bb.55:
	s_mov_b32 s2, 0x6dc9c883
	s_mov_b32 s3, 0x3fe45f30
	v_mul_f64 v[4:5], |v[2:3]|, s[2:3]
	s_mov_b32 s2, 0x54442d18
	s_mov_b32 s3, 0xbff921fb
	;; [unrolled: 1-line block ×4, first 2 shown]
	v_rndne_f64_e32 v[10:11], v[4:5]
	v_fma_f64 v[4:5], v[10:11], s[2:3], |v[2:3]|
	v_mul_f64 v[8:9], v[10:11], s[10:11]
	s_mov_b32 s2, 0x252049c0
	s_mov_b32 s3, 0xb97b839a
	v_fma_f64 v[21:22], v[10:11], s[10:11], v[4:5]
	v_add_f64 v[16:17], v[4:5], v[8:9]
	s_mov_b32 s11, 0x3c91a626
	v_add_f64 v[19:20], v[4:5], -v[16:17]
	v_add_f64 v[16:17], v[16:17], -v[21:22]
	v_add_f64 v[4:5], v[19:20], v[8:9]
	v_fma_f64 v[8:9], v[10:11], s[10:11], v[8:9]
	v_add_f64 v[4:5], v[16:17], v[4:5]
	v_add_f64 v[4:5], v[4:5], -v[8:9]
	v_fma_f64 v[8:9], v[10:11], s[2:3], v[4:5]
	v_cvt_i32_f64_e32 v10, v[10:11]
	v_add_f64 v[4:5], v[21:22], v[8:9]
	v_add_f64 v[16:17], v[4:5], -v[21:22]
	v_add_f64 v[8:9], v[8:9], -v[16:17]
.LBB3_56:
	s_or_b64 exec, exec, s[0:1]
	v_mul_f64 v[16:17], v[4:5], v[4:5]
	s_mov_b32 s0, 0xf9a43bb8
	v_mov_b32_e32 v20, 0xb42fdfa7
	v_mov_b32_e32 v21, 0xbe5ae600
	s_mov_b32 s1, 0x3de5e0b2
	s_mov_b32 s2, 0x796cde01
	v_mov_b32_e32 v19, 0x9037ab78
	s_mov_b32 s3, 0x3ec71de3
	v_fma_f64 v[21:22], v[16:17], s[0:1], v[20:21]
	s_mov_b32 s0, 0x46cc5e42
	v_mov_b32_e32 v20, 0x3e21eeb6
	s_mov_b32 s1, 0xbda907db
	v_fma_f64 v[19:20], v[16:17], s[0:1], v[19:20]
	v_mul_f64 v[23:24], v[16:17], 0.5
	s_mov_b32 s0, 0xa17f65f6
	s_mov_b32 s10, 0x19e83e5c
	v_fma_f64 v[21:22], v[16:17], v[21:22], s[2:3]
	s_mov_b32 s1, 0xbe927e4f
	s_mov_b32 s11, 0xbf2a01a0
	;; [unrolled: 1-line block ×3, first 2 shown]
	v_fma_f64 v[19:20], v[16:17], v[19:20], s[0:1]
	v_add_f64 v[25:26], -v[23:24], 1.0
	s_mov_b32 s0, 0x11110bb3
	s_mov_b32 s3, 0x3efa01a0
	v_fma_f64 v[21:22], v[16:17], v[21:22], s[10:11]
	s_mov_b32 s1, 0x3f811111
	v_mul_f64 v[27:28], v[8:9], 0.5
	v_mul_f64 v[29:30], v[4:5], -v[16:17]
	v_fma_f64 v[19:20], v[16:17], v[19:20], s[2:3]
	v_add_f64 v[31:32], -v[25:26], 1.0
	s_movk_i32 s2, 0x1f8
	v_fma_f64 v[21:22], v[16:17], v[21:22], s[0:1]
	s_mov_b32 s0, 0x16c16967
	s_mov_b32 s1, 0xbf56c16c
	v_fma_f64 v[19:20], v[16:17], v[19:20], s[0:1]
	v_add_f64 v[23:24], v[31:32], -v[23:24]
	s_mov_b32 s1, 0x3fa55555
	s_mov_b32 s0, 0x55555555
	v_fma_f64 v[21:22], v[29:30], v[21:22], v[27:28]
	v_mul_f64 v[27:28], v[16:17], v[16:17]
	v_fma_f64 v[19:20], v[16:17], v[19:20], s[0:1]
	v_fma_f64 v[23:24], v[4:5], -v[8:9], v[23:24]
	s_mov_b32 s1, 0xbfc55555
	v_fma_f64 v[8:9], v[16:17], v[21:22], -v[8:9]
	v_fma_f64 v[16:17], v[27:28], v[19:20], v[23:24]
	v_fma_f64 v[8:9], v[29:30], s[0:1], v[8:9]
	v_add_f64 v[16:17], v[25:26], v[16:17]
	v_add_f64 v[4:5], v[4:5], -v[8:9]
	v_and_b32_e32 v8, 1, v10
	v_cmp_eq_u32_e64 s[0:1], 0, v8
	v_lshlrev_b32_e32 v9, 30, v10
	v_xor_b32_e32 v9, v9, v3
	v_and_b32_e32 v9, 0x80000000, v9
	v_mov_b32_e32 v10, 0x7ff80000
	v_cndmask_b32_e64 v4, v16, v4, s[0:1]
	v_cndmask_b32_e64 v5, v17, v5, s[0:1]
	v_cmp_class_f64_e64 s[0:1], v[2:3], s2
	v_xor_b32_e32 v5, v5, v9
	v_cndmask_b32_e64 v9, v10, v5, s[0:1]
	v_cndmask_b32_e64 v8, 0, v4, s[0:1]
	s_or_b64 exec, exec, s[6:7]
	s_and_saveexec_b64 s[0:1], vcc
	s_xor_b64 s[0:1], exec, s[0:1]
	s_cbranch_execz .LBB3_47
.LBB3_57:
	v_mov_b32_e32 v2, 0
	v_lshlrev_b64 v[0:1], 3, v[1:2]
	v_mov_b32_e32 v2, s9
	v_add_co_u32_e32 v0, vcc, s8, v0
	v_addc_co_u32_e32 v1, vcc, v2, v1, vcc
	global_store_dwordx2 v[0:1], v[6:7], off
	v_mov_b32_e32 v0, v18
	s_or_b64 exec, exec, s[0:1]
	v_cmp_gt_i32_e32 vcc, s28, v0
	s_and_saveexec_b64 s[0:1], vcc
	s_cbranch_execz .LBB3_48
.LBB3_58:
	v_add_u32_e32 v1, s4, v0
	v_mov_b32_e32 v2, 0
	v_lshlrev_b64 v[1:2], 3, v[1:2]
	v_mov_b32_e32 v3, s9
	v_add_co_u32_e32 v1, vcc, s8, v1
	v_addc_co_u32_e32 v2, vcc, v3, v2, vcc
	v_add_u32_e32 v0, 0x100, v0
	global_store_dwordx2 v[1:2], v[14:15], off
	s_or_b64 exec, exec, s[0:1]
	v_cmp_gt_i32_e32 vcc, s28, v0
	s_and_saveexec_b64 s[0:1], vcc
	s_cbranch_execz .LBB3_49
.LBB3_59:
	v_add_u32_e32 v1, s4, v0
	v_mov_b32_e32 v2, 0
	v_lshlrev_b64 v[1:2], 3, v[1:2]
	v_mov_b32_e32 v3, s9
	v_add_co_u32_e32 v1, vcc, s8, v1
	v_addc_co_u32_e32 v2, vcc, v3, v2, vcc
	v_add_u32_e32 v0, 0x100, v0
	global_store_dwordx2 v[1:2], v[12:13], off
	s_or_b64 exec, exec, s[0:1]
	v_cmp_gt_i32_e32 vcc, s28, v0
	s_and_saveexec_b64 s[0:1], vcc
	s_cbranch_execnz .LBB3_50
	s_branch .LBB3_51
	.section	.rodata,"a",@progbits
	.p2align	6, 0x0
	.amdhsa_kernel _ZN2at6native29vectorized_elementwise_kernelILi2EZZZNS0_15sin_kernel_cudaERNS_18TensorIteratorBaseEENKUlvE0_clEvENKUlvE_clEvEUldE_St5arrayIPcLm2EEEEviT0_T1_
		.amdhsa_group_segment_fixed_size 0
		.amdhsa_private_segment_fixed_size 0
		.amdhsa_kernarg_size 24
		.amdhsa_user_sgpr_count 6
		.amdhsa_user_sgpr_private_segment_buffer 1
		.amdhsa_user_sgpr_dispatch_ptr 0
		.amdhsa_user_sgpr_queue_ptr 0
		.amdhsa_user_sgpr_kernarg_segment_ptr 1
		.amdhsa_user_sgpr_dispatch_id 0
		.amdhsa_user_sgpr_flat_scratch_init 0
		.amdhsa_user_sgpr_private_segment_size 0
		.amdhsa_uses_dynamic_stack 0
		.amdhsa_system_sgpr_private_segment_wavefront_offset 0
		.amdhsa_system_sgpr_workgroup_id_x 1
		.amdhsa_system_sgpr_workgroup_id_y 0
		.amdhsa_system_sgpr_workgroup_id_z 0
		.amdhsa_system_sgpr_workgroup_info 0
		.amdhsa_system_vgpr_workitem_id 0
		.amdhsa_next_free_vgpr 57
		.amdhsa_next_free_sgpr 29
		.amdhsa_reserve_vcc 1
		.amdhsa_reserve_flat_scratch 0
		.amdhsa_float_round_mode_32 0
		.amdhsa_float_round_mode_16_64 0
		.amdhsa_float_denorm_mode_32 3
		.amdhsa_float_denorm_mode_16_64 3
		.amdhsa_dx10_clamp 1
		.amdhsa_ieee_mode 1
		.amdhsa_fp16_overflow 0
		.amdhsa_exception_fp_ieee_invalid_op 0
		.amdhsa_exception_fp_denorm_src 0
		.amdhsa_exception_fp_ieee_div_zero 0
		.amdhsa_exception_fp_ieee_overflow 0
		.amdhsa_exception_fp_ieee_underflow 0
		.amdhsa_exception_fp_ieee_inexact 0
		.amdhsa_exception_int_div_zero 0
	.end_amdhsa_kernel
	.section	.text._ZN2at6native29vectorized_elementwise_kernelILi2EZZZNS0_15sin_kernel_cudaERNS_18TensorIteratorBaseEENKUlvE0_clEvENKUlvE_clEvEUldE_St5arrayIPcLm2EEEEviT0_T1_,"axG",@progbits,_ZN2at6native29vectorized_elementwise_kernelILi2EZZZNS0_15sin_kernel_cudaERNS_18TensorIteratorBaseEENKUlvE0_clEvENKUlvE_clEvEUldE_St5arrayIPcLm2EEEEviT0_T1_,comdat
.Lfunc_end3:
	.size	_ZN2at6native29vectorized_elementwise_kernelILi2EZZZNS0_15sin_kernel_cudaERNS_18TensorIteratorBaseEENKUlvE0_clEvENKUlvE_clEvEUldE_St5arrayIPcLm2EEEEviT0_T1_, .Lfunc_end3-_ZN2at6native29vectorized_elementwise_kernelILi2EZZZNS0_15sin_kernel_cudaERNS_18TensorIteratorBaseEENKUlvE0_clEvENKUlvE_clEvEUldE_St5arrayIPcLm2EEEEviT0_T1_
                                        ; -- End function
	.set _ZN2at6native29vectorized_elementwise_kernelILi2EZZZNS0_15sin_kernel_cudaERNS_18TensorIteratorBaseEENKUlvE0_clEvENKUlvE_clEvEUldE_St5arrayIPcLm2EEEEviT0_T1_.num_vgpr, 57
	.set _ZN2at6native29vectorized_elementwise_kernelILi2EZZZNS0_15sin_kernel_cudaERNS_18TensorIteratorBaseEENKUlvE0_clEvENKUlvE_clEvEUldE_St5arrayIPcLm2EEEEviT0_T1_.num_agpr, 0
	.set _ZN2at6native29vectorized_elementwise_kernelILi2EZZZNS0_15sin_kernel_cudaERNS_18TensorIteratorBaseEENKUlvE0_clEvENKUlvE_clEvEUldE_St5arrayIPcLm2EEEEviT0_T1_.numbered_sgpr, 29
	.set _ZN2at6native29vectorized_elementwise_kernelILi2EZZZNS0_15sin_kernel_cudaERNS_18TensorIteratorBaseEENKUlvE0_clEvENKUlvE_clEvEUldE_St5arrayIPcLm2EEEEviT0_T1_.num_named_barrier, 0
	.set _ZN2at6native29vectorized_elementwise_kernelILi2EZZZNS0_15sin_kernel_cudaERNS_18TensorIteratorBaseEENKUlvE0_clEvENKUlvE_clEvEUldE_St5arrayIPcLm2EEEEviT0_T1_.private_seg_size, 0
	.set _ZN2at6native29vectorized_elementwise_kernelILi2EZZZNS0_15sin_kernel_cudaERNS_18TensorIteratorBaseEENKUlvE0_clEvENKUlvE_clEvEUldE_St5arrayIPcLm2EEEEviT0_T1_.uses_vcc, 1
	.set _ZN2at6native29vectorized_elementwise_kernelILi2EZZZNS0_15sin_kernel_cudaERNS_18TensorIteratorBaseEENKUlvE0_clEvENKUlvE_clEvEUldE_St5arrayIPcLm2EEEEviT0_T1_.uses_flat_scratch, 0
	.set _ZN2at6native29vectorized_elementwise_kernelILi2EZZZNS0_15sin_kernel_cudaERNS_18TensorIteratorBaseEENKUlvE0_clEvENKUlvE_clEvEUldE_St5arrayIPcLm2EEEEviT0_T1_.has_dyn_sized_stack, 0
	.set _ZN2at6native29vectorized_elementwise_kernelILi2EZZZNS0_15sin_kernel_cudaERNS_18TensorIteratorBaseEENKUlvE0_clEvENKUlvE_clEvEUldE_St5arrayIPcLm2EEEEviT0_T1_.has_recursion, 0
	.set _ZN2at6native29vectorized_elementwise_kernelILi2EZZZNS0_15sin_kernel_cudaERNS_18TensorIteratorBaseEENKUlvE0_clEvENKUlvE_clEvEUldE_St5arrayIPcLm2EEEEviT0_T1_.has_indirect_call, 0
	.section	.AMDGPU.csdata,"",@progbits
; Kernel info:
; codeLenInByte = 11028
; TotalNumSgprs: 33
; NumVgprs: 57
; ScratchSize: 0
; MemoryBound: 0
; FloatMode: 240
; IeeeMode: 1
; LDSByteSize: 0 bytes/workgroup (compile time only)
; SGPRBlocks: 4
; VGPRBlocks: 14
; NumSGPRsForWavesPerEU: 33
; NumVGPRsForWavesPerEU: 57
; Occupancy: 4
; WaveLimiterHint : 1
; COMPUTE_PGM_RSRC2:SCRATCH_EN: 0
; COMPUTE_PGM_RSRC2:USER_SGPR: 6
; COMPUTE_PGM_RSRC2:TRAP_HANDLER: 0
; COMPUTE_PGM_RSRC2:TGID_X_EN: 1
; COMPUTE_PGM_RSRC2:TGID_Y_EN: 0
; COMPUTE_PGM_RSRC2:TGID_Z_EN: 0
; COMPUTE_PGM_RSRC2:TIDIG_COMP_CNT: 0
	.section	.text._ZN2at6native27unrolled_elementwise_kernelIZZZNS0_15sin_kernel_cudaERNS_18TensorIteratorBaseEENKUlvE0_clEvENKUlvE_clEvEUldE_St5arrayIPcLm2EELi4E23TrivialOffsetCalculatorILi1EjESB_NS0_6memory15LoadWithoutCastENSC_16StoreWithoutCastEEEviT_T0_T2_T3_T4_T5_,"axG",@progbits,_ZN2at6native27unrolled_elementwise_kernelIZZZNS0_15sin_kernel_cudaERNS_18TensorIteratorBaseEENKUlvE0_clEvENKUlvE_clEvEUldE_St5arrayIPcLm2EELi4E23TrivialOffsetCalculatorILi1EjESB_NS0_6memory15LoadWithoutCastENSC_16StoreWithoutCastEEEviT_T0_T2_T3_T4_T5_,comdat
	.globl	_ZN2at6native27unrolled_elementwise_kernelIZZZNS0_15sin_kernel_cudaERNS_18TensorIteratorBaseEENKUlvE0_clEvENKUlvE_clEvEUldE_St5arrayIPcLm2EELi4E23TrivialOffsetCalculatorILi1EjESB_NS0_6memory15LoadWithoutCastENSC_16StoreWithoutCastEEEviT_T0_T2_T3_T4_T5_ ; -- Begin function _ZN2at6native27unrolled_elementwise_kernelIZZZNS0_15sin_kernel_cudaERNS_18TensorIteratorBaseEENKUlvE0_clEvENKUlvE_clEvEUldE_St5arrayIPcLm2EELi4E23TrivialOffsetCalculatorILi1EjESB_NS0_6memory15LoadWithoutCastENSC_16StoreWithoutCastEEEviT_T0_T2_T3_T4_T5_
	.p2align	8
	.type	_ZN2at6native27unrolled_elementwise_kernelIZZZNS0_15sin_kernel_cudaERNS_18TensorIteratorBaseEENKUlvE0_clEvENKUlvE_clEvEUldE_St5arrayIPcLm2EELi4E23TrivialOffsetCalculatorILi1EjESB_NS0_6memory15LoadWithoutCastENSC_16StoreWithoutCastEEEviT_T0_T2_T3_T4_T5_,@function
_ZN2at6native27unrolled_elementwise_kernelIZZZNS0_15sin_kernel_cudaERNS_18TensorIteratorBaseEENKUlvE0_clEvENKUlvE_clEvEUldE_St5arrayIPcLm2EELi4E23TrivialOffsetCalculatorILi1EjESB_NS0_6memory15LoadWithoutCastENSC_16StoreWithoutCastEEEviT_T0_T2_T3_T4_T5_: ; @_ZN2at6native27unrolled_elementwise_kernelIZZZNS0_15sin_kernel_cudaERNS_18TensorIteratorBaseEENKUlvE0_clEvENKUlvE_clEvEUldE_St5arrayIPcLm2EELi4E23TrivialOffsetCalculatorILi1EjESB_NS0_6memory15LoadWithoutCastENSC_16StoreWithoutCastEEEviT_T0_T2_T3_T4_T5_
; %bb.0:
	s_load_dword s0, s[4:5], 0x0
	s_load_dwordx4 s[8:11], s[4:5], 0x8
	s_lshl_b32 s12, s6, 10
	v_mov_b32_e32 v8, 0
	v_mov_b32_e32 v16, 0
	s_waitcnt lgkmcnt(0)
	s_sub_i32 s13, s0, s12
	v_cmp_gt_i32_e32 vcc, s13, v0
	v_mov_b32_e32 v9, 0
	v_or_b32_e32 v1, s12, v0
	v_mov_b32_e32 v17, 0
	v_mov_b32_e32 v6, v0
	s_and_saveexec_b64 s[2:3], vcc
	s_cbranch_execz .LBB4_2
; %bb.1:
	v_mov_b32_e32 v2, 0
	v_lshlrev_b64 v[2:3], 3, v[1:2]
	v_mov_b32_e32 v4, s11
	v_add_co_u32_e64 v2, s[0:1], s10, v2
	v_addc_co_u32_e64 v3, s[0:1], v4, v3, s[0:1]
	global_load_dwordx2 v[16:17], v[2:3], off
	v_or_b32_e32 v6, 0x100, v0
.LBB4_2:
	s_or_b64 exec, exec, s[2:3]
	v_cmp_gt_i32_e64 s[0:1], s13, v6
	s_and_saveexec_b64 s[2:3], s[0:1]
	s_cbranch_execz .LBB4_4
; %bb.3:
	v_add_u32_e32 v2, s12, v6
	v_mov_b32_e32 v3, 0
	v_lshlrev_b64 v[2:3], 3, v[2:3]
	v_mov_b32_e32 v4, s11
	v_add_co_u32_e64 v2, s[0:1], s10, v2
	v_addc_co_u32_e64 v3, s[0:1], v4, v3, s[0:1]
	global_load_dwordx2 v[8:9], v[2:3], off
	v_add_u32_e32 v6, 0x100, v6
.LBB4_4:
	s_or_b64 exec, exec, s[2:3]
	v_mov_b32_e32 v2, 0
	v_mov_b32_e32 v4, 0
	;; [unrolled: 1-line block ×4, first 2 shown]
	v_cmp_gt_i32_e64 s[0:1], s13, v6
	s_and_saveexec_b64 s[2:3], s[0:1]
	s_cbranch_execz .LBB4_6
; %bb.5:
	v_add_u32_e32 v4, s12, v6
	v_mov_b32_e32 v5, 0
	v_lshlrev_b64 v[4:5], 3, v[4:5]
	v_mov_b32_e32 v7, s11
	v_add_co_u32_e64 v4, s[0:1], s10, v4
	v_addc_co_u32_e64 v5, s[0:1], v7, v5, s[0:1]
	global_load_dwordx2 v[4:5], v[4:5], off
	v_add_u32_e32 v6, 0x100, v6
.LBB4_6:
	s_or_b64 exec, exec, s[2:3]
	v_cmp_gt_i32_e64 s[0:1], s13, v6
	s_and_saveexec_b64 s[2:3], s[0:1]
	s_cbranch_execz .LBB4_8
; %bb.7:
	v_add_u32_e32 v2, s12, v6
	v_mov_b32_e32 v3, 0
	v_lshlrev_b64 v[2:3], 3, v[2:3]
	v_mov_b32_e32 v6, s11
	v_add_co_u32_e64 v2, s[0:1], s10, v2
	v_addc_co_u32_e64 v3, s[0:1], v6, v3, s[0:1]
	global_load_dwordx2 v[2:3], v[2:3], off
.LBB4_8:
	s_or_b64 exec, exec, s[2:3]
	v_mov_b32_e32 v6, 0
	v_mov_b32_e32 v7, v6
	;; [unrolled: 1-line block ×8, first 2 shown]
	s_and_saveexec_b64 s[4:5], vcc
	s_cbranch_execz .LBB4_14
; %bb.9:
	s_mov_b32 s0, 0
	s_mov_b32 s1, 0x41d00000
	s_waitcnt vmcnt(0)
	v_cmp_nlt_f64_e64 s[0:1], |v[16:17]|, s[0:1]
                                        ; implicit-def: $vgpr12
                                        ; implicit-def: $vgpr6_vgpr7
                                        ; implicit-def: $vgpr10_vgpr11
	s_and_saveexec_b64 s[2:3], s[0:1]
	s_xor_b64 s[6:7], exec, s[2:3]
	s_cbranch_execz .LBB4_11
; %bb.10:
	v_trig_preop_f64 v[6:7], |v[16:17]|, 0
	s_mov_b32 s0, 0
	s_mov_b32 s1, 0x7b000000
	s_movk_i32 s2, 0xff80
	v_ldexp_f64 v[12:13], |v[16:17]|, s2
	v_cmp_ge_f64_e64 s[0:1], |v[16:17]|, s[0:1]
	v_trig_preop_f64 v[10:11], |v[16:17]|, 1
	v_and_b32_e32 v14, 0x7fffffff, v17
	v_trig_preop_f64 v[22:23], |v[16:17]|, 2
	v_mov_b32_e32 v33, 0x40100000
	v_mov_b32_e32 v32, 0
	v_cndmask_b32_e64 v13, v14, v13, s[0:1]
	v_cndmask_b32_e64 v12, v16, v12, s[0:1]
	s_mov_b32 s0, 0
	v_mul_f64 v[14:15], v[6:7], v[12:13]
	s_mov_b32 s1, 0x7ff00000
	v_mul_f64 v[18:19], v[10:11], v[12:13]
	v_mul_f64 v[28:29], v[22:23], v[12:13]
	v_fma_f64 v[6:7], v[6:7], v[12:13], -v[14:15]
	v_fma_f64 v[10:11], v[10:11], v[12:13], -v[18:19]
	;; [unrolled: 1-line block ×3, first 2 shown]
	v_add_f64 v[20:21], v[18:19], v[6:7]
	v_add_f64 v[24:25], v[20:21], -v[18:19]
	v_add_f64 v[30:31], v[14:15], v[20:21]
	v_add_f64 v[26:27], v[20:21], -v[24:25]
	v_add_f64 v[6:7], v[6:7], -v[24:25]
	v_add_f64 v[24:25], v[28:29], v[10:11]
	v_add_f64 v[14:15], v[30:31], -v[14:15]
	v_add_f64 v[18:19], v[18:19], -v[26:27]
	v_ldexp_f64 v[26:27], v[30:31], -2
	v_add_f64 v[34:35], v[24:25], -v[28:29]
	v_add_f64 v[14:15], v[20:21], -v[14:15]
	v_add_f64 v[6:7], v[6:7], v[18:19]
	v_fract_f64_e32 v[18:19], v[26:27]
	v_cmp_neq_f64_e64 s[0:1], |v[26:27]|, s[0:1]
	v_add_f64 v[10:11], v[10:11], -v[34:35]
	v_add_f64 v[20:21], v[24:25], v[6:7]
	v_ldexp_f64 v[18:19], v[18:19], 2
	v_add_f64 v[26:27], v[14:15], v[20:21]
	v_cndmask_b32_e64 v19, 0, v19, s[0:1]
	v_cndmask_b32_e64 v18, 0, v18, s[0:1]
	v_add_f64 v[36:37], v[20:21], -v[24:25]
	v_add_f64 v[30:31], v[26:27], v[18:19]
	v_add_f64 v[14:15], v[26:27], -v[14:15]
	v_add_f64 v[38:39], v[20:21], -v[36:37]
	;; [unrolled: 1-line block ×3, first 2 shown]
	v_cmp_gt_f64_e64 s[0:1], 0, v[30:31]
	v_add_f64 v[30:31], v[24:25], -v[34:35]
	v_add_f64 v[14:15], v[20:21], -v[14:15]
	v_add_f64 v[24:25], v[24:25], -v[38:39]
	v_cndmask_b32_e64 v33, 0, v33, s[0:1]
	v_add_f64 v[18:19], v[18:19], v[32:33]
	v_add_f64 v[30:31], v[28:29], -v[30:31]
	v_add_f64 v[6:7], v[6:7], v[24:25]
	v_add_f64 v[40:41], v[26:27], v[18:19]
	;; [unrolled: 1-line block ×3, first 2 shown]
	v_cvt_i32_f64_e32 v35, v[40:41]
	v_add_f64 v[6:7], v[10:11], v[6:7]
	v_cvt_f64_i32_e32 v[33:34], v35
	v_add_f64 v[18:19], v[18:19], -v[33:34]
	v_add_f64 v[6:7], v[12:13], v[6:7]
	v_add_f64 v[10:11], v[26:27], v[18:19]
	v_add_f64 v[6:7], v[14:15], v[6:7]
	v_mov_b32_e32 v15, 0x3ff00000
	v_add_f64 v[12:13], v[10:11], -v[18:19]
	v_cmp_le_f64_e64 s[0:1], 0.5, v[10:11]
	v_add_f64 v[13:14], v[26:27], -v[12:13]
	v_cndmask_b32_e64 v33, 0, v15, s[0:1]
	v_add_f64 v[10:11], v[10:11], -v[32:33]
	v_addc_co_u32_e64 v12, s[2:3], 0, v35, s[0:1]
	s_mov_b32 s0, 0x54442d18
	s_mov_b32 s1, 0x3ff921fb
	;; [unrolled: 1-line block ×3, first 2 shown]
	v_add_f64 v[6:7], v[6:7], v[13:14]
	s_mov_b32 s3, 0x3c91a626
	v_add_f64 v[13:14], v[10:11], v[6:7]
	v_mul_f64 v[18:19], v[13:14], s[0:1]
	v_add_f64 v[10:11], v[13:14], -v[10:11]
	v_fma_f64 v[20:21], v[13:14], s[0:1], -v[18:19]
	v_add_f64 v[6:7], v[6:7], -v[10:11]
	v_fma_f64 v[10:11], v[13:14], s[2:3], v[20:21]
	v_fma_f64 v[10:11], v[6:7], s[0:1], v[10:11]
	v_add_f64 v[6:7], v[18:19], v[10:11]
	v_add_f64 v[13:14], v[6:7], -v[18:19]
	v_add_f64 v[10:11], v[10:11], -v[13:14]
.LBB4_11:
	s_andn2_saveexec_b64 s[0:1], s[6:7]
	s_cbranch_execz .LBB4_13
; %bb.12:
	s_mov_b32 s2, 0x6dc9c883
	s_mov_b32 s3, 0x3fe45f30
	v_mul_f64 v[6:7], |v[16:17]|, s[2:3]
	s_mov_b32 s2, 0x54442d18
	s_mov_b32 s3, 0xbff921fb
	;; [unrolled: 1-line block ×4, first 2 shown]
	v_rndne_f64_e32 v[12:13], v[6:7]
	v_fma_f64 v[6:7], v[12:13], s[2:3], |v[16:17]|
	v_mul_f64 v[10:11], v[12:13], s[6:7]
	s_mov_b32 s2, 0x252049c0
	s_mov_b32 s3, 0xb97b839a
	v_fma_f64 v[20:21], v[12:13], s[6:7], v[6:7]
	v_add_f64 v[14:15], v[6:7], v[10:11]
	s_mov_b32 s7, 0x3c91a626
	v_add_f64 v[18:19], v[6:7], -v[14:15]
	v_add_f64 v[14:15], v[14:15], -v[20:21]
	v_add_f64 v[6:7], v[18:19], v[10:11]
	v_fma_f64 v[10:11], v[12:13], s[6:7], v[10:11]
	v_add_f64 v[6:7], v[14:15], v[6:7]
	v_add_f64 v[6:7], v[6:7], -v[10:11]
	v_fma_f64 v[10:11], v[12:13], s[2:3], v[6:7]
	v_cvt_i32_f64_e32 v12, v[12:13]
	v_add_f64 v[6:7], v[20:21], v[10:11]
	v_add_f64 v[14:15], v[6:7], -v[20:21]
	v_add_f64 v[10:11], v[10:11], -v[14:15]
.LBB4_13:
	s_or_b64 exec, exec, s[0:1]
	v_mul_f64 v[13:14], v[6:7], v[6:7]
	s_mov_b32 s0, 0x46cc5e42
	v_mov_b32_e32 v24, 0x9037ab78
	v_mov_b32_e32 v25, 0x3e21eeb6
	s_mov_b32 s1, 0xbda907db
	s_mov_b32 s2, 0xf9a43bb8
	;; [unrolled: 1-line block ×3, first 2 shown]
	v_mul_f64 v[18:19], v[13:14], 0.5
	v_fma_f64 v[24:25], v[13:14], s[0:1], v[24:25]
	s_mov_b32 s0, 0xa17f65f6
	s_mov_b32 s1, 0xbe927e4f
	v_add_f64 v[20:21], -v[18:19], 1.0
	v_fma_f64 v[24:25], v[13:14], v[24:25], s[0:1]
	s_mov_b32 s0, 0x19f4ec90
	s_mov_b32 s1, 0x3efa01a0
	v_add_f64 v[22:23], -v[20:21], 1.0
	v_fma_f64 v[24:25], v[13:14], v[24:25], s[0:1]
	s_mov_b32 s0, 0x16c16967
	s_mov_b32 s1, 0xbf56c16c
	v_add_f64 v[18:19], v[22:23], -v[18:19]
	v_fma_f64 v[24:25], v[13:14], v[24:25], s[0:1]
	s_mov_b32 s1, 0x3fa55555
	s_mov_b32 s0, 0x55555555
	v_mul_f64 v[22:23], v[13:14], v[13:14]
	v_fma_f64 v[18:19], v[6:7], -v[10:11], v[18:19]
	v_fma_f64 v[24:25], v[13:14], v[24:25], s[0:1]
	s_mov_b32 s1, 0xbfc55555
	v_fma_f64 v[18:19], v[22:23], v[24:25], v[18:19]
	v_mul_f64 v[22:23], v[6:7], -v[13:14]
	v_mul_f64 v[24:25], v[10:11], 0.5
	v_add_f64 v[18:19], v[20:21], v[18:19]
	v_mov_b32_e32 v20, 0xb42fdfa7
	v_mov_b32_e32 v21, 0xbe5ae600
	v_fma_f64 v[20:21], v[13:14], s[2:3], v[20:21]
	s_mov_b32 s2, 0x796cde01
	s_mov_b32 s3, 0x3ec71de3
	v_fma_f64 v[20:21], v[13:14], v[20:21], s[2:3]
	s_mov_b32 s2, 0x19e83e5c
	s_mov_b32 s3, 0xbf2a01a0
	;; [unrolled: 3-line block ×3, first 2 shown]
	v_fma_f64 v[20:21], v[13:14], v[20:21], s[2:3]
	v_fma_f64 v[20:21], v[22:23], v[20:21], v[24:25]
	v_fma_f64 v[10:11], v[13:14], v[20:21], -v[10:11]
	v_mov_b32_e32 v14, 0
	v_mov_b32_e32 v15, v14
	v_mov_b32_e32 v13, v14
	v_fma_f64 v[10:11], v[22:23], s[0:1], v[10:11]
	v_add_f64 v[6:7], v[6:7], -v[10:11]
	v_and_b32_e32 v10, 1, v12
	v_cmp_eq_u32_e64 s[0:1], 0, v10
	v_lshlrev_b32_e32 v10, 30, v12
	v_xor_b32_e32 v10, v10, v17
	v_and_b32_e32 v10, 0x80000000, v10
	v_mov_b32_e32 v12, v14
	v_mov_b32_e32 v11, v14
	v_cndmask_b32_e64 v6, v18, v6, s[0:1]
	v_cndmask_b32_e64 v7, v19, v7, s[0:1]
	s_movk_i32 s0, 0x1f8
	v_cmp_class_f64_e64 s[0:1], v[16:17], s0
	v_xor_b32_e32 v7, v7, v10
	v_mov_b32_e32 v10, 0x7ff80000
	v_cndmask_b32_e64 v6, 0, v6, s[0:1]
	v_cndmask_b32_e64 v7, v10, v7, s[0:1]
	v_mov_b32_e32 v10, v14
.LBB4_14:
	s_or_b64 exec, exec, s[4:5]
	v_or_b32_e32 v18, 0x100, v0
	v_cmp_gt_i32_e64 s[0:1], s13, v18
	s_and_saveexec_b64 s[2:3], s[0:1]
	s_cbranch_execz .LBB4_20
; %bb.15:
	s_mov_b32 s0, 0
	s_mov_b32 s1, 0x41d00000
	s_waitcnt vmcnt(0)
	v_cmp_nlt_f64_e64 s[0:1], |v[8:9]|, s[0:1]
                                        ; implicit-def: $vgpr19
                                        ; implicit-def: $vgpr14_vgpr15
                                        ; implicit-def: $vgpr16_vgpr17
	s_and_saveexec_b64 s[4:5], s[0:1]
	s_xor_b64 s[4:5], exec, s[4:5]
	s_cbranch_execz .LBB4_17
; %bb.16:
	v_trig_preop_f64 v[14:15], |v[8:9]|, 0
	s_mov_b32 s0, 0
	s_mov_b32 s1, 0x7b000000
	s_movk_i32 s6, 0xff80
	v_ldexp_f64 v[19:20], |v[8:9]|, s6
	v_cmp_ge_f64_e64 s[0:1], |v[8:9]|, s[0:1]
	v_trig_preop_f64 v[16:17], |v[8:9]|, 1
	v_and_b32_e32 v21, 0x7fffffff, v9
	v_trig_preop_f64 v[27:28], |v[8:9]|, 2
	v_mov_b32_e32 v38, 0x40100000
	v_mov_b32_e32 v37, 0
	s_mov_b32 s6, 0x54442d18
	s_mov_b32 s7, 0x3ff921fb
	v_cndmask_b32_e64 v20, v21, v20, s[0:1]
	v_cndmask_b32_e64 v19, v8, v19, s[0:1]
	s_mov_b32 s0, 0
	v_mul_f64 v[21:22], v[14:15], v[19:20]
	s_mov_b32 s1, 0x7ff00000
	s_mov_b32 s10, 0x33145c07
	;; [unrolled: 1-line block ×3, first 2 shown]
	v_mul_f64 v[23:24], v[16:17], v[19:20]
	v_mul_f64 v[33:34], v[27:28], v[19:20]
	v_fma_f64 v[14:15], v[14:15], v[19:20], -v[21:22]
	v_fma_f64 v[16:17], v[16:17], v[19:20], -v[23:24]
	v_fma_f64 v[19:20], v[27:28], v[19:20], -v[33:34]
	v_add_f64 v[25:26], v[23:24], v[14:15]
	v_add_f64 v[29:30], v[25:26], -v[23:24]
	v_add_f64 v[35:36], v[21:22], v[25:26]
	v_add_f64 v[31:32], v[25:26], -v[29:30]
	v_add_f64 v[14:15], v[14:15], -v[29:30]
	v_add_f64 v[29:30], v[33:34], v[16:17]
	v_add_f64 v[21:22], v[35:36], -v[21:22]
	v_add_f64 v[23:24], v[23:24], -v[31:32]
	v_ldexp_f64 v[31:32], v[35:36], -2
	v_add_f64 v[39:40], v[29:30], -v[33:34]
	v_add_f64 v[21:22], v[25:26], -v[21:22]
	v_add_f64 v[14:15], v[14:15], v[23:24]
	v_fract_f64_e32 v[23:24], v[31:32]
	v_cmp_neq_f64_e64 s[0:1], |v[31:32]|, s[0:1]
	v_add_f64 v[16:17], v[16:17], -v[39:40]
	v_add_f64 v[25:26], v[29:30], v[14:15]
	v_ldexp_f64 v[23:24], v[23:24], 2
	v_add_f64 v[31:32], v[21:22], v[25:26]
	v_cndmask_b32_e64 v24, 0, v24, s[0:1]
	v_cndmask_b32_e64 v23, 0, v23, s[0:1]
	v_add_f64 v[41:42], v[25:26], -v[29:30]
	v_add_f64 v[35:36], v[31:32], v[23:24]
	v_add_f64 v[21:22], v[31:32], -v[21:22]
	v_add_f64 v[43:44], v[25:26], -v[41:42]
	;; [unrolled: 1-line block ×3, first 2 shown]
	v_cmp_gt_f64_e64 s[0:1], 0, v[35:36]
	v_add_f64 v[35:36], v[29:30], -v[39:40]
	v_add_f64 v[21:22], v[25:26], -v[21:22]
	;; [unrolled: 1-line block ×3, first 2 shown]
	v_cndmask_b32_e64 v38, 0, v38, s[0:1]
	v_add_f64 v[23:24], v[23:24], v[37:38]
	v_add_f64 v[35:36], v[33:34], -v[35:36]
	v_add_f64 v[14:15], v[14:15], v[29:30]
	v_add_f64 v[45:46], v[31:32], v[23:24]
	;; [unrolled: 1-line block ×3, first 2 shown]
	v_cvt_i32_f64_e32 v40, v[45:46]
	v_add_f64 v[14:15], v[16:17], v[14:15]
	v_cvt_f64_i32_e32 v[38:39], v40
	v_add_f64 v[23:24], v[23:24], -v[38:39]
	v_add_f64 v[14:15], v[19:20], v[14:15]
	v_add_f64 v[16:17], v[31:32], v[23:24]
	;; [unrolled: 1-line block ×3, first 2 shown]
	v_mov_b32_e32 v21, 0x3ff00000
	v_add_f64 v[19:20], v[16:17], -v[23:24]
	v_cmp_le_f64_e64 s[0:1], 0.5, v[16:17]
	v_add_f64 v[19:20], v[31:32], -v[19:20]
	v_cndmask_b32_e64 v38, 0, v21, s[0:1]
	v_add_f64 v[16:17], v[16:17], -v[37:38]
	v_add_f64 v[14:15], v[14:15], v[19:20]
	v_add_f64 v[19:20], v[16:17], v[14:15]
	v_mul_f64 v[21:22], v[19:20], s[6:7]
	v_add_f64 v[16:17], v[19:20], -v[16:17]
	v_fma_f64 v[23:24], v[19:20], s[6:7], -v[21:22]
	v_add_f64 v[14:15], v[14:15], -v[16:17]
	v_fma_f64 v[16:17], v[19:20], s[10:11], v[23:24]
	v_fma_f64 v[16:17], v[14:15], s[6:7], v[16:17]
	v_add_f64 v[14:15], v[21:22], v[16:17]
	v_add_f64 v[19:20], v[14:15], -v[21:22]
	v_add_f64 v[16:17], v[16:17], -v[19:20]
	v_addc_co_u32_e64 v19, s[0:1], 0, v40, s[0:1]
.LBB4_17:
	s_andn2_saveexec_b64 s[0:1], s[4:5]
	s_cbranch_execz .LBB4_19
; %bb.18:
	s_mov_b32 s4, 0x6dc9c883
	s_mov_b32 s5, 0x3fe45f30
	v_mul_f64 v[14:15], |v[8:9]|, s[4:5]
	s_mov_b32 s4, 0x54442d18
	s_mov_b32 s5, 0xbff921fb
	;; [unrolled: 1-line block ×4, first 2 shown]
	v_rndne_f64_e32 v[19:20], v[14:15]
	v_fma_f64 v[14:15], v[19:20], s[4:5], |v[8:9]|
	v_mul_f64 v[16:17], v[19:20], s[6:7]
	s_mov_b32 s4, 0x252049c0
	s_mov_b32 s5, 0xb97b839a
	v_fma_f64 v[25:26], v[19:20], s[6:7], v[14:15]
	v_add_f64 v[21:22], v[14:15], v[16:17]
	s_mov_b32 s7, 0x3c91a626
	v_add_f64 v[23:24], v[14:15], -v[21:22]
	v_add_f64 v[21:22], v[21:22], -v[25:26]
	v_add_f64 v[14:15], v[23:24], v[16:17]
	v_fma_f64 v[16:17], v[19:20], s[6:7], v[16:17]
	v_add_f64 v[14:15], v[21:22], v[14:15]
	v_add_f64 v[14:15], v[14:15], -v[16:17]
	v_fma_f64 v[16:17], v[19:20], s[4:5], v[14:15]
	v_cvt_i32_f64_e32 v19, v[19:20]
	v_add_f64 v[14:15], v[25:26], v[16:17]
	v_add_f64 v[21:22], v[14:15], -v[25:26]
	v_add_f64 v[16:17], v[16:17], -v[21:22]
.LBB4_19:
	s_or_b64 exec, exec, s[0:1]
	v_mul_f64 v[20:21], v[14:15], v[14:15]
	s_mov_b32 s0, 0xf9a43bb8
	v_mov_b32_e32 v23, 0xb42fdfa7
	v_mov_b32_e32 v24, 0xbe5ae600
	s_mov_b32 s1, 0x3de5e0b2
	s_mov_b32 s4, 0x796cde01
	v_mov_b32_e32 v22, 0x9037ab78
	s_mov_b32 s5, 0x3ec71de3
	v_fma_f64 v[24:25], v[20:21], s[0:1], v[23:24]
	s_mov_b32 s0, 0x46cc5e42
	v_mov_b32_e32 v23, 0x3e21eeb6
	s_mov_b32 s1, 0xbda907db
	v_fma_f64 v[22:23], v[20:21], s[0:1], v[22:23]
	v_mul_f64 v[26:27], v[20:21], 0.5
	s_mov_b32 s0, 0xa17f65f6
	s_mov_b32 s6, 0x19e83e5c
	v_fma_f64 v[24:25], v[20:21], v[24:25], s[4:5]
	s_mov_b32 s1, 0xbe927e4f
	s_mov_b32 s7, 0xbf2a01a0
	;; [unrolled: 1-line block ×3, first 2 shown]
	v_fma_f64 v[22:23], v[20:21], v[22:23], s[0:1]
	v_add_f64 v[28:29], -v[26:27], 1.0
	s_mov_b32 s0, 0x11110bb3
	s_mov_b32 s5, 0x3efa01a0
	v_fma_f64 v[24:25], v[20:21], v[24:25], s[6:7]
	s_mov_b32 s1, 0x3f811111
	v_mul_f64 v[30:31], v[16:17], 0.5
	v_mul_f64 v[32:33], v[14:15], -v[20:21]
	v_fma_f64 v[22:23], v[20:21], v[22:23], s[4:5]
	v_add_f64 v[34:35], -v[28:29], 1.0
	s_movk_i32 s4, 0x1f8
	v_fma_f64 v[24:25], v[20:21], v[24:25], s[0:1]
	s_mov_b32 s0, 0x16c16967
	s_mov_b32 s1, 0xbf56c16c
	v_fma_f64 v[22:23], v[20:21], v[22:23], s[0:1]
	v_add_f64 v[26:27], v[34:35], -v[26:27]
	s_mov_b32 s1, 0x3fa55555
	s_mov_b32 s0, 0x55555555
	v_fma_f64 v[24:25], v[32:33], v[24:25], v[30:31]
	v_mul_f64 v[30:31], v[20:21], v[20:21]
	v_fma_f64 v[22:23], v[20:21], v[22:23], s[0:1]
	v_fma_f64 v[26:27], v[14:15], -v[16:17], v[26:27]
	s_mov_b32 s1, 0xbfc55555
	v_fma_f64 v[16:17], v[20:21], v[24:25], -v[16:17]
	v_fma_f64 v[20:21], v[30:31], v[22:23], v[26:27]
	v_fma_f64 v[16:17], v[32:33], s[0:1], v[16:17]
	v_add_f64 v[20:21], v[28:29], v[20:21]
	v_add_f64 v[14:15], v[14:15], -v[16:17]
	v_and_b32_e32 v16, 1, v19
	v_cmp_eq_u32_e64 s[0:1], 0, v16
	v_lshlrev_b32_e32 v17, 30, v19
	v_xor_b32_e32 v17, v17, v9
	v_and_b32_e32 v17, 0x80000000, v17
	v_mov_b32_e32 v19, 0x7ff80000
	v_cndmask_b32_e64 v14, v20, v14, s[0:1]
	v_cndmask_b32_e64 v15, v21, v15, s[0:1]
	v_cmp_class_f64_e64 s[0:1], v[8:9], s4
	v_xor_b32_e32 v15, v15, v17
	v_cndmask_b32_e64 v15, v19, v15, s[0:1]
	v_cndmask_b32_e64 v14, 0, v14, s[0:1]
.LBB4_20:
	s_or_b64 exec, exec, s[2:3]
	s_waitcnt vmcnt(0)
	v_or_b32_e32 v8, 0x200, v0
	v_cmp_gt_i32_e64 s[0:1], s13, v8
	s_and_saveexec_b64 s[4:5], s[0:1]
	s_cbranch_execz .LBB4_26
; %bb.21:
	s_mov_b32 s0, 0
	s_mov_b32 s1, 0x41d00000
	v_cmp_nlt_f64_e64 s[0:1], |v[4:5]|, s[0:1]
                                        ; implicit-def: $vgpr16
                                        ; implicit-def: $vgpr8_vgpr9
                                        ; implicit-def: $vgpr12_vgpr13
	s_and_saveexec_b64 s[2:3], s[0:1]
	s_xor_b64 s[6:7], exec, s[2:3]
	s_cbranch_execz .LBB4_23
; %bb.22:
	v_trig_preop_f64 v[8:9], |v[4:5]|, 0
	s_mov_b32 s0, 0
	s_mov_b32 s1, 0x7b000000
	s_movk_i32 s2, 0xff80
	v_ldexp_f64 v[16:17], |v[4:5]|, s2
	v_cmp_ge_f64_e64 s[0:1], |v[4:5]|, s[0:1]
	v_trig_preop_f64 v[12:13], |v[4:5]|, 1
	v_and_b32_e32 v19, 0x7fffffff, v5
	v_trig_preop_f64 v[25:26], |v[4:5]|, 2
	v_mov_b32_e32 v36, 0x40100000
	v_mov_b32_e32 v35, 0
	v_cndmask_b32_e64 v17, v19, v17, s[0:1]
	v_cndmask_b32_e64 v16, v4, v16, s[0:1]
	s_mov_b32 s0, 0
	v_mul_f64 v[19:20], v[8:9], v[16:17]
	s_mov_b32 s1, 0x7ff00000
	v_mul_f64 v[21:22], v[12:13], v[16:17]
	v_mul_f64 v[31:32], v[25:26], v[16:17]
	v_fma_f64 v[8:9], v[8:9], v[16:17], -v[19:20]
	v_fma_f64 v[12:13], v[12:13], v[16:17], -v[21:22]
	;; [unrolled: 1-line block ×3, first 2 shown]
	v_add_f64 v[23:24], v[21:22], v[8:9]
	v_add_f64 v[27:28], v[23:24], -v[21:22]
	v_add_f64 v[33:34], v[19:20], v[23:24]
	v_add_f64 v[29:30], v[23:24], -v[27:28]
	v_add_f64 v[8:9], v[8:9], -v[27:28]
	v_add_f64 v[27:28], v[31:32], v[12:13]
	v_add_f64 v[19:20], v[33:34], -v[19:20]
	v_add_f64 v[21:22], v[21:22], -v[29:30]
	v_ldexp_f64 v[29:30], v[33:34], -2
	v_add_f64 v[37:38], v[27:28], -v[31:32]
	v_add_f64 v[19:20], v[23:24], -v[19:20]
	v_add_f64 v[8:9], v[8:9], v[21:22]
	v_fract_f64_e32 v[21:22], v[29:30]
	v_cmp_neq_f64_e64 s[0:1], |v[29:30]|, s[0:1]
	v_add_f64 v[12:13], v[12:13], -v[37:38]
	v_add_f64 v[23:24], v[27:28], v[8:9]
	v_ldexp_f64 v[21:22], v[21:22], 2
	v_add_f64 v[29:30], v[19:20], v[23:24]
	v_cndmask_b32_e64 v22, 0, v22, s[0:1]
	v_cndmask_b32_e64 v21, 0, v21, s[0:1]
	v_add_f64 v[39:40], v[23:24], -v[27:28]
	v_add_f64 v[33:34], v[29:30], v[21:22]
	v_add_f64 v[19:20], v[29:30], -v[19:20]
	v_add_f64 v[41:42], v[23:24], -v[39:40]
	;; [unrolled: 1-line block ×3, first 2 shown]
	v_cmp_gt_f64_e64 s[0:1], 0, v[33:34]
	v_add_f64 v[33:34], v[27:28], -v[37:38]
	v_add_f64 v[19:20], v[23:24], -v[19:20]
	v_add_f64 v[27:28], v[27:28], -v[41:42]
	v_cndmask_b32_e64 v36, 0, v36, s[0:1]
	v_add_f64 v[21:22], v[21:22], v[35:36]
	v_add_f64 v[33:34], v[31:32], -v[33:34]
	v_add_f64 v[8:9], v[8:9], v[27:28]
	v_add_f64 v[43:44], v[29:30], v[21:22]
	;; [unrolled: 1-line block ×3, first 2 shown]
	v_cvt_i32_f64_e32 v38, v[43:44]
	v_add_f64 v[8:9], v[12:13], v[8:9]
	v_cvt_f64_i32_e32 v[36:37], v38
	v_add_f64 v[21:22], v[21:22], -v[36:37]
	v_add_f64 v[8:9], v[16:17], v[8:9]
	v_add_f64 v[12:13], v[29:30], v[21:22]
	;; [unrolled: 1-line block ×3, first 2 shown]
	v_add_f64 v[16:17], v[12:13], -v[21:22]
	v_cmp_le_f64_e64 s[0:1], 0.5, v[12:13]
	v_add_f64 v[19:20], v[29:30], -v[16:17]
	v_mov_b32_e32 v17, 0x3ff00000
	v_cndmask_b32_e64 v36, 0, v17, s[0:1]
	v_add_f64 v[12:13], v[12:13], -v[35:36]
	v_addc_co_u32_e64 v16, s[2:3], 0, v38, s[0:1]
	s_mov_b32 s0, 0x54442d18
	s_mov_b32 s1, 0x3ff921fb
	v_add_f64 v[8:9], v[8:9], v[19:20]
	s_mov_b32 s2, 0x33145c07
	s_mov_b32 s3, 0x3c91a626
	v_add_f64 v[19:20], v[12:13], v[8:9]
	v_mul_f64 v[21:22], v[19:20], s[0:1]
	v_add_f64 v[12:13], v[19:20], -v[12:13]
	v_fma_f64 v[23:24], v[19:20], s[0:1], -v[21:22]
	v_add_f64 v[8:9], v[8:9], -v[12:13]
	v_fma_f64 v[12:13], v[19:20], s[2:3], v[23:24]
	v_fma_f64 v[12:13], v[8:9], s[0:1], v[12:13]
	v_add_f64 v[8:9], v[21:22], v[12:13]
	v_add_f64 v[19:20], v[8:9], -v[21:22]
	v_add_f64 v[12:13], v[12:13], -v[19:20]
.LBB4_23:
	s_andn2_saveexec_b64 s[0:1], s[6:7]
	s_cbranch_execz .LBB4_25
; %bb.24:
	s_mov_b32 s2, 0x6dc9c883
	s_mov_b32 s3, 0x3fe45f30
	v_mul_f64 v[8:9], |v[4:5]|, s[2:3]
	s_mov_b32 s2, 0x54442d18
	s_mov_b32 s3, 0xbff921fb
	;; [unrolled: 1-line block ×4, first 2 shown]
	v_rndne_f64_e32 v[16:17], v[8:9]
	v_fma_f64 v[8:9], v[16:17], s[2:3], |v[4:5]|
	v_mul_f64 v[12:13], v[16:17], s[6:7]
	s_mov_b32 s2, 0x252049c0
	s_mov_b32 s3, 0xb97b839a
	v_fma_f64 v[23:24], v[16:17], s[6:7], v[8:9]
	v_add_f64 v[19:20], v[8:9], v[12:13]
	s_mov_b32 s7, 0x3c91a626
	v_add_f64 v[21:22], v[8:9], -v[19:20]
	v_add_f64 v[19:20], v[19:20], -v[23:24]
	v_add_f64 v[8:9], v[21:22], v[12:13]
	v_fma_f64 v[12:13], v[16:17], s[6:7], v[12:13]
	v_add_f64 v[8:9], v[19:20], v[8:9]
	v_add_f64 v[8:9], v[8:9], -v[12:13]
	v_fma_f64 v[12:13], v[16:17], s[2:3], v[8:9]
	v_cvt_i32_f64_e32 v16, v[16:17]
	v_add_f64 v[8:9], v[23:24], v[12:13]
	v_add_f64 v[19:20], v[8:9], -v[23:24]
	v_add_f64 v[12:13], v[12:13], -v[19:20]
.LBB4_25:
	s_or_b64 exec, exec, s[0:1]
	v_mul_f64 v[19:20], v[8:9], v[8:9]
	s_mov_b32 s0, 0xf9a43bb8
	v_mov_b32_e32 v22, 0xb42fdfa7
	v_mov_b32_e32 v23, 0xbe5ae600
	s_mov_b32 s1, 0x3de5e0b2
	s_mov_b32 s2, 0x796cde01
	v_mov_b32_e32 v21, 0x9037ab78
	s_mov_b32 s3, 0x3ec71de3
	v_fma_f64 v[23:24], v[19:20], s[0:1], v[22:23]
	s_mov_b32 s0, 0x46cc5e42
	v_mov_b32_e32 v22, 0x3e21eeb6
	s_mov_b32 s1, 0xbda907db
	v_fma_f64 v[21:22], v[19:20], s[0:1], v[21:22]
	v_mul_f64 v[25:26], v[19:20], 0.5
	s_mov_b32 s0, 0xa17f65f6
	s_mov_b32 s6, 0x19e83e5c
	v_fma_f64 v[23:24], v[19:20], v[23:24], s[2:3]
	s_mov_b32 s1, 0xbe927e4f
	s_mov_b32 s7, 0xbf2a01a0
	;; [unrolled: 1-line block ×3, first 2 shown]
	v_fma_f64 v[21:22], v[19:20], v[21:22], s[0:1]
	v_add_f64 v[27:28], -v[25:26], 1.0
	s_mov_b32 s0, 0x11110bb3
	s_mov_b32 s3, 0x3efa01a0
	v_fma_f64 v[23:24], v[19:20], v[23:24], s[6:7]
	s_mov_b32 s1, 0x3f811111
	v_mul_f64 v[29:30], v[12:13], 0.5
	v_mul_f64 v[31:32], v[8:9], -v[19:20]
	v_fma_f64 v[21:22], v[19:20], v[21:22], s[2:3]
	v_add_f64 v[33:34], -v[27:28], 1.0
	s_movk_i32 s2, 0x1f8
	v_fma_f64 v[23:24], v[19:20], v[23:24], s[0:1]
	s_mov_b32 s0, 0x16c16967
	s_mov_b32 s1, 0xbf56c16c
	v_fma_f64 v[21:22], v[19:20], v[21:22], s[0:1]
	v_add_f64 v[25:26], v[33:34], -v[25:26]
	s_mov_b32 s1, 0x3fa55555
	s_mov_b32 s0, 0x55555555
	v_fma_f64 v[23:24], v[31:32], v[23:24], v[29:30]
	v_mul_f64 v[29:30], v[19:20], v[19:20]
	v_fma_f64 v[21:22], v[19:20], v[21:22], s[0:1]
	v_fma_f64 v[25:26], v[8:9], -v[12:13], v[25:26]
	s_mov_b32 s1, 0xbfc55555
	v_fma_f64 v[12:13], v[19:20], v[23:24], -v[12:13]
	v_fma_f64 v[19:20], v[29:30], v[21:22], v[25:26]
	v_fma_f64 v[12:13], v[31:32], s[0:1], v[12:13]
	v_add_f64 v[19:20], v[27:28], v[19:20]
	v_add_f64 v[8:9], v[8:9], -v[12:13]
	v_and_b32_e32 v12, 1, v16
	v_cmp_eq_u32_e64 s[0:1], 0, v12
	v_lshlrev_b32_e32 v13, 30, v16
	v_xor_b32_e32 v13, v13, v5
	v_and_b32_e32 v13, 0x80000000, v13
	v_mov_b32_e32 v16, 0x7ff80000
	v_cndmask_b32_e64 v8, v19, v8, s[0:1]
	v_cndmask_b32_e64 v9, v20, v9, s[0:1]
	v_cmp_class_f64_e64 s[0:1], v[4:5], s2
	v_xor_b32_e32 v9, v9, v13
	v_cndmask_b32_e64 v13, v16, v9, s[0:1]
	v_cndmask_b32_e64 v12, 0, v8, s[0:1]
.LBB4_26:
	s_or_b64 exec, exec, s[4:5]
	v_or_b32_e32 v4, 0x300, v0
	v_cmp_gt_i32_e64 s[0:1], s13, v4
	s_and_saveexec_b64 s[4:5], s[0:1]
	s_cbranch_execnz .LBB4_32
; %bb.27:
	s_or_b64 exec, exec, s[4:5]
	s_and_saveexec_b64 s[0:1], vcc
	s_xor_b64 s[0:1], exec, s[0:1]
	s_cbranch_execnz .LBB4_37
.LBB4_28:
	s_or_b64 exec, exec, s[0:1]
	v_cmp_gt_i32_e32 vcc, s13, v0
	s_and_saveexec_b64 s[0:1], vcc
	s_cbranch_execnz .LBB4_38
.LBB4_29:
	s_or_b64 exec, exec, s[0:1]
	v_cmp_gt_i32_e32 vcc, s13, v0
	s_and_saveexec_b64 s[0:1], vcc
	s_cbranch_execnz .LBB4_39
.LBB4_30:
	s_or_b64 exec, exec, s[0:1]
	v_cmp_gt_i32_e32 vcc, s13, v0
	s_and_saveexec_b64 s[0:1], vcc
	s_cbranch_execnz .LBB4_40
.LBB4_31:
	s_endpgm
.LBB4_32:
	s_mov_b32 s0, 0
	s_mov_b32 s1, 0x41d00000
	v_cmp_nlt_f64_e64 s[0:1], |v[2:3]|, s[0:1]
                                        ; implicit-def: $vgpr10
                                        ; implicit-def: $vgpr4_vgpr5
                                        ; implicit-def: $vgpr8_vgpr9
	s_and_saveexec_b64 s[2:3], s[0:1]
	s_xor_b64 s[6:7], exec, s[2:3]
	s_cbranch_execz .LBB4_34
; %bb.33:
	v_trig_preop_f64 v[4:5], |v[2:3]|, 0
	s_mov_b32 s0, 0
	s_mov_b32 s1, 0x7b000000
	s_movk_i32 s2, 0xff80
	v_ldexp_f64 v[10:11], |v[2:3]|, s2
	v_cmp_ge_f64_e64 s[0:1], |v[2:3]|, s[0:1]
	v_trig_preop_f64 v[8:9], |v[2:3]|, 1
	v_and_b32_e32 v16, 0x7fffffff, v3
	v_trig_preop_f64 v[23:24], |v[2:3]|, 2
	v_mov_b32_e32 v34, 0x40100000
	v_mov_b32_e32 v33, 0
	v_cndmask_b32_e64 v11, v16, v11, s[0:1]
	v_cndmask_b32_e64 v10, v2, v10, s[0:1]
	s_mov_b32 s0, 0
	v_mul_f64 v[16:17], v[4:5], v[10:11]
	s_mov_b32 s1, 0x7ff00000
	v_mul_f64 v[19:20], v[8:9], v[10:11]
	v_mul_f64 v[29:30], v[23:24], v[10:11]
	v_fma_f64 v[4:5], v[4:5], v[10:11], -v[16:17]
	v_fma_f64 v[8:9], v[8:9], v[10:11], -v[19:20]
	;; [unrolled: 1-line block ×3, first 2 shown]
	v_add_f64 v[21:22], v[19:20], v[4:5]
	v_add_f64 v[25:26], v[21:22], -v[19:20]
	v_add_f64 v[31:32], v[16:17], v[21:22]
	v_add_f64 v[27:28], v[21:22], -v[25:26]
	v_add_f64 v[4:5], v[4:5], -v[25:26]
	v_add_f64 v[25:26], v[29:30], v[8:9]
	v_add_f64 v[16:17], v[31:32], -v[16:17]
	v_add_f64 v[19:20], v[19:20], -v[27:28]
	v_ldexp_f64 v[27:28], v[31:32], -2
	v_add_f64 v[35:36], v[25:26], -v[29:30]
	v_add_f64 v[16:17], v[21:22], -v[16:17]
	v_add_f64 v[4:5], v[4:5], v[19:20]
	v_fract_f64_e32 v[19:20], v[27:28]
	v_cmp_neq_f64_e64 s[0:1], |v[27:28]|, s[0:1]
	v_add_f64 v[8:9], v[8:9], -v[35:36]
	v_add_f64 v[21:22], v[25:26], v[4:5]
	v_ldexp_f64 v[19:20], v[19:20], 2
	v_add_f64 v[27:28], v[16:17], v[21:22]
	v_cndmask_b32_e64 v20, 0, v20, s[0:1]
	v_cndmask_b32_e64 v19, 0, v19, s[0:1]
	v_add_f64 v[37:38], v[21:22], -v[25:26]
	v_add_f64 v[31:32], v[27:28], v[19:20]
	v_add_f64 v[16:17], v[27:28], -v[16:17]
	v_add_f64 v[39:40], v[21:22], -v[37:38]
	v_add_f64 v[4:5], v[4:5], -v[37:38]
	v_cmp_gt_f64_e64 s[0:1], 0, v[31:32]
	v_add_f64 v[31:32], v[25:26], -v[35:36]
	v_add_f64 v[16:17], v[21:22], -v[16:17]
	;; [unrolled: 1-line block ×3, first 2 shown]
	v_cndmask_b32_e64 v34, 0, v34, s[0:1]
	v_add_f64 v[19:20], v[19:20], v[33:34]
	v_add_f64 v[31:32], v[29:30], -v[31:32]
	v_add_f64 v[4:5], v[4:5], v[25:26]
	v_add_f64 v[41:42], v[27:28], v[19:20]
	;; [unrolled: 1-line block ×3, first 2 shown]
	v_cvt_i32_f64_e32 v36, v[41:42]
	v_add_f64 v[4:5], v[8:9], v[4:5]
	v_cvt_f64_i32_e32 v[34:35], v36
	v_add_f64 v[19:20], v[19:20], -v[34:35]
	v_add_f64 v[4:5], v[10:11], v[4:5]
	v_add_f64 v[8:9], v[27:28], v[19:20]
	;; [unrolled: 1-line block ×3, first 2 shown]
	v_add_f64 v[10:11], v[8:9], -v[19:20]
	v_cmp_le_f64_e64 s[0:1], 0.5, v[8:9]
	v_add_f64 v[16:17], v[27:28], -v[10:11]
	v_mov_b32_e32 v11, 0x3ff00000
	v_cndmask_b32_e64 v34, 0, v11, s[0:1]
	v_add_f64 v[8:9], v[8:9], -v[33:34]
	v_addc_co_u32_e64 v10, s[2:3], 0, v36, s[0:1]
	s_mov_b32 s0, 0x54442d18
	s_mov_b32 s1, 0x3ff921fb
	v_add_f64 v[4:5], v[4:5], v[16:17]
	s_mov_b32 s2, 0x33145c07
	s_mov_b32 s3, 0x3c91a626
	v_add_f64 v[16:17], v[8:9], v[4:5]
	v_mul_f64 v[19:20], v[16:17], s[0:1]
	v_add_f64 v[8:9], v[16:17], -v[8:9]
	v_fma_f64 v[21:22], v[16:17], s[0:1], -v[19:20]
	v_add_f64 v[4:5], v[4:5], -v[8:9]
	v_fma_f64 v[8:9], v[16:17], s[2:3], v[21:22]
	v_fma_f64 v[8:9], v[4:5], s[0:1], v[8:9]
	v_add_f64 v[4:5], v[19:20], v[8:9]
	v_add_f64 v[16:17], v[4:5], -v[19:20]
	v_add_f64 v[8:9], v[8:9], -v[16:17]
.LBB4_34:
	s_andn2_saveexec_b64 s[0:1], s[6:7]
	s_cbranch_execz .LBB4_36
; %bb.35:
	s_mov_b32 s2, 0x6dc9c883
	s_mov_b32 s3, 0x3fe45f30
	v_mul_f64 v[4:5], |v[2:3]|, s[2:3]
	s_mov_b32 s2, 0x54442d18
	s_mov_b32 s3, 0xbff921fb
	;; [unrolled: 1-line block ×4, first 2 shown]
	v_rndne_f64_e32 v[10:11], v[4:5]
	v_fma_f64 v[4:5], v[10:11], s[2:3], |v[2:3]|
	v_mul_f64 v[8:9], v[10:11], s[6:7]
	s_mov_b32 s2, 0x252049c0
	s_mov_b32 s3, 0xb97b839a
	v_fma_f64 v[21:22], v[10:11], s[6:7], v[4:5]
	v_add_f64 v[16:17], v[4:5], v[8:9]
	s_mov_b32 s7, 0x3c91a626
	v_add_f64 v[19:20], v[4:5], -v[16:17]
	v_add_f64 v[16:17], v[16:17], -v[21:22]
	v_add_f64 v[4:5], v[19:20], v[8:9]
	v_fma_f64 v[8:9], v[10:11], s[6:7], v[8:9]
	v_add_f64 v[4:5], v[16:17], v[4:5]
	v_add_f64 v[4:5], v[4:5], -v[8:9]
	v_fma_f64 v[8:9], v[10:11], s[2:3], v[4:5]
	v_cvt_i32_f64_e32 v10, v[10:11]
	v_add_f64 v[4:5], v[21:22], v[8:9]
	v_add_f64 v[16:17], v[4:5], -v[21:22]
	v_add_f64 v[8:9], v[8:9], -v[16:17]
.LBB4_36:
	s_or_b64 exec, exec, s[0:1]
	v_mul_f64 v[16:17], v[4:5], v[4:5]
	s_mov_b32 s0, 0xf9a43bb8
	v_mov_b32_e32 v20, 0xb42fdfa7
	v_mov_b32_e32 v21, 0xbe5ae600
	s_mov_b32 s1, 0x3de5e0b2
	s_mov_b32 s2, 0x796cde01
	v_mov_b32_e32 v19, 0x9037ab78
	s_mov_b32 s3, 0x3ec71de3
	v_fma_f64 v[21:22], v[16:17], s[0:1], v[20:21]
	s_mov_b32 s0, 0x46cc5e42
	v_mov_b32_e32 v20, 0x3e21eeb6
	s_mov_b32 s1, 0xbda907db
	v_fma_f64 v[19:20], v[16:17], s[0:1], v[19:20]
	v_mul_f64 v[23:24], v[16:17], 0.5
	s_mov_b32 s0, 0xa17f65f6
	s_mov_b32 s6, 0x19e83e5c
	v_fma_f64 v[21:22], v[16:17], v[21:22], s[2:3]
	s_mov_b32 s1, 0xbe927e4f
	s_mov_b32 s7, 0xbf2a01a0
	;; [unrolled: 1-line block ×3, first 2 shown]
	v_fma_f64 v[19:20], v[16:17], v[19:20], s[0:1]
	v_add_f64 v[25:26], -v[23:24], 1.0
	s_mov_b32 s0, 0x11110bb3
	s_mov_b32 s3, 0x3efa01a0
	v_fma_f64 v[21:22], v[16:17], v[21:22], s[6:7]
	s_mov_b32 s1, 0x3f811111
	v_mul_f64 v[27:28], v[8:9], 0.5
	v_mul_f64 v[29:30], v[4:5], -v[16:17]
	v_fma_f64 v[19:20], v[16:17], v[19:20], s[2:3]
	v_add_f64 v[31:32], -v[25:26], 1.0
	s_movk_i32 s2, 0x1f8
	v_fma_f64 v[21:22], v[16:17], v[21:22], s[0:1]
	s_mov_b32 s0, 0x16c16967
	s_mov_b32 s1, 0xbf56c16c
	v_fma_f64 v[19:20], v[16:17], v[19:20], s[0:1]
	v_add_f64 v[23:24], v[31:32], -v[23:24]
	s_mov_b32 s1, 0x3fa55555
	s_mov_b32 s0, 0x55555555
	v_fma_f64 v[21:22], v[29:30], v[21:22], v[27:28]
	v_mul_f64 v[27:28], v[16:17], v[16:17]
	v_fma_f64 v[19:20], v[16:17], v[19:20], s[0:1]
	v_fma_f64 v[23:24], v[4:5], -v[8:9], v[23:24]
	s_mov_b32 s1, 0xbfc55555
	v_fma_f64 v[8:9], v[16:17], v[21:22], -v[8:9]
	v_fma_f64 v[16:17], v[27:28], v[19:20], v[23:24]
	v_fma_f64 v[8:9], v[29:30], s[0:1], v[8:9]
	v_add_f64 v[16:17], v[25:26], v[16:17]
	v_add_f64 v[4:5], v[4:5], -v[8:9]
	v_and_b32_e32 v8, 1, v10
	v_cmp_eq_u32_e64 s[0:1], 0, v8
	v_lshlrev_b32_e32 v9, 30, v10
	v_xor_b32_e32 v9, v9, v3
	v_and_b32_e32 v9, 0x80000000, v9
	v_mov_b32_e32 v10, 0x7ff80000
	v_cndmask_b32_e64 v4, v16, v4, s[0:1]
	v_cndmask_b32_e64 v5, v17, v5, s[0:1]
	v_cmp_class_f64_e64 s[0:1], v[2:3], s2
	v_xor_b32_e32 v5, v5, v9
	v_cndmask_b32_e64 v11, v10, v5, s[0:1]
	v_cndmask_b32_e64 v10, 0, v4, s[0:1]
	s_or_b64 exec, exec, s[4:5]
	s_and_saveexec_b64 s[0:1], vcc
	s_xor_b64 s[0:1], exec, s[0:1]
	s_cbranch_execz .LBB4_28
.LBB4_37:
	v_mov_b32_e32 v2, 0
	v_lshlrev_b64 v[0:1], 3, v[1:2]
	v_mov_b32_e32 v2, s9
	v_add_co_u32_e32 v0, vcc, s8, v0
	v_addc_co_u32_e32 v1, vcc, v2, v1, vcc
	global_store_dwordx2 v[0:1], v[6:7], off
	v_mov_b32_e32 v0, v18
	s_or_b64 exec, exec, s[0:1]
	v_cmp_gt_i32_e32 vcc, s13, v0
	s_and_saveexec_b64 s[0:1], vcc
	s_cbranch_execz .LBB4_29
.LBB4_38:
	v_add_u32_e32 v2, 0x100, v0
	v_add_u32_e32 v0, s12, v0
	v_mov_b32_e32 v1, 0
	v_lshlrev_b64 v[0:1], 3, v[0:1]
	v_mov_b32_e32 v3, s9
	v_add_co_u32_e32 v0, vcc, s8, v0
	v_addc_co_u32_e32 v1, vcc, v3, v1, vcc
	global_store_dwordx2 v[0:1], v[14:15], off
	v_mov_b32_e32 v0, v2
	s_or_b64 exec, exec, s[0:1]
	v_cmp_gt_i32_e32 vcc, s13, v0
	s_and_saveexec_b64 s[0:1], vcc
	s_cbranch_execz .LBB4_30
.LBB4_39:
	v_add_u32_e32 v2, 0x100, v0
	v_add_u32_e32 v0, s12, v0
	v_mov_b32_e32 v1, 0
	v_lshlrev_b64 v[0:1], 3, v[0:1]
	v_mov_b32_e32 v3, s9
	v_add_co_u32_e32 v0, vcc, s8, v0
	v_addc_co_u32_e32 v1, vcc, v3, v1, vcc
	global_store_dwordx2 v[0:1], v[12:13], off
	v_mov_b32_e32 v0, v2
	s_or_b64 exec, exec, s[0:1]
	v_cmp_gt_i32_e32 vcc, s13, v0
	s_and_saveexec_b64 s[0:1], vcc
	s_cbranch_execz .LBB4_31
.LBB4_40:
	v_add_u32_e32 v0, s12, v0
	v_mov_b32_e32 v1, 0
	v_lshlrev_b64 v[0:1], 3, v[0:1]
	v_mov_b32_e32 v2, s9
	v_add_co_u32_e32 v0, vcc, s8, v0
	v_addc_co_u32_e32 v1, vcc, v2, v1, vcc
	global_store_dwordx2 v[0:1], v[10:11], off
	s_endpgm
	.section	.rodata,"a",@progbits
	.p2align	6, 0x0
	.amdhsa_kernel _ZN2at6native27unrolled_elementwise_kernelIZZZNS0_15sin_kernel_cudaERNS_18TensorIteratorBaseEENKUlvE0_clEvENKUlvE_clEvEUldE_St5arrayIPcLm2EELi4E23TrivialOffsetCalculatorILi1EjESB_NS0_6memory15LoadWithoutCastENSC_16StoreWithoutCastEEEviT_T0_T2_T3_T4_T5_
		.amdhsa_group_segment_fixed_size 0
		.amdhsa_private_segment_fixed_size 0
		.amdhsa_kernarg_size 28
		.amdhsa_user_sgpr_count 6
		.amdhsa_user_sgpr_private_segment_buffer 1
		.amdhsa_user_sgpr_dispatch_ptr 0
		.amdhsa_user_sgpr_queue_ptr 0
		.amdhsa_user_sgpr_kernarg_segment_ptr 1
		.amdhsa_user_sgpr_dispatch_id 0
		.amdhsa_user_sgpr_flat_scratch_init 0
		.amdhsa_user_sgpr_private_segment_size 0
		.amdhsa_uses_dynamic_stack 0
		.amdhsa_system_sgpr_private_segment_wavefront_offset 0
		.amdhsa_system_sgpr_workgroup_id_x 1
		.amdhsa_system_sgpr_workgroup_id_y 0
		.amdhsa_system_sgpr_workgroup_id_z 0
		.amdhsa_system_sgpr_workgroup_info 0
		.amdhsa_system_vgpr_workitem_id 0
		.amdhsa_next_free_vgpr 47
		.amdhsa_next_free_sgpr 14
		.amdhsa_reserve_vcc 1
		.amdhsa_reserve_flat_scratch 0
		.amdhsa_float_round_mode_32 0
		.amdhsa_float_round_mode_16_64 0
		.amdhsa_float_denorm_mode_32 3
		.amdhsa_float_denorm_mode_16_64 3
		.amdhsa_dx10_clamp 1
		.amdhsa_ieee_mode 1
		.amdhsa_fp16_overflow 0
		.amdhsa_exception_fp_ieee_invalid_op 0
		.amdhsa_exception_fp_denorm_src 0
		.amdhsa_exception_fp_ieee_div_zero 0
		.amdhsa_exception_fp_ieee_overflow 0
		.amdhsa_exception_fp_ieee_underflow 0
		.amdhsa_exception_fp_ieee_inexact 0
		.amdhsa_exception_int_div_zero 0
	.end_amdhsa_kernel
	.section	.text._ZN2at6native27unrolled_elementwise_kernelIZZZNS0_15sin_kernel_cudaERNS_18TensorIteratorBaseEENKUlvE0_clEvENKUlvE_clEvEUldE_St5arrayIPcLm2EELi4E23TrivialOffsetCalculatorILi1EjESB_NS0_6memory15LoadWithoutCastENSC_16StoreWithoutCastEEEviT_T0_T2_T3_T4_T5_,"axG",@progbits,_ZN2at6native27unrolled_elementwise_kernelIZZZNS0_15sin_kernel_cudaERNS_18TensorIteratorBaseEENKUlvE0_clEvENKUlvE_clEvEUldE_St5arrayIPcLm2EELi4E23TrivialOffsetCalculatorILi1EjESB_NS0_6memory15LoadWithoutCastENSC_16StoreWithoutCastEEEviT_T0_T2_T3_T4_T5_,comdat
.Lfunc_end4:
	.size	_ZN2at6native27unrolled_elementwise_kernelIZZZNS0_15sin_kernel_cudaERNS_18TensorIteratorBaseEENKUlvE0_clEvENKUlvE_clEvEUldE_St5arrayIPcLm2EELi4E23TrivialOffsetCalculatorILi1EjESB_NS0_6memory15LoadWithoutCastENSC_16StoreWithoutCastEEEviT_T0_T2_T3_T4_T5_, .Lfunc_end4-_ZN2at6native27unrolled_elementwise_kernelIZZZNS0_15sin_kernel_cudaERNS_18TensorIteratorBaseEENKUlvE0_clEvENKUlvE_clEvEUldE_St5arrayIPcLm2EELi4E23TrivialOffsetCalculatorILi1EjESB_NS0_6memory15LoadWithoutCastENSC_16StoreWithoutCastEEEviT_T0_T2_T3_T4_T5_
                                        ; -- End function
	.set _ZN2at6native27unrolled_elementwise_kernelIZZZNS0_15sin_kernel_cudaERNS_18TensorIteratorBaseEENKUlvE0_clEvENKUlvE_clEvEUldE_St5arrayIPcLm2EELi4E23TrivialOffsetCalculatorILi1EjESB_NS0_6memory15LoadWithoutCastENSC_16StoreWithoutCastEEEviT_T0_T2_T3_T4_T5_.num_vgpr, 47
	.set _ZN2at6native27unrolled_elementwise_kernelIZZZNS0_15sin_kernel_cudaERNS_18TensorIteratorBaseEENKUlvE0_clEvENKUlvE_clEvEUldE_St5arrayIPcLm2EELi4E23TrivialOffsetCalculatorILi1EjESB_NS0_6memory15LoadWithoutCastENSC_16StoreWithoutCastEEEviT_T0_T2_T3_T4_T5_.num_agpr, 0
	.set _ZN2at6native27unrolled_elementwise_kernelIZZZNS0_15sin_kernel_cudaERNS_18TensorIteratorBaseEENKUlvE0_clEvENKUlvE_clEvEUldE_St5arrayIPcLm2EELi4E23TrivialOffsetCalculatorILi1EjESB_NS0_6memory15LoadWithoutCastENSC_16StoreWithoutCastEEEviT_T0_T2_T3_T4_T5_.numbered_sgpr, 14
	.set _ZN2at6native27unrolled_elementwise_kernelIZZZNS0_15sin_kernel_cudaERNS_18TensorIteratorBaseEENKUlvE0_clEvENKUlvE_clEvEUldE_St5arrayIPcLm2EELi4E23TrivialOffsetCalculatorILi1EjESB_NS0_6memory15LoadWithoutCastENSC_16StoreWithoutCastEEEviT_T0_T2_T3_T4_T5_.num_named_barrier, 0
	.set _ZN2at6native27unrolled_elementwise_kernelIZZZNS0_15sin_kernel_cudaERNS_18TensorIteratorBaseEENKUlvE0_clEvENKUlvE_clEvEUldE_St5arrayIPcLm2EELi4E23TrivialOffsetCalculatorILi1EjESB_NS0_6memory15LoadWithoutCastENSC_16StoreWithoutCastEEEviT_T0_T2_T3_T4_T5_.private_seg_size, 0
	.set _ZN2at6native27unrolled_elementwise_kernelIZZZNS0_15sin_kernel_cudaERNS_18TensorIteratorBaseEENKUlvE0_clEvENKUlvE_clEvEUldE_St5arrayIPcLm2EELi4E23TrivialOffsetCalculatorILi1EjESB_NS0_6memory15LoadWithoutCastENSC_16StoreWithoutCastEEEviT_T0_T2_T3_T4_T5_.uses_vcc, 1
	.set _ZN2at6native27unrolled_elementwise_kernelIZZZNS0_15sin_kernel_cudaERNS_18TensorIteratorBaseEENKUlvE0_clEvENKUlvE_clEvEUldE_St5arrayIPcLm2EELi4E23TrivialOffsetCalculatorILi1EjESB_NS0_6memory15LoadWithoutCastENSC_16StoreWithoutCastEEEviT_T0_T2_T3_T4_T5_.uses_flat_scratch, 0
	.set _ZN2at6native27unrolled_elementwise_kernelIZZZNS0_15sin_kernel_cudaERNS_18TensorIteratorBaseEENKUlvE0_clEvENKUlvE_clEvEUldE_St5arrayIPcLm2EELi4E23TrivialOffsetCalculatorILi1EjESB_NS0_6memory15LoadWithoutCastENSC_16StoreWithoutCastEEEviT_T0_T2_T3_T4_T5_.has_dyn_sized_stack, 0
	.set _ZN2at6native27unrolled_elementwise_kernelIZZZNS0_15sin_kernel_cudaERNS_18TensorIteratorBaseEENKUlvE0_clEvENKUlvE_clEvEUldE_St5arrayIPcLm2EELi4E23TrivialOffsetCalculatorILi1EjESB_NS0_6memory15LoadWithoutCastENSC_16StoreWithoutCastEEEviT_T0_T2_T3_T4_T5_.has_recursion, 0
	.set _ZN2at6native27unrolled_elementwise_kernelIZZZNS0_15sin_kernel_cudaERNS_18TensorIteratorBaseEENKUlvE0_clEvENKUlvE_clEvEUldE_St5arrayIPcLm2EELi4E23TrivialOffsetCalculatorILi1EjESB_NS0_6memory15LoadWithoutCastENSC_16StoreWithoutCastEEEviT_T0_T2_T3_T4_T5_.has_indirect_call, 0
	.section	.AMDGPU.csdata,"",@progbits
; Kernel info:
; codeLenInByte = 6228
; TotalNumSgprs: 18
; NumVgprs: 47
; ScratchSize: 0
; MemoryBound: 0
; FloatMode: 240
; IeeeMode: 1
; LDSByteSize: 0 bytes/workgroup (compile time only)
; SGPRBlocks: 2
; VGPRBlocks: 11
; NumSGPRsForWavesPerEU: 18
; NumVGPRsForWavesPerEU: 47
; Occupancy: 5
; WaveLimiterHint : 0
; COMPUTE_PGM_RSRC2:SCRATCH_EN: 0
; COMPUTE_PGM_RSRC2:USER_SGPR: 6
; COMPUTE_PGM_RSRC2:TRAP_HANDLER: 0
; COMPUTE_PGM_RSRC2:TGID_X_EN: 1
; COMPUTE_PGM_RSRC2:TGID_Y_EN: 0
; COMPUTE_PGM_RSRC2:TGID_Z_EN: 0
; COMPUTE_PGM_RSRC2:TIDIG_COMP_CNT: 0
	.section	.text._ZN2at6native32elementwise_kernel_manual_unrollILi128ELi4EZNS0_22gpu_kernel_impl_nocastIZZZNS0_15sin_kernel_cudaERNS_18TensorIteratorBaseEENKUlvE0_clEvENKUlvE_clEvEUldE_EEvS4_RKT_EUlibE_EEviT1_,"axG",@progbits,_ZN2at6native32elementwise_kernel_manual_unrollILi128ELi4EZNS0_22gpu_kernel_impl_nocastIZZZNS0_15sin_kernel_cudaERNS_18TensorIteratorBaseEENKUlvE0_clEvENKUlvE_clEvEUldE_EEvS4_RKT_EUlibE_EEviT1_,comdat
	.globl	_ZN2at6native32elementwise_kernel_manual_unrollILi128ELi4EZNS0_22gpu_kernel_impl_nocastIZZZNS0_15sin_kernel_cudaERNS_18TensorIteratorBaseEENKUlvE0_clEvENKUlvE_clEvEUldE_EEvS4_RKT_EUlibE_EEviT1_ ; -- Begin function _ZN2at6native32elementwise_kernel_manual_unrollILi128ELi4EZNS0_22gpu_kernel_impl_nocastIZZZNS0_15sin_kernel_cudaERNS_18TensorIteratorBaseEENKUlvE0_clEvENKUlvE_clEvEUldE_EEvS4_RKT_EUlibE_EEviT1_
	.p2align	8
	.type	_ZN2at6native32elementwise_kernel_manual_unrollILi128ELi4EZNS0_22gpu_kernel_impl_nocastIZZZNS0_15sin_kernel_cudaERNS_18TensorIteratorBaseEENKUlvE0_clEvENKUlvE_clEvEUldE_EEvS4_RKT_EUlibE_EEviT1_,@function
_ZN2at6native32elementwise_kernel_manual_unrollILi128ELi4EZNS0_22gpu_kernel_impl_nocastIZZZNS0_15sin_kernel_cudaERNS_18TensorIteratorBaseEENKUlvE0_clEvENKUlvE_clEvEUldE_EEvS4_RKT_EUlibE_EEviT1_: ; @_ZN2at6native32elementwise_kernel_manual_unrollILi128ELi4EZNS0_22gpu_kernel_impl_nocastIZZZNS0_15sin_kernel_cudaERNS_18TensorIteratorBaseEENKUlvE0_clEvENKUlvE_clEvEUldE_EEvS4_RKT_EUlibE_EEviT1_
; %bb.0:
	s_load_dword s55, s[4:5], 0x0
	s_load_dword s33, s[4:5], 0x8
	s_add_u32 s34, s4, 8
	s_addc_u32 s35, s5, 0
	v_lshl_or_b32 v8, s6, 9, v0
	v_or_b32_e32 v9, 0x180, v8
	s_waitcnt lgkmcnt(0)
	s_add_i32 s54, s33, -1
	s_cmp_gt_u32 s54, 1
	v_cmp_le_i32_e32 vcc, s55, v9
	s_cselect_b64 s[36:37], -1, 0
	s_and_saveexec_b64 s[0:1], vcc
	s_xor_b64 s[38:39], exec, s[0:1]
	s_cbranch_execz .LBB5_7
; %bb.1:
	s_load_dwordx4 s[24:27], s[34:35], 0x4
	s_load_dwordx2 s[40:41], s[34:35], 0x14
	s_load_dwordx4 s[20:23], s[34:35], 0xc4
	s_load_dwordx4 s[16:19], s[34:35], 0x148
	s_cmp_lg_u32 s33, 0
	s_cselect_b64 s[46:47], -1, 0
	s_add_u32 s44, s34, 0xc4
	s_addc_u32 s45, s35, 0
	s_min_u32 s56, s54, 15
	s_cmp_gt_u32 s33, 1
	s_cselect_b64 s[42:43], -1, 0
	v_cmp_gt_i32_e32 vcc, s55, v8
	s_and_saveexec_b64 s[48:49], vcc
	s_cbranch_execz .LBB5_14
; %bb.2:
	s_andn2_b64 vcc, exec, s[36:37]
	s_cbranch_vccnz .LBB5_21
; %bb.3:
	s_andn2_b64 vcc, exec, s[46:47]
	s_cbranch_vccnz .LBB5_89
; %bb.4:
	s_add_i32 s58, s56, 1
	s_cmp_eq_u32 s54, 2
	s_cbranch_scc1 .LBB5_91
; %bb.5:
	s_and_b32 s57, s58, 28
	v_mov_b32_e32 v2, 0
	s_mov_b32 s59, 0
	s_mov_b64 s[50:51], s[34:35]
	s_mov_b64 s[52:53], s[44:45]
	v_mov_b32_e32 v0, 0
	v_mov_b32_e32 v1, v8
.LBB5_6:                                ; =>This Inner Loop Header: Depth=1
	s_load_dwordx8 s[8:15], s[50:51], 0x4
	s_load_dwordx4 s[28:31], s[50:51], 0x24
	s_load_dwordx8 s[0:7], s[52:53], 0x0
	s_add_u32 s50, s50, 48
	s_addc_u32 s51, s51, 0
	s_waitcnt lgkmcnt(0)
	v_mul_hi_u32 v3, s9, v1
	s_add_i32 s59, s59, 4
	s_add_u32 s52, s52, 32
	s_addc_u32 s53, s53, 0
	v_add_u32_e32 v3, v1, v3
	v_lshrrev_b32_e32 v3, s10, v3
	v_mul_lo_u32 v4, v3, s8
	v_mul_hi_u32 v5, s12, v3
	s_cmp_lg_u32 s57, s59
	v_sub_u32_e32 v1, v1, v4
	v_add_u32_e32 v4, v3, v5
	v_mul_lo_u32 v5, v1, s0
	v_mul_lo_u32 v6, v1, s1
	v_lshrrev_b32_e32 v1, s13, v4
	v_mul_lo_u32 v4, v1, s11
	v_mul_hi_u32 v7, s15, v1
	v_sub_u32_e32 v3, v3, v4
	v_add_u32_e32 v4, v1, v7
	v_lshrrev_b32_e32 v4, s28, v4
	v_mul_hi_u32 v9, s30, v4
	v_mul_lo_u32 v10, v4, s14
	v_mul_lo_u32 v7, v3, s2
	;; [unrolled: 1-line block ×3, first 2 shown]
	v_sub_u32_e32 v10, v1, v10
	v_add_u32_e32 v1, v4, v9
	v_lshrrev_b32_e32 v1, s31, v1
	v_mul_lo_u32 v9, v1, s29
	v_mul_lo_u32 v11, v10, s4
	;; [unrolled: 1-line block ×3, first 2 shown]
	v_add3_u32 v0, v5, v0, v7
	v_sub_u32_e32 v4, v4, v9
	v_mul_lo_u32 v9, v4, s6
	v_mul_lo_u32 v4, v4, s7
	v_add3_u32 v2, v6, v2, v3
	v_add3_u32 v0, v11, v0, v9
	;; [unrolled: 1-line block ×3, first 2 shown]
	s_cbranch_scc1 .LBB5_6
	s_branch .LBB5_92
.LBB5_7:
	s_andn2_saveexec_b64 s[0:1], s[38:39]
	s_cbranch_execz .LBB5_125
.LBB5_8:
	v_cndmask_b32_e64 v0, 0, 1, s[36:37]
	v_cmp_ne_u32_e64 s[0:1], 1, v0
	s_andn2_b64 vcc, exec, s[36:37]
	s_cbranch_vccnz .LBB5_20
; %bb.9:
	s_cmp_lg_u32 s33, 0
	s_waitcnt lgkmcnt(0)
	s_mov_b32 s26, 0
	s_cbranch_scc0 .LBB5_23
; %bb.10:
	s_min_u32 s27, s54, 15
	s_add_i32 s27, s27, 1
	s_cmp_eq_u32 s54, 2
	s_cbranch_scc1 .LBB5_24
; %bb.11:
	s_and_b32 s26, s27, 28
	s_add_u32 s2, s34, 0xc4
	s_addc_u32 s3, s35, 0
	v_mov_b32_e32 v5, 0
	s_mov_b32 s28, 0
	s_mov_b64 s[24:25], s[34:35]
	v_mov_b32_e32 v0, 0
	v_mov_b32_e32 v1, v8
.LBB5_12:                               ; =>This Inner Loop Header: Depth=1
	s_load_dwordx8 s[12:19], s[24:25], 0x4
	s_load_dwordx4 s[20:23], s[24:25], 0x24
	s_load_dwordx8 s[4:11], s[2:3], 0x0
	s_add_u32 s24, s24, 48
	s_addc_u32 s25, s25, 0
	s_waitcnt lgkmcnt(0)
	v_mul_hi_u32 v2, s13, v1
	s_add_i32 s28, s28, 4
	s_add_u32 s2, s2, 32
	s_addc_u32 s3, s3, 0
	v_add_u32_e32 v2, v1, v2
	v_lshrrev_b32_e32 v2, s14, v2
	v_mul_lo_u32 v3, v2, s12
	v_mul_hi_u32 v4, s16, v2
	s_cmp_lg_u32 s26, s28
	v_sub_u32_e32 v1, v1, v3
	v_add_u32_e32 v3, v2, v4
	v_mul_lo_u32 v4, v1, s4
	v_mul_lo_u32 v6, v1, s5
	v_lshrrev_b32_e32 v1, s17, v3
	v_mul_lo_u32 v3, v1, s15
	v_mul_hi_u32 v7, s19, v1
	v_sub_u32_e32 v2, v2, v3
	v_add_u32_e32 v3, v1, v7
	v_lshrrev_b32_e32 v3, s20, v3
	v_mul_hi_u32 v10, s22, v3
	v_mul_lo_u32 v11, v3, s18
	v_mul_lo_u32 v7, v2, s6
	;; [unrolled: 1-line block ×3, first 2 shown]
	v_sub_u32_e32 v11, v1, v11
	v_add_u32_e32 v1, v3, v10
	v_lshrrev_b32_e32 v1, s23, v1
	v_mul_lo_u32 v10, v1, s21
	v_mul_lo_u32 v12, v11, s8
	;; [unrolled: 1-line block ×3, first 2 shown]
	v_add3_u32 v0, v4, v0, v7
	v_sub_u32_e32 v3, v3, v10
	v_mul_lo_u32 v10, v3, s10
	v_mul_lo_u32 v3, v3, s11
	v_add3_u32 v2, v6, v5, v2
	v_add3_u32 v0, v12, v0, v10
	;; [unrolled: 1-line block ×3, first 2 shown]
	s_cbranch_scc1 .LBB5_12
; %bb.13:
	s_and_b32 s6, s27, 3
	s_cmp_eq_u32 s6, 0
	s_cbranch_scc0 .LBB5_25
	s_branch .LBB5_27
.LBB5_14:
	s_or_b64 exec, exec, s[48:49]
	v_cmp_gt_i32_e32 vcc, s55, v8
	s_and_saveexec_b64 s[48:49], vcc
	s_cbranch_execz .LBB5_103
.LBB5_15:
	s_andn2_b64 vcc, exec, s[36:37]
	s_cbranch_vccnz .LBB5_22
; %bb.16:
	s_andn2_b64 vcc, exec, s[46:47]
	s_cbranch_vccnz .LBB5_90
; %bb.17:
	s_add_i32 s58, s56, 1
	s_cmp_eq_u32 s54, 2
	s_cbranch_scc1 .LBB5_111
; %bb.18:
	s_and_b32 s57, s58, 28
	v_mov_b32_e32 v2, 0
	s_mov_b32 s59, 0
	s_mov_b64 s[50:51], s[34:35]
	s_mov_b64 s[52:53], s[44:45]
	v_mov_b32_e32 v0, 0
	v_mov_b32_e32 v1, v8
.LBB5_19:                               ; =>This Inner Loop Header: Depth=1
	s_load_dwordx8 s[8:15], s[50:51], 0x4
	s_load_dwordx4 s[28:31], s[50:51], 0x24
	s_load_dwordx8 s[0:7], s[52:53], 0x0
	s_add_u32 s50, s50, 48
	s_addc_u32 s51, s51, 0
	s_waitcnt lgkmcnt(0)
	v_mul_hi_u32 v3, s9, v1
	s_add_i32 s59, s59, 4
	s_add_u32 s52, s52, 32
	s_addc_u32 s53, s53, 0
	v_add_u32_e32 v3, v1, v3
	v_lshrrev_b32_e32 v3, s10, v3
	v_mul_lo_u32 v4, v3, s8
	v_mul_hi_u32 v5, s12, v3
	s_cmp_eq_u32 s57, s59
	v_sub_u32_e32 v1, v1, v4
	v_add_u32_e32 v4, v3, v5
	v_mul_lo_u32 v5, v1, s0
	v_mul_lo_u32 v6, v1, s1
	v_lshrrev_b32_e32 v1, s13, v4
	v_mul_lo_u32 v4, v1, s11
	v_mul_hi_u32 v7, s15, v1
	v_sub_u32_e32 v3, v3, v4
	v_add_u32_e32 v4, v1, v7
	v_lshrrev_b32_e32 v4, s28, v4
	v_mul_hi_u32 v9, s30, v4
	v_mul_lo_u32 v10, v4, s14
	v_mul_lo_u32 v7, v3, s2
	;; [unrolled: 1-line block ×3, first 2 shown]
	v_sub_u32_e32 v10, v1, v10
	v_add_u32_e32 v1, v4, v9
	v_lshrrev_b32_e32 v1, s31, v1
	v_mul_lo_u32 v9, v1, s29
	v_mul_lo_u32 v11, v10, s4
	;; [unrolled: 1-line block ×3, first 2 shown]
	v_add3_u32 v0, v5, v0, v7
	v_sub_u32_e32 v4, v4, v9
	v_mul_lo_u32 v9, v4, s6
	v_mul_lo_u32 v4, v4, s7
	v_add3_u32 v2, v6, v2, v3
	v_add3_u32 v0, v11, v0, v9
	;; [unrolled: 1-line block ×3, first 2 shown]
	s_cbranch_scc0 .LBB5_19
	s_branch .LBB5_112
.LBB5_20:
                                        ; implicit-def: $vgpr0
                                        ; implicit-def: $vgpr5
	s_branch .LBB5_28
.LBB5_21:
                                        ; implicit-def: $vgpr0
                                        ; implicit-def: $vgpr2
	s_branch .LBB5_96
.LBB5_22:
                                        ; implicit-def: $vgpr0
                                        ; implicit-def: $vgpr2
	s_branch .LBB5_116
.LBB5_23:
	v_mov_b32_e32 v0, 0
	v_mov_b32_e32 v5, 0
	s_branch .LBB5_27
.LBB5_24:
	v_mov_b32_e32 v0, 0
	v_mov_b32_e32 v5, 0
	;; [unrolled: 1-line block ×3, first 2 shown]
	s_and_b32 s6, s27, 3
	s_cmp_eq_u32 s6, 0
	s_cbranch_scc1 .LBB5_27
.LBB5_25:
	s_lshl_b32 s2, s26, 3
	s_add_u32 s2, s34, s2
	s_addc_u32 s3, s35, 0
	s_add_u32 s2, s2, 0xc4
	s_addc_u32 s3, s3, 0
	s_mul_i32 s4, s26, 12
	s_add_u32 s4, s34, s4
	s_addc_u32 s5, s35, 0
.LBB5_26:                               ; =>This Inner Loop Header: Depth=1
	s_load_dwordx2 s[8:9], s[4:5], 0x4
	s_load_dword s7, s[4:5], 0xc
	s_load_dwordx2 s[10:11], s[2:3], 0x0
	s_add_u32 s4, s4, 12
	s_addc_u32 s5, s5, 0
	s_waitcnt lgkmcnt(0)
	v_mul_hi_u32 v2, s9, v1
	s_add_u32 s2, s2, 8
	s_addc_u32 s3, s3, 0
	s_add_i32 s6, s6, -1
	v_add_u32_e32 v2, v1, v2
	v_lshrrev_b32_e32 v2, s7, v2
	v_mul_lo_u32 v3, v2, s8
	s_cmp_lg_u32 s6, 0
	v_sub_u32_e32 v3, v1, v3
	v_mad_u64_u32 v[0:1], s[8:9], v3, s10, v[0:1]
	v_mad_u64_u32 v[5:6], s[8:9], v3, s11, v[5:6]
	v_mov_b32_e32 v1, v2
	s_cbranch_scc1 .LBB5_26
.LBB5_27:
	s_cbranch_execnz .LBB5_30
.LBB5_28:
	s_load_dwordx4 s[4:7], s[34:35], 0x4
	s_load_dwordx2 s[2:3], s[34:35], 0xc4
	s_cmp_lt_u32 s33, 2
	s_waitcnt lgkmcnt(0)
	v_mul_hi_u32 v0, s5, v8
	v_add_u32_e32 v0, v8, v0
	v_lshrrev_b32_e32 v1, s6, v0
	v_mul_lo_u32 v0, v1, s4
	v_sub_u32_e32 v2, v8, v0
	v_mul_lo_u32 v0, v2, s2
	v_mul_lo_u32 v5, v2, s3
	s_cbranch_scc1 .LBB5_30
; %bb.29:
	s_load_dwordx4 s[4:7], s[34:35], 0x10
	s_load_dwordx2 s[2:3], s[34:35], 0xcc
	s_waitcnt lgkmcnt(0)
	v_mul_hi_u32 v2, s5, v1
	v_add_u32_e32 v2, v1, v2
	v_lshrrev_b32_e32 v2, s6, v2
	v_mul_lo_u32 v2, v2, s4
	v_sub_u32_e32 v2, v1, v2
	v_mad_u64_u32 v[0:1], s[4:5], v2, s2, v[0:1]
	v_mad_u64_u32 v[5:6], s[2:3], v2, s3, v[5:6]
.LBB5_30:
	s_and_b64 vcc, exec, s[0:1]
	v_add_u32_e32 v3, 0x80, v8
	s_cbranch_vccnz .LBB5_36
; %bb.31:
	s_cmp_lg_u32 s33, 0
	s_waitcnt lgkmcnt(0)
	s_mov_b32 s26, 0
	s_cbranch_scc0 .LBB5_37
; %bb.32:
	s_min_u32 s27, s54, 15
	s_add_i32 s27, s27, 1
	s_cmp_eq_u32 s54, 2
	s_cbranch_scc1 .LBB5_38
; %bb.33:
	s_and_b32 s26, s27, 28
	s_add_u32 s2, s34, 0xc4
	s_addc_u32 s3, s35, 0
	v_mov_b32_e32 v6, 0
	s_mov_b32 s28, 0
	s_mov_b64 s[24:25], s[34:35]
	v_mov_b32_e32 v1, 0
	v_mov_b32_e32 v2, v3
.LBB5_34:                               ; =>This Inner Loop Header: Depth=1
	s_load_dwordx8 s[12:19], s[24:25], 0x4
	s_load_dwordx4 s[20:23], s[24:25], 0x24
	s_load_dwordx8 s[4:11], s[2:3], 0x0
	s_add_u32 s24, s24, 48
	s_addc_u32 s25, s25, 0
	s_waitcnt lgkmcnt(0)
	v_mul_hi_u32 v4, s13, v2
	s_add_i32 s28, s28, 4
	s_add_u32 s2, s2, 32
	s_addc_u32 s3, s3, 0
	v_add_u32_e32 v4, v2, v4
	v_lshrrev_b32_e32 v4, s14, v4
	v_mul_lo_u32 v7, v4, s12
	v_mul_hi_u32 v10, s16, v4
	s_cmp_lg_u32 s26, s28
	v_sub_u32_e32 v2, v2, v7
	v_add_u32_e32 v7, v4, v10
	v_mul_lo_u32 v10, v2, s4
	v_mul_lo_u32 v11, v2, s5
	v_lshrrev_b32_e32 v2, s17, v7
	v_mul_lo_u32 v7, v2, s15
	v_mul_hi_u32 v12, s19, v2
	v_sub_u32_e32 v4, v4, v7
	v_add_u32_e32 v7, v2, v12
	v_lshrrev_b32_e32 v7, s20, v7
	v_mul_hi_u32 v13, s22, v7
	v_mul_lo_u32 v14, v7, s18
	v_mul_lo_u32 v12, v4, s6
	;; [unrolled: 1-line block ×3, first 2 shown]
	v_sub_u32_e32 v14, v2, v14
	v_add_u32_e32 v2, v7, v13
	v_lshrrev_b32_e32 v2, s23, v2
	v_mul_lo_u32 v13, v2, s21
	v_mul_lo_u32 v15, v14, s8
	v_mul_lo_u32 v14, v14, s9
	v_add3_u32 v1, v10, v1, v12
	v_sub_u32_e32 v7, v7, v13
	v_mul_lo_u32 v13, v7, s10
	v_mul_lo_u32 v7, v7, s11
	v_add3_u32 v4, v11, v6, v4
	v_add3_u32 v1, v15, v1, v13
	;; [unrolled: 1-line block ×3, first 2 shown]
	s_cbranch_scc1 .LBB5_34
; %bb.35:
	s_and_b32 s6, s27, 3
	s_cmp_eq_u32 s6, 0
	s_cbranch_scc0 .LBB5_39
	s_branch .LBB5_41
.LBB5_36:
                                        ; implicit-def: $vgpr1
                                        ; implicit-def: $vgpr6
	s_branch .LBB5_42
.LBB5_37:
	v_mov_b32_e32 v1, 0
	v_mov_b32_e32 v6, 0
	s_branch .LBB5_41
.LBB5_38:
	v_mov_b32_e32 v1, 0
	v_mov_b32_e32 v6, 0
	;; [unrolled: 1-line block ×3, first 2 shown]
	s_and_b32 s6, s27, 3
	s_cmp_eq_u32 s6, 0
	s_cbranch_scc1 .LBB5_41
.LBB5_39:
	s_lshl_b32 s2, s26, 3
	s_add_u32 s2, s34, s2
	s_addc_u32 s3, s35, 0
	s_add_u32 s2, s2, 0xc4
	s_addc_u32 s3, s3, 0
	s_mul_i32 s4, s26, 12
	s_add_u32 s4, s34, s4
	s_addc_u32 s5, s35, 0
.LBB5_40:                               ; =>This Inner Loop Header: Depth=1
	s_load_dwordx2 s[8:9], s[4:5], 0x4
	s_load_dword s7, s[4:5], 0xc
	s_load_dwordx2 s[10:11], s[2:3], 0x0
	s_add_u32 s4, s4, 12
	s_addc_u32 s5, s5, 0
	s_waitcnt lgkmcnt(0)
	v_mul_hi_u32 v4, s9, v2
	s_add_u32 s2, s2, 8
	s_addc_u32 s3, s3, 0
	s_add_i32 s6, s6, -1
	v_add_u32_e32 v4, v2, v4
	v_lshrrev_b32_e32 v4, s7, v4
	v_mul_lo_u32 v7, v4, s8
	s_cmp_lg_u32 s6, 0
	v_sub_u32_e32 v7, v2, v7
	v_mad_u64_u32 v[1:2], s[8:9], v7, s10, v[1:2]
	v_mad_u64_u32 v[6:7], s[8:9], v7, s11, v[6:7]
	v_mov_b32_e32 v2, v4
	s_cbranch_scc1 .LBB5_40
.LBB5_41:
	s_cbranch_execnz .LBB5_44
.LBB5_42:
	s_load_dwordx4 s[4:7], s[34:35], 0x4
	s_load_dwordx2 s[2:3], s[34:35], 0xc4
	s_cmp_lt_u32 s33, 2
	s_waitcnt lgkmcnt(0)
	v_mul_hi_u32 v1, s5, v3
	v_add_u32_e32 v1, v3, v1
	v_lshrrev_b32_e32 v2, s6, v1
	v_mul_lo_u32 v1, v2, s4
	v_sub_u32_e32 v3, v3, v1
	v_mul_lo_u32 v1, v3, s2
	v_mul_lo_u32 v6, v3, s3
	s_cbranch_scc1 .LBB5_44
; %bb.43:
	s_load_dwordx4 s[4:7], s[34:35], 0x10
	s_load_dwordx2 s[2:3], s[34:35], 0xcc
	s_waitcnt lgkmcnt(0)
	v_mul_hi_u32 v3, s5, v2
	v_add_u32_e32 v3, v2, v3
	v_lshrrev_b32_e32 v3, s6, v3
	v_mul_lo_u32 v3, v3, s4
	v_sub_u32_e32 v3, v2, v3
	v_mad_u64_u32 v[1:2], s[4:5], v3, s2, v[1:2]
	v_mad_u64_u32 v[6:7], s[2:3], v3, s3, v[6:7]
.LBB5_44:
	s_and_b64 vcc, exec, s[0:1]
	v_add_u32_e32 v4, 0x100, v8
	s_cbranch_vccnz .LBB5_50
; %bb.45:
	s_cmp_lg_u32 s33, 0
	s_waitcnt lgkmcnt(0)
	s_mov_b32 s26, 0
	s_cbranch_scc0 .LBB5_51
; %bb.46:
	s_min_u32 s27, s54, 15
	s_add_i32 s27, s27, 1
	s_cmp_eq_u32 s54, 2
	s_cbranch_scc1 .LBB5_52
; %bb.47:
	s_and_b32 s26, s27, 28
	s_add_u32 s2, s34, 0xc4
	s_addc_u32 s3, s35, 0
	v_mov_b32_e32 v7, 0
	s_mov_b32 s28, 0
	s_mov_b64 s[24:25], s[34:35]
	v_mov_b32_e32 v2, 0
	v_mov_b32_e32 v3, v4
.LBB5_48:                               ; =>This Inner Loop Header: Depth=1
	s_load_dwordx8 s[12:19], s[24:25], 0x4
	s_load_dwordx4 s[20:23], s[24:25], 0x24
	s_load_dwordx8 s[4:11], s[2:3], 0x0
	s_add_u32 s24, s24, 48
	s_addc_u32 s25, s25, 0
	s_waitcnt lgkmcnt(0)
	v_mul_hi_u32 v8, s13, v3
	s_add_i32 s28, s28, 4
	s_add_u32 s2, s2, 32
	s_addc_u32 s3, s3, 0
	v_add_u32_e32 v8, v3, v8
	v_lshrrev_b32_e32 v8, s14, v8
	v_mul_lo_u32 v10, v8, s12
	v_mul_hi_u32 v11, s16, v8
	s_cmp_lg_u32 s26, s28
	v_sub_u32_e32 v3, v3, v10
	v_add_u32_e32 v10, v8, v11
	v_mul_lo_u32 v11, v3, s4
	v_mul_lo_u32 v12, v3, s5
	v_lshrrev_b32_e32 v3, s17, v10
	v_mul_lo_u32 v10, v3, s15
	v_mul_hi_u32 v13, s19, v3
	v_sub_u32_e32 v8, v8, v10
	v_add_u32_e32 v10, v3, v13
	v_lshrrev_b32_e32 v10, s20, v10
	v_mul_hi_u32 v14, s22, v10
	v_mul_lo_u32 v15, v10, s18
	v_mul_lo_u32 v13, v8, s6
	;; [unrolled: 1-line block ×3, first 2 shown]
	v_sub_u32_e32 v15, v3, v15
	v_add_u32_e32 v3, v10, v14
	v_lshrrev_b32_e32 v3, s23, v3
	v_mul_lo_u32 v14, v3, s21
	v_mul_lo_u32 v16, v15, s8
	;; [unrolled: 1-line block ×3, first 2 shown]
	v_add3_u32 v2, v11, v2, v13
	v_sub_u32_e32 v10, v10, v14
	v_mul_lo_u32 v14, v10, s10
	v_mul_lo_u32 v10, v10, s11
	v_add3_u32 v7, v12, v7, v8
	v_add3_u32 v2, v16, v2, v14
	;; [unrolled: 1-line block ×3, first 2 shown]
	s_cbranch_scc1 .LBB5_48
; %bb.49:
	s_and_b32 s6, s27, 3
	s_cmp_eq_u32 s6, 0
	s_cbranch_scc0 .LBB5_53
	s_branch .LBB5_55
.LBB5_50:
                                        ; implicit-def: $vgpr2
                                        ; implicit-def: $vgpr7
	s_branch .LBB5_56
.LBB5_51:
	v_mov_b32_e32 v2, 0
	v_mov_b32_e32 v7, 0
	s_branch .LBB5_55
.LBB5_52:
	v_mov_b32_e32 v2, 0
	v_mov_b32_e32 v7, 0
	;; [unrolled: 1-line block ×3, first 2 shown]
	s_and_b32 s6, s27, 3
	s_cmp_eq_u32 s6, 0
	s_cbranch_scc1 .LBB5_55
.LBB5_53:
	s_lshl_b32 s2, s26, 3
	s_add_u32 s2, s34, s2
	s_addc_u32 s3, s35, 0
	s_add_u32 s2, s2, 0xc4
	s_addc_u32 s3, s3, 0
	s_mul_i32 s4, s26, 12
	s_add_u32 s4, s34, s4
	s_addc_u32 s5, s35, 0
.LBB5_54:                               ; =>This Inner Loop Header: Depth=1
	s_load_dwordx2 s[8:9], s[4:5], 0x4
	s_load_dword s7, s[4:5], 0xc
	s_load_dwordx2 s[10:11], s[2:3], 0x0
	s_add_u32 s4, s4, 12
	s_addc_u32 s5, s5, 0
	s_waitcnt lgkmcnt(0)
	v_mul_hi_u32 v8, s9, v3
	s_add_u32 s2, s2, 8
	s_addc_u32 s3, s3, 0
	s_add_i32 s6, s6, -1
	v_add_u32_e32 v8, v3, v8
	v_lshrrev_b32_e32 v10, s7, v8
	v_mul_lo_u32 v8, v10, s8
	s_cmp_lg_u32 s6, 0
	v_sub_u32_e32 v8, v3, v8
	v_mad_u64_u32 v[2:3], s[8:9], v8, s10, v[2:3]
	v_mad_u64_u32 v[7:8], s[8:9], v8, s11, v[7:8]
	v_mov_b32_e32 v3, v10
	s_cbranch_scc1 .LBB5_54
.LBB5_55:
	s_cbranch_execnz .LBB5_58
.LBB5_56:
	s_load_dwordx4 s[4:7], s[34:35], 0x4
	s_load_dwordx2 s[2:3], s[34:35], 0xc4
	s_cmp_lt_u32 s33, 2
	s_waitcnt lgkmcnt(0)
	v_mul_hi_u32 v2, s5, v4
	v_add_u32_e32 v2, v4, v2
	v_lshrrev_b32_e32 v3, s6, v2
	v_mul_lo_u32 v2, v3, s4
	v_sub_u32_e32 v4, v4, v2
	v_mul_lo_u32 v2, v4, s2
	v_mul_lo_u32 v7, v4, s3
	s_cbranch_scc1 .LBB5_58
; %bb.57:
	s_load_dwordx4 s[4:7], s[34:35], 0x10
	s_load_dwordx2 s[2:3], s[34:35], 0xcc
	s_waitcnt lgkmcnt(0)
	v_mul_hi_u32 v4, s5, v3
	v_add_u32_e32 v4, v3, v4
	v_lshrrev_b32_e32 v4, s6, v4
	v_mul_lo_u32 v4, v4, s4
	v_sub_u32_e32 v4, v3, v4
	v_mad_u64_u32 v[2:3], s[4:5], v4, s2, v[2:3]
	v_mad_u64_u32 v[7:8], s[2:3], v4, s3, v[7:8]
.LBB5_58:
	s_and_b64 vcc, exec, s[0:1]
	s_cbranch_vccnz .LBB5_64
; %bb.59:
	s_cmp_lg_u32 s33, 0
	s_waitcnt lgkmcnt(0)
	s_mov_b32 s24, 0
	s_cbranch_scc0 .LBB5_65
; %bb.60:
	s_min_u32 s25, s54, 15
	s_add_i32 s25, s25, 1
	s_cmp_eq_u32 s54, 2
	s_cbranch_scc1 .LBB5_66
; %bb.61:
	s_and_b32 s24, s25, 28
	s_add_u32 s20, s34, 0xc4
	s_addc_u32 s21, s35, 0
	v_mov_b32_e32 v14, 0
	s_mov_b32 s26, 0
	s_mov_b64 s[22:23], s[34:35]
	v_mov_b32_e32 v3, 0
	v_mov_b32_e32 v4, v9
.LBB5_62:                               ; =>This Inner Loop Header: Depth=1
	s_load_dwordx8 s[8:15], s[22:23], 0x4
	s_load_dwordx4 s[16:19], s[22:23], 0x24
	s_load_dwordx8 s[0:7], s[20:21], 0x0
	s_add_u32 s22, s22, 48
	s_addc_u32 s23, s23, 0
	s_waitcnt lgkmcnt(0)
	v_mul_hi_u32 v8, s9, v4
	s_add_i32 s26, s26, 4
	s_add_u32 s20, s20, 32
	s_addc_u32 s21, s21, 0
	v_add_u32_e32 v8, v4, v8
	v_lshrrev_b32_e32 v8, s10, v8
	v_mul_lo_u32 v10, v8, s8
	v_mul_hi_u32 v11, s12, v8
	s_cmp_lg_u32 s24, s26
	v_sub_u32_e32 v4, v4, v10
	v_add_u32_e32 v10, v8, v11
	v_mul_lo_u32 v11, v4, s0
	v_mul_lo_u32 v12, v4, s1
	v_lshrrev_b32_e32 v4, s13, v10
	v_mul_lo_u32 v10, v4, s11
	v_mul_hi_u32 v13, s15, v4
	v_sub_u32_e32 v8, v8, v10
	v_add_u32_e32 v10, v4, v13
	v_lshrrev_b32_e32 v10, s16, v10
	v_mul_hi_u32 v15, s18, v10
	v_mul_lo_u32 v16, v10, s14
	v_mul_lo_u32 v13, v8, s2
	;; [unrolled: 1-line block ×3, first 2 shown]
	v_sub_u32_e32 v16, v4, v16
	v_add_u32_e32 v4, v10, v15
	v_lshrrev_b32_e32 v4, s19, v4
	v_mul_lo_u32 v15, v4, s17
	v_mul_lo_u32 v17, v16, s4
	;; [unrolled: 1-line block ×3, first 2 shown]
	v_add3_u32 v3, v11, v3, v13
	v_sub_u32_e32 v10, v10, v15
	v_mul_lo_u32 v15, v10, s6
	v_mul_lo_u32 v10, v10, s7
	v_add3_u32 v8, v12, v14, v8
	v_add3_u32 v3, v17, v3, v15
	v_add3_u32 v14, v16, v8, v10
	s_cbranch_scc1 .LBB5_62
; %bb.63:
	s_and_b32 s4, s25, 3
	s_cmp_eq_u32 s4, 0
	s_cbranch_scc0 .LBB5_67
	s_branch .LBB5_69
.LBB5_64:
                                        ; implicit-def: $vgpr3
                                        ; implicit-def: $vgpr14
	s_branch .LBB5_70
.LBB5_65:
	v_mov_b32_e32 v3, 0
	v_mov_b32_e32 v14, 0
	s_branch .LBB5_69
.LBB5_66:
	v_mov_b32_e32 v3, 0
	v_mov_b32_e32 v14, 0
	;; [unrolled: 1-line block ×3, first 2 shown]
	s_and_b32 s4, s25, 3
	s_cmp_eq_u32 s4, 0
	s_cbranch_scc1 .LBB5_69
.LBB5_67:
	s_lshl_b32 s0, s24, 3
	s_add_u32 s0, s34, s0
	s_addc_u32 s1, s35, 0
	s_add_u32 s0, s0, 0xc4
	s_addc_u32 s1, s1, 0
	s_mul_i32 s2, s24, 12
	s_add_u32 s2, s34, s2
	s_addc_u32 s3, s35, 0
.LBB5_68:                               ; =>This Inner Loop Header: Depth=1
	s_load_dwordx2 s[6:7], s[2:3], 0x4
	s_load_dword s5, s[2:3], 0xc
	s_load_dwordx2 s[8:9], s[0:1], 0x0
	s_add_u32 s2, s2, 12
	s_addc_u32 s3, s3, 0
	s_waitcnt lgkmcnt(0)
	v_mul_hi_u32 v8, s7, v4
	s_add_u32 s0, s0, 8
	s_addc_u32 s1, s1, 0
	s_add_i32 s4, s4, -1
	v_add_u32_e32 v8, v4, v8
	v_lshrrev_b32_e32 v8, s5, v8
	v_mul_lo_u32 v10, v8, s6
	s_cmp_lg_u32 s4, 0
	v_sub_u32_e32 v10, v4, v10
	v_mad_u64_u32 v[3:4], s[6:7], v10, s8, v[3:4]
	v_mad_u64_u32 v[14:15], s[6:7], v10, s9, v[14:15]
	v_mov_b32_e32 v4, v8
	s_cbranch_scc1 .LBB5_68
.LBB5_69:
	s_cbranch_execnz .LBB5_72
.LBB5_70:
	s_load_dwordx4 s[0:3], s[34:35], 0x4
	s_load_dwordx2 s[4:5], s[34:35], 0xc4
	s_cmp_lt_u32 s33, 2
	s_waitcnt lgkmcnt(0)
	v_mul_hi_u32 v3, s1, v9
	v_add_u32_e32 v3, v9, v3
	v_lshrrev_b32_e32 v4, s2, v3
	v_mul_lo_u32 v3, v4, s0
	v_sub_u32_e32 v8, v9, v3
	v_mul_lo_u32 v3, v8, s4
	v_mul_lo_u32 v14, v8, s5
	s_cbranch_scc1 .LBB5_72
; %bb.71:
	s_load_dwordx4 s[0:3], s[34:35], 0x10
	s_load_dwordx2 s[4:5], s[34:35], 0xcc
	s_waitcnt lgkmcnt(0)
	v_mul_hi_u32 v8, s1, v4
	v_add_u32_e32 v8, v4, v8
	v_lshrrev_b32_e32 v8, s2, v8
	v_mul_lo_u32 v8, v8, s0
	v_sub_u32_e32 v8, v4, v8
	v_mad_u64_u32 v[3:4], s[0:1], v8, s4, v[3:4]
	v_mad_u64_u32 v[14:15], s[0:1], v8, s5, v[14:15]
.LBB5_72:
	s_load_dwordx4 s[4:7], s[34:35], 0x148
	s_mov_b32 s0, 0
	s_mov_b32 s1, 0x41d00000
                                        ; implicit-def: $vgpr35
                                        ; implicit-def: $vgpr8_vgpr9
                                        ; implicit-def: $vgpr10_vgpr11
	s_waitcnt lgkmcnt(0)
	global_load_dwordx2 v[4:5], v5, s[6:7]
	s_waitcnt vmcnt(0)
	v_cmp_nlt_f64_e64 s[0:1], |v[4:5]|, s[0:1]
	s_and_saveexec_b64 s[2:3], s[0:1]
	s_xor_b64 s[2:3], exec, s[2:3]
	s_cbranch_execz .LBB5_74
; %bb.73:
	v_trig_preop_f64 v[8:9], |v[4:5]|, 0
	s_mov_b32 s0, 0
	s_mov_b32 s1, 0x7b000000
	s_movk_i32 s8, 0xff80
	v_ldexp_f64 v[12:13], |v[4:5]|, s8
	v_cmp_ge_f64_e64 vcc, |v[4:5]|, s[0:1]
	v_trig_preop_f64 v[10:11], |v[4:5]|, 1
	v_and_b32_e32 v15, 0x7fffffff, v5
	v_trig_preop_f64 v[21:22], |v[4:5]|, 2
	s_mov_b32 s0, 0
	s_mov_b32 s1, 0x7ff00000
	v_mov_b32_e32 v32, 0x40100000
	v_mov_b32_e32 v31, 0
	v_cndmask_b32_e32 v13, v15, v13, vcc
	v_cndmask_b32_e32 v12, v4, v12, vcc
	s_mov_b32 s8, 0x33145c07
	v_mul_f64 v[15:16], v[8:9], v[12:13]
	s_mov_b32 s9, 0x3c91a626
	v_mul_f64 v[17:18], v[10:11], v[12:13]
	v_mul_f64 v[27:28], v[21:22], v[12:13]
	v_fma_f64 v[8:9], v[8:9], v[12:13], -v[15:16]
	v_fma_f64 v[10:11], v[10:11], v[12:13], -v[17:18]
	;; [unrolled: 1-line block ×3, first 2 shown]
	v_add_f64 v[19:20], v[17:18], v[8:9]
	v_add_f64 v[23:24], v[19:20], -v[17:18]
	v_add_f64 v[29:30], v[15:16], v[19:20]
	v_add_f64 v[25:26], v[19:20], -v[23:24]
	v_add_f64 v[8:9], v[8:9], -v[23:24]
	v_add_f64 v[23:24], v[27:28], v[10:11]
	v_add_f64 v[15:16], v[29:30], -v[15:16]
	v_add_f64 v[17:18], v[17:18], -v[25:26]
	v_ldexp_f64 v[25:26], v[29:30], -2
	v_add_f64 v[33:34], v[23:24], -v[27:28]
	v_add_f64 v[15:16], v[19:20], -v[15:16]
	v_add_f64 v[8:9], v[8:9], v[17:18]
	v_fract_f64_e32 v[17:18], v[25:26]
	v_cmp_neq_f64_e64 vcc, |v[25:26]|, s[0:1]
	v_add_f64 v[10:11], v[10:11], -v[33:34]
	v_add_f64 v[19:20], v[23:24], v[8:9]
	v_ldexp_f64 v[17:18], v[17:18], 2
	v_add_f64 v[25:26], v[15:16], v[19:20]
	v_cndmask_b32_e32 v18, 0, v18, vcc
	v_cndmask_b32_e32 v17, 0, v17, vcc
	v_add_f64 v[35:36], v[19:20], -v[23:24]
	v_add_f64 v[29:30], v[25:26], v[17:18]
	v_add_f64 v[15:16], v[25:26], -v[15:16]
	v_add_f64 v[37:38], v[19:20], -v[35:36]
	;; [unrolled: 1-line block ×3, first 2 shown]
	v_cmp_gt_f64_e32 vcc, 0, v[29:30]
	v_add_f64 v[29:30], v[23:24], -v[33:34]
	v_add_f64 v[15:16], v[19:20], -v[15:16]
	;; [unrolled: 1-line block ×3, first 2 shown]
	v_cndmask_b32_e32 v32, 0, v32, vcc
	v_add_f64 v[17:18], v[17:18], v[31:32]
	v_add_f64 v[29:30], v[27:28], -v[29:30]
	v_add_f64 v[8:9], v[8:9], v[23:24]
	v_add_f64 v[39:40], v[25:26], v[17:18]
	;; [unrolled: 1-line block ×3, first 2 shown]
	v_cvt_i32_f64_e32 v34, v[39:40]
	v_add_f64 v[8:9], v[10:11], v[8:9]
	v_cvt_f64_i32_e32 v[32:33], v34
	v_add_f64 v[17:18], v[17:18], -v[32:33]
	v_add_f64 v[8:9], v[12:13], v[8:9]
	v_add_f64 v[10:11], v[25:26], v[17:18]
	;; [unrolled: 1-line block ×3, first 2 shown]
	v_mov_b32_e32 v15, 0x3ff00000
	v_add_f64 v[12:13], v[10:11], -v[17:18]
	v_cmp_le_f64_e32 vcc, 0.5, v[10:11]
	v_add_f64 v[12:13], v[25:26], -v[12:13]
	v_cndmask_b32_e32 v32, 0, v15, vcc
	v_add_f64 v[10:11], v[10:11], -v[31:32]
	v_addc_co_u32_e64 v35, s[0:1], 0, v34, vcc
	s_mov_b32 s0, 0x54442d18
	s_mov_b32 s1, 0x3ff921fb
	v_add_f64 v[8:9], v[8:9], v[12:13]
	v_add_f64 v[12:13], v[10:11], v[8:9]
	v_mul_f64 v[15:16], v[12:13], s[0:1]
	v_add_f64 v[10:11], v[12:13], -v[10:11]
	v_fma_f64 v[17:18], v[12:13], s[0:1], -v[15:16]
	v_add_f64 v[8:9], v[8:9], -v[10:11]
	v_fma_f64 v[10:11], v[12:13], s[8:9], v[17:18]
	v_fma_f64 v[10:11], v[8:9], s[0:1], v[10:11]
	v_add_f64 v[8:9], v[15:16], v[10:11]
	v_add_f64 v[12:13], v[8:9], -v[15:16]
	v_add_f64 v[10:11], v[10:11], -v[12:13]
.LBB5_74:
	s_andn2_saveexec_b64 s[0:1], s[2:3]
	s_cbranch_execz .LBB5_76
; %bb.75:
	s_mov_b32 s2, 0x6dc9c883
	s_mov_b32 s3, 0x3fe45f30
	v_mul_f64 v[8:9], |v[4:5]|, s[2:3]
	s_mov_b32 s2, 0x54442d18
	s_mov_b32 s3, 0xbff921fb
	;; [unrolled: 1-line block ×4, first 2 shown]
	v_rndne_f64_e32 v[12:13], v[8:9]
	v_fma_f64 v[8:9], v[12:13], s[2:3], |v[4:5]|
	v_mul_f64 v[10:11], v[12:13], s[8:9]
	s_mov_b32 s2, 0x252049c0
	s_mov_b32 s3, 0xb97b839a
	v_cvt_i32_f64_e32 v35, v[12:13]
	v_fma_f64 v[19:20], v[12:13], s[8:9], v[8:9]
	v_add_f64 v[15:16], v[8:9], v[10:11]
	s_mov_b32 s9, 0x3c91a626
	v_add_f64 v[17:18], v[8:9], -v[15:16]
	v_add_f64 v[15:16], v[15:16], -v[19:20]
	v_add_f64 v[8:9], v[17:18], v[10:11]
	v_fma_f64 v[10:11], v[12:13], s[8:9], v[10:11]
	v_add_f64 v[8:9], v[15:16], v[8:9]
	v_add_f64 v[8:9], v[8:9], -v[10:11]
	v_fma_f64 v[10:11], v[12:13], s[2:3], v[8:9]
	v_add_f64 v[8:9], v[19:20], v[10:11]
	v_add_f64 v[15:16], v[8:9], -v[19:20]
	v_add_f64 v[10:11], v[10:11], -v[15:16]
.LBB5_76:
	s_or_b64 exec, exec, s[0:1]
	global_load_dwordx2 v[12:13], v6, s[6:7]
	s_mov_b32 s0, 0
	s_mov_b32 s1, 0x41d00000
                                        ; implicit-def: $vgpr36
                                        ; implicit-def: $vgpr15_vgpr16
                                        ; implicit-def: $vgpr17_vgpr18
	s_waitcnt vmcnt(0)
	v_cmp_nlt_f64_e64 s[0:1], |v[12:13]|, s[0:1]
	s_and_saveexec_b64 s[2:3], s[0:1]
	s_xor_b64 s[2:3], exec, s[2:3]
	s_cbranch_execz .LBB5_78
; %bb.77:
	v_trig_preop_f64 v[15:16], |v[12:13]|, 0
	s_mov_b32 s0, 0
	s_mov_b32 s1, 0x7b000000
	s_movk_i32 s8, 0xff80
	v_ldexp_f64 v[19:20], |v[12:13]|, s8
	v_cmp_ge_f64_e64 vcc, |v[12:13]|, s[0:1]
	v_trig_preop_f64 v[17:18], |v[12:13]|, 1
	v_and_b32_e32 v6, 0x7fffffff, v13
	v_trig_preop_f64 v[27:28], |v[12:13]|, 2
	s_mov_b32 s0, 0
	s_mov_b32 s1, 0x7ff00000
	v_mov_b32_e32 v38, 0
	s_mov_b32 s8, 0x33145c07
	v_cndmask_b32_e32 v20, v6, v20, vcc
	v_cndmask_b32_e32 v19, v12, v19, vcc
	v_mov_b32_e32 v6, 0x40100000
	v_mul_f64 v[21:22], v[15:16], v[19:20]
	s_mov_b32 s9, 0x3c91a626
	v_mul_f64 v[23:24], v[17:18], v[19:20]
	v_mul_f64 v[33:34], v[27:28], v[19:20]
	v_fma_f64 v[15:16], v[15:16], v[19:20], -v[21:22]
	v_fma_f64 v[17:18], v[17:18], v[19:20], -v[23:24]
	;; [unrolled: 1-line block ×3, first 2 shown]
	v_add_f64 v[25:26], v[23:24], v[15:16]
	v_add_f64 v[29:30], v[25:26], -v[23:24]
	v_add_f64 v[36:37], v[21:22], v[25:26]
	v_add_f64 v[31:32], v[25:26], -v[29:30]
	v_add_f64 v[15:16], v[15:16], -v[29:30]
	v_add_f64 v[29:30], v[33:34], v[17:18]
	v_add_f64 v[21:22], v[36:37], -v[21:22]
	v_add_f64 v[23:24], v[23:24], -v[31:32]
	v_ldexp_f64 v[31:32], v[36:37], -2
	v_add_f64 v[40:41], v[29:30], -v[33:34]
	v_add_f64 v[21:22], v[25:26], -v[21:22]
	v_add_f64 v[15:16], v[15:16], v[23:24]
	v_fract_f64_e32 v[23:24], v[31:32]
	v_cmp_neq_f64_e64 vcc, |v[31:32]|, s[0:1]
	v_add_f64 v[17:18], v[17:18], -v[40:41]
	v_add_f64 v[25:26], v[29:30], v[15:16]
	v_ldexp_f64 v[23:24], v[23:24], 2
	v_add_f64 v[31:32], v[21:22], v[25:26]
	v_cndmask_b32_e32 v24, 0, v24, vcc
	v_cndmask_b32_e32 v23, 0, v23, vcc
	v_add_f64 v[42:43], v[25:26], -v[29:30]
	v_add_f64 v[36:37], v[31:32], v[23:24]
	v_add_f64 v[21:22], v[31:32], -v[21:22]
	v_add_f64 v[44:45], v[25:26], -v[42:43]
	;; [unrolled: 1-line block ×3, first 2 shown]
	v_cmp_gt_f64_e32 vcc, 0, v[36:37]
	v_add_f64 v[36:37], v[29:30], -v[40:41]
	v_add_f64 v[21:22], v[25:26], -v[21:22]
	;; [unrolled: 1-line block ×3, first 2 shown]
	v_cndmask_b32_e32 v39, 0, v6, vcc
	v_add_f64 v[23:24], v[23:24], v[38:39]
	v_add_f64 v[36:37], v[33:34], -v[36:37]
	v_add_f64 v[15:16], v[15:16], v[29:30]
	v_add_f64 v[46:47], v[31:32], v[23:24]
	;; [unrolled: 1-line block ×3, first 2 shown]
	v_cvt_i32_f64_e32 v6, v[46:47]
	v_add_f64 v[15:16], v[17:18], v[15:16]
	v_cvt_f64_i32_e32 v[39:40], v6
	v_add_f64 v[23:24], v[23:24], -v[39:40]
	v_add_f64 v[15:16], v[19:20], v[15:16]
	v_add_f64 v[17:18], v[31:32], v[23:24]
	;; [unrolled: 1-line block ×3, first 2 shown]
	v_mov_b32_e32 v21, 0x3ff00000
	v_add_f64 v[19:20], v[17:18], -v[23:24]
	v_cmp_le_f64_e32 vcc, 0.5, v[17:18]
	v_add_f64 v[19:20], v[31:32], -v[19:20]
	v_cndmask_b32_e32 v39, 0, v21, vcc
	v_add_f64 v[17:18], v[17:18], -v[38:39]
	v_addc_co_u32_e64 v36, s[0:1], 0, v6, vcc
	s_mov_b32 s0, 0x54442d18
	s_mov_b32 s1, 0x3ff921fb
	v_add_f64 v[15:16], v[15:16], v[19:20]
	v_add_f64 v[19:20], v[17:18], v[15:16]
	v_mul_f64 v[21:22], v[19:20], s[0:1]
	v_add_f64 v[17:18], v[19:20], -v[17:18]
	v_fma_f64 v[23:24], v[19:20], s[0:1], -v[21:22]
	v_add_f64 v[15:16], v[15:16], -v[17:18]
	v_fma_f64 v[17:18], v[19:20], s[8:9], v[23:24]
	v_fma_f64 v[17:18], v[15:16], s[0:1], v[17:18]
	v_add_f64 v[15:16], v[21:22], v[17:18]
	v_add_f64 v[19:20], v[15:16], -v[21:22]
	v_add_f64 v[17:18], v[17:18], -v[19:20]
.LBB5_78:
	s_andn2_saveexec_b64 s[0:1], s[2:3]
	s_cbranch_execz .LBB5_80
; %bb.79:
	s_mov_b32 s2, 0x6dc9c883
	s_mov_b32 s3, 0x3fe45f30
	v_mul_f64 v[15:16], |v[12:13]|, s[2:3]
	s_mov_b32 s2, 0x54442d18
	s_mov_b32 s3, 0xbff921fb
	;; [unrolled: 1-line block ×4, first 2 shown]
	v_rndne_f64_e32 v[19:20], v[15:16]
	v_fma_f64 v[15:16], v[19:20], s[2:3], |v[12:13]|
	v_mul_f64 v[17:18], v[19:20], s[8:9]
	s_mov_b32 s2, 0x252049c0
	s_mov_b32 s3, 0xb97b839a
	v_cvt_i32_f64_e32 v36, v[19:20]
	v_fma_f64 v[25:26], v[19:20], s[8:9], v[15:16]
	v_add_f64 v[21:22], v[15:16], v[17:18]
	s_mov_b32 s9, 0x3c91a626
	v_add_f64 v[23:24], v[15:16], -v[21:22]
	v_add_f64 v[21:22], v[21:22], -v[25:26]
	v_add_f64 v[15:16], v[23:24], v[17:18]
	v_fma_f64 v[17:18], v[19:20], s[8:9], v[17:18]
	v_add_f64 v[15:16], v[21:22], v[15:16]
	v_add_f64 v[15:16], v[15:16], -v[17:18]
	v_fma_f64 v[17:18], v[19:20], s[2:3], v[15:16]
	v_add_f64 v[15:16], v[25:26], v[17:18]
	v_add_f64 v[21:22], v[15:16], -v[25:26]
	v_add_f64 v[17:18], v[17:18], -v[21:22]
.LBB5_80:
	s_or_b64 exec, exec, s[0:1]
	global_load_dwordx2 v[6:7], v7, s[6:7]
	s_mov_b32 s0, 0
	s_mov_b32 s1, 0x41d00000
                                        ; implicit-def: $vgpr37
                                        ; implicit-def: $vgpr21_vgpr22
                                        ; implicit-def: $vgpr23_vgpr24
	s_waitcnt vmcnt(0)
	v_cmp_nlt_f64_e64 s[0:1], |v[6:7]|, s[0:1]
	s_and_saveexec_b64 s[2:3], s[0:1]
	s_xor_b64 s[0:1], exec, s[2:3]
	s_cbranch_execz .LBB5_82
; %bb.81:
	v_trig_preop_f64 v[19:20], |v[6:7]|, 0
	s_mov_b32 s2, 0
	s_mov_b32 s3, 0x7b000000
	s_movk_i32 s8, 0xff80
	v_ldexp_f64 v[21:22], |v[6:7]|, s8
	v_cmp_ge_f64_e64 vcc, |v[6:7]|, s[2:3]
	v_trig_preop_f64 v[23:24], |v[6:7]|, 1
	v_and_b32_e32 v25, 0x7fffffff, v7
	v_trig_preop_f64 v[31:32], |v[6:7]|, 2
	s_mov_b32 s2, 0
	s_mov_b32 s3, 0x7ff00000
	v_mov_b32_e32 v44, 0x40100000
	v_mov_b32_e32 v43, 0
	v_cndmask_b32_e32 v22, v25, v22, vcc
	v_cndmask_b32_e32 v21, v6, v21, vcc
	s_mov_b32 s8, 0x33145c07
	v_mul_f64 v[25:26], v[19:20], v[21:22]
	s_mov_b32 s9, 0x3c91a626
	v_mul_f64 v[27:28], v[23:24], v[21:22]
	v_mul_f64 v[39:40], v[31:32], v[21:22]
	v_fma_f64 v[19:20], v[19:20], v[21:22], -v[25:26]
	v_fma_f64 v[23:24], v[23:24], v[21:22], -v[27:28]
	;; [unrolled: 1-line block ×3, first 2 shown]
	v_add_f64 v[29:30], v[27:28], v[19:20]
	v_add_f64 v[33:34], v[29:30], -v[27:28]
	v_add_f64 v[41:42], v[25:26], v[29:30]
	v_add_f64 v[37:38], v[29:30], -v[33:34]
	v_add_f64 v[19:20], v[19:20], -v[33:34]
	v_add_f64 v[33:34], v[39:40], v[23:24]
	v_add_f64 v[25:26], v[41:42], -v[25:26]
	v_add_f64 v[27:28], v[27:28], -v[37:38]
	v_ldexp_f64 v[37:38], v[41:42], -2
	v_add_f64 v[25:26], v[29:30], -v[25:26]
	v_add_f64 v[19:20], v[19:20], v[27:28]
	v_fract_f64_e32 v[27:28], v[37:38]
	v_cmp_neq_f64_e64 vcc, |v[37:38]|, s[2:3]
	s_mov_b32 s2, 0x54442d18
	s_mov_b32 s3, 0x3ff921fb
	v_add_f64 v[29:30], v[33:34], v[19:20]
	v_ldexp_f64 v[27:28], v[27:28], 2
	v_add_f64 v[37:38], v[25:26], v[29:30]
	v_cndmask_b32_e32 v28, 0, v28, vcc
	v_cndmask_b32_e32 v27, 0, v27, vcc
	v_add_f64 v[45:46], v[29:30], -v[33:34]
	v_add_f64 v[41:42], v[37:38], v[27:28]
	v_add_f64 v[25:26], v[37:38], -v[25:26]
	v_add_f64 v[49:50], v[29:30], -v[45:46]
	v_add_f64 v[19:20], v[19:20], -v[45:46]
	v_cmp_gt_f64_e32 vcc, 0, v[41:42]
	v_add_f64 v[41:42], v[33:34], -v[39:40]
	v_add_f64 v[25:26], v[29:30], -v[25:26]
	v_cndmask_b32_e32 v44, 0, v44, vcc
	v_add_f64 v[27:28], v[27:28], v[43:44]
	v_add_f64 v[47:48], v[33:34], -v[41:42]
	v_add_f64 v[23:24], v[23:24], -v[41:42]
	;; [unrolled: 1-line block ×3, first 2 shown]
	v_add_f64 v[51:52], v[37:38], v[27:28]
	v_add_f64 v[41:42], v[39:40], -v[47:48]
	v_add_f64 v[19:20], v[19:20], v[33:34]
	v_cvt_i32_f64_e32 v46, v[51:52]
	v_add_f64 v[23:24], v[23:24], v[41:42]
	v_cvt_f64_i32_e32 v[44:45], v46
	v_add_f64 v[27:28], v[27:28], -v[44:45]
	v_add_f64 v[19:20], v[23:24], v[19:20]
	v_add_f64 v[23:24], v[37:38], v[27:28]
	;; [unrolled: 1-line block ×3, first 2 shown]
	v_add_f64 v[21:22], v[23:24], -v[27:28]
	v_cmp_le_f64_e32 vcc, 0.5, v[23:24]
	v_add_f64 v[19:20], v[25:26], v[19:20]
	v_mov_b32_e32 v25, 0x3ff00000
	v_add_f64 v[21:22], v[37:38], -v[21:22]
	v_cndmask_b32_e32 v44, 0, v25, vcc
	v_addc_co_u32_e32 v37, vcc, 0, v46, vcc
	v_add_f64 v[19:20], v[19:20], v[21:22]
	v_add_f64 v[21:22], v[23:24], -v[43:44]
	v_add_f64 v[23:24], v[21:22], v[19:20]
	v_mul_f64 v[25:26], v[23:24], s[2:3]
	v_add_f64 v[21:22], v[23:24], -v[21:22]
	v_fma_f64 v[27:28], v[23:24], s[2:3], -v[25:26]
	v_add_f64 v[19:20], v[19:20], -v[21:22]
	v_fma_f64 v[21:22], v[23:24], s[8:9], v[27:28]
	v_fma_f64 v[19:20], v[19:20], s[2:3], v[21:22]
	v_add_f64 v[21:22], v[25:26], v[19:20]
	v_add_f64 v[23:24], v[21:22], -v[25:26]
	v_add_f64 v[23:24], v[19:20], -v[23:24]
.LBB5_82:
	s_andn2_saveexec_b64 s[0:1], s[0:1]
	s_cbranch_execz .LBB5_84
; %bb.83:
	s_mov_b32 s2, 0x6dc9c883
	s_mov_b32 s3, 0x3fe45f30
	v_mul_f64 v[19:20], |v[6:7]|, s[2:3]
	s_mov_b32 s2, 0x54442d18
	s_mov_b32 s3, 0xbff921fb
	s_mov_b32 s9, 0xbc91a626
	s_mov_b32 s8, 0x33145c00
	v_rndne_f64_e32 v[19:20], v[19:20]
	v_fma_f64 v[21:22], v[19:20], s[2:3], |v[6:7]|
	v_mul_f64 v[23:24], v[19:20], s[8:9]
	s_mov_b32 s2, 0x252049c0
	s_mov_b32 s3, 0xb97b839a
	v_cvt_i32_f64_e32 v37, v[19:20]
	v_fma_f64 v[29:30], v[19:20], s[8:9], v[21:22]
	v_add_f64 v[25:26], v[21:22], v[23:24]
	s_mov_b32 s9, 0x3c91a626
	v_add_f64 v[27:28], v[21:22], -v[25:26]
	v_add_f64 v[25:26], v[25:26], -v[29:30]
	v_add_f64 v[21:22], v[27:28], v[23:24]
	v_fma_f64 v[23:24], v[19:20], s[8:9], v[23:24]
	v_add_f64 v[21:22], v[25:26], v[21:22]
	v_add_f64 v[21:22], v[21:22], -v[23:24]
	v_fma_f64 v[23:24], v[19:20], s[2:3], v[21:22]
	v_add_f64 v[21:22], v[29:30], v[23:24]
	v_add_f64 v[25:26], v[21:22], -v[29:30]
	v_add_f64 v[23:24], v[23:24], -v[25:26]
.LBB5_84:
	s_or_b64 exec, exec, s[0:1]
	global_load_dwordx2 v[19:20], v14, s[6:7]
	s_mov_b32 s0, 0
	s_mov_b32 s1, 0x41d00000
                                        ; implicit-def: $vgpr14
                                        ; implicit-def: $vgpr25_vgpr26
                                        ; implicit-def: $vgpr27_vgpr28
	s_waitcnt vmcnt(0)
	v_cmp_nlt_f64_e64 s[0:1], |v[19:20]|, s[0:1]
	s_and_saveexec_b64 s[2:3], s[0:1]
	s_xor_b64 s[2:3], exec, s[2:3]
	s_cbranch_execz .LBB5_86
; %bb.85:
	v_trig_preop_f64 v[25:26], |v[19:20]|, 0
	s_mov_b32 s0, 0
	s_mov_b32 s1, 0x7b000000
	s_movk_i32 s6, 0xff80
	v_ldexp_f64 v[29:30], |v[19:20]|, s6
	v_cmp_ge_f64_e64 vcc, |v[19:20]|, s[0:1]
	v_trig_preop_f64 v[27:28], |v[19:20]|, 1
	v_and_b32_e32 v14, 0x7fffffff, v20
	v_trig_preop_f64 v[40:41], |v[19:20]|, 2
	s_mov_b32 s0, 0
	s_mov_b32 s1, 0x7ff00000
	v_mov_b32_e32 v50, 0
	s_mov_b32 s6, 0x33145c07
	v_cndmask_b32_e32 v30, v14, v30, vcc
	v_cndmask_b32_e32 v29, v19, v29, vcc
	v_mov_b32_e32 v14, 0x40100000
	v_mul_f64 v[31:32], v[25:26], v[29:30]
	s_mov_b32 s7, 0x3c91a626
	v_mul_f64 v[33:34], v[27:28], v[29:30]
	v_mul_f64 v[46:47], v[40:41], v[29:30]
	v_fma_f64 v[25:26], v[25:26], v[29:30], -v[31:32]
	v_fma_f64 v[27:28], v[27:28], v[29:30], -v[33:34]
	;; [unrolled: 1-line block ×3, first 2 shown]
	v_add_f64 v[38:39], v[33:34], v[25:26]
	v_add_f64 v[42:43], v[38:39], -v[33:34]
	v_add_f64 v[48:49], v[31:32], v[38:39]
	v_add_f64 v[44:45], v[38:39], -v[42:43]
	v_add_f64 v[25:26], v[25:26], -v[42:43]
	v_add_f64 v[42:43], v[46:47], v[27:28]
	v_add_f64 v[31:32], v[48:49], -v[31:32]
	v_add_f64 v[33:34], v[33:34], -v[44:45]
	v_ldexp_f64 v[44:45], v[48:49], -2
	v_add_f64 v[52:53], v[42:43], -v[46:47]
	v_add_f64 v[31:32], v[38:39], -v[31:32]
	v_add_f64 v[25:26], v[25:26], v[33:34]
	v_fract_f64_e32 v[33:34], v[44:45]
	v_cmp_neq_f64_e64 vcc, |v[44:45]|, s[0:1]
	v_add_f64 v[27:28], v[27:28], -v[52:53]
	v_add_f64 v[38:39], v[42:43], v[25:26]
	v_ldexp_f64 v[33:34], v[33:34], 2
	v_add_f64 v[44:45], v[31:32], v[38:39]
	v_cndmask_b32_e32 v34, 0, v34, vcc
	v_cndmask_b32_e32 v33, 0, v33, vcc
	v_add_f64 v[54:55], v[38:39], -v[42:43]
	v_add_f64 v[48:49], v[44:45], v[33:34]
	v_add_f64 v[31:32], v[44:45], -v[31:32]
	v_add_f64 v[56:57], v[38:39], -v[54:55]
	;; [unrolled: 1-line block ×3, first 2 shown]
	v_cmp_gt_f64_e32 vcc, 0, v[48:49]
	v_add_f64 v[48:49], v[42:43], -v[52:53]
	v_add_f64 v[31:32], v[38:39], -v[31:32]
	;; [unrolled: 1-line block ×3, first 2 shown]
	v_cndmask_b32_e32 v51, 0, v14, vcc
	v_add_f64 v[33:34], v[33:34], v[50:51]
	v_add_f64 v[48:49], v[46:47], -v[48:49]
	v_add_f64 v[25:26], v[25:26], v[42:43]
	v_add_f64 v[58:59], v[44:45], v[33:34]
	;; [unrolled: 1-line block ×3, first 2 shown]
	v_cvt_i32_f64_e32 v14, v[58:59]
	v_add_f64 v[25:26], v[27:28], v[25:26]
	v_cvt_f64_i32_e32 v[51:52], v14
	v_add_f64 v[33:34], v[33:34], -v[51:52]
	v_add_f64 v[25:26], v[29:30], v[25:26]
	v_add_f64 v[27:28], v[44:45], v[33:34]
	;; [unrolled: 1-line block ×3, first 2 shown]
	v_mov_b32_e32 v31, 0x3ff00000
	v_add_f64 v[29:30], v[27:28], -v[33:34]
	v_cmp_le_f64_e32 vcc, 0.5, v[27:28]
	v_add_f64 v[29:30], v[44:45], -v[29:30]
	v_cndmask_b32_e32 v51, 0, v31, vcc
	v_add_f64 v[27:28], v[27:28], -v[50:51]
	v_addc_co_u32_e64 v14, s[0:1], 0, v14, vcc
	s_mov_b32 s0, 0x54442d18
	s_mov_b32 s1, 0x3ff921fb
	v_add_f64 v[25:26], v[25:26], v[29:30]
	v_add_f64 v[29:30], v[27:28], v[25:26]
	v_mul_f64 v[31:32], v[29:30], s[0:1]
	v_add_f64 v[27:28], v[29:30], -v[27:28]
	v_fma_f64 v[33:34], v[29:30], s[0:1], -v[31:32]
	v_add_f64 v[25:26], v[25:26], -v[27:28]
	v_fma_f64 v[27:28], v[29:30], s[6:7], v[33:34]
	v_fma_f64 v[27:28], v[25:26], s[0:1], v[27:28]
	v_add_f64 v[25:26], v[31:32], v[27:28]
	v_add_f64 v[29:30], v[25:26], -v[31:32]
	v_add_f64 v[27:28], v[27:28], -v[29:30]
.LBB5_86:
	s_andn2_saveexec_b64 s[0:1], s[2:3]
	s_cbranch_execz .LBB5_88
; %bb.87:
	s_mov_b32 s2, 0x6dc9c883
	s_mov_b32 s3, 0x3fe45f30
	v_mul_f64 v[25:26], |v[19:20]|, s[2:3]
	s_mov_b32 s2, 0x54442d18
	s_mov_b32 s3, 0xbff921fb
	;; [unrolled: 1-line block ×4, first 2 shown]
	v_rndne_f64_e32 v[29:30], v[25:26]
	v_fma_f64 v[25:26], v[29:30], s[2:3], |v[19:20]|
	v_mul_f64 v[27:28], v[29:30], s[6:7]
	s_mov_b32 s2, 0x252049c0
	s_mov_b32 s3, 0xb97b839a
	v_cvt_i32_f64_e32 v14, v[29:30]
	v_fma_f64 v[38:39], v[29:30], s[6:7], v[25:26]
	v_add_f64 v[31:32], v[25:26], v[27:28]
	s_mov_b32 s7, 0x3c91a626
	v_add_f64 v[33:34], v[25:26], -v[31:32]
	v_add_f64 v[31:32], v[31:32], -v[38:39]
	v_add_f64 v[25:26], v[33:34], v[27:28]
	v_fma_f64 v[27:28], v[29:30], s[6:7], v[27:28]
	v_add_f64 v[25:26], v[31:32], v[25:26]
	v_add_f64 v[25:26], v[25:26], -v[27:28]
	v_fma_f64 v[27:28], v[29:30], s[2:3], v[25:26]
	v_add_f64 v[25:26], v[38:39], v[27:28]
	v_add_f64 v[31:32], v[25:26], -v[38:39]
	v_add_f64 v[27:28], v[27:28], -v[31:32]
.LBB5_88:
	s_or_b64 exec, exec, s[0:1]
	v_mul_f64 v[33:34], v[21:22], v[21:22]
	s_mov_b32 s6, 0xb42fdfa7
	s_mov_b32 s7, 0xbe5ae600
	s_mov_b32 s0, 0xf9a43bb8
	v_mov_b32_e32 v30, s7
	s_mov_b32 s1, 0x3de5e0b2
	v_mov_b32_e32 v29, s6
	s_mov_b32 s2, 0x9037ab78
	v_fma_f64 v[38:39], v[33:34], s[0:1], v[29:30]
	s_mov_b32 s3, 0x3e21eeb6
	s_mov_b32 s6, 0x46cc5e42
	;; [unrolled: 1-line block ×3, first 2 shown]
	v_mov_b32_e32 v32, s3
	s_mov_b32 s7, 0xbda907db
	s_mov_b32 s9, 0x3ec71de3
	v_mov_b32_e32 v31, s2
	v_fma_f64 v[40:41], v[33:34], s[6:7], v[31:32]
	v_mul_f64 v[42:43], v[33:34], 0.5
	v_fma_f64 v[38:39], v[33:34], v[38:39], s[8:9]
	s_mov_b32 s10, 0xa17f65f6
	s_mov_b32 s12, 0x19e83e5c
	;; [unrolled: 1-line block ×5, first 2 shown]
	v_fma_f64 v[40:41], v[33:34], v[40:41], s[10:11]
	v_add_f64 v[44:45], -v[42:43], 1.0
	v_fma_f64 v[38:39], v[33:34], v[38:39], s[12:13]
	s_mov_b32 s14, 0x11110bb3
	s_mov_b32 s3, 0x3efa01a0
	;; [unrolled: 1-line block ×3, first 2 shown]
	v_mul_f64 v[46:47], v[23:24], 0.5
	v_mul_f64 v[48:49], v[21:22], -v[33:34]
	v_fma_f64 v[40:41], v[33:34], v[40:41], s[2:3]
	v_add_f64 v[50:51], -v[44:45], 1.0
	v_fma_f64 v[38:39], v[33:34], v[38:39], s[14:15]
	v_mul_f64 v[52:53], v[15:16], v[15:16]
	s_mov_b32 s16, 0x16c16967
	s_mov_b32 s17, 0xbf56c16c
	;; [unrolled: 1-line block ×4, first 2 shown]
	v_fma_f64 v[40:41], v[33:34], v[40:41], s[16:17]
	v_add_f64 v[42:43], v[50:51], -v[42:43]
	v_fma_f64 v[38:39], v[48:49], v[38:39], v[46:47]
	v_fma_f64 v[50:51], v[52:53], s[0:1], v[29:30]
	v_mul_f64 v[46:47], v[33:34], v[33:34]
	v_and_b32_e32 v54, 1, v37
	v_lshlrev_b32_e32 v55, 30, v37
	s_mov_b32 s19, 0xbfc55555
	v_fma_f64 v[40:41], v[33:34], v[40:41], s[20:21]
	v_fma_f64 v[42:43], v[21:22], -v[23:24], v[42:43]
	v_fma_f64 v[23:24], v[33:34], v[38:39], -v[23:24]
	v_mul_f64 v[37:38], v[52:53], 0.5
	v_fma_f64 v[50:51], v[52:53], v[50:51], s[8:9]
	s_mov_b32 s18, s20
	v_fma_f64 v[33:34], v[52:53], s[6:7], v[31:32]
	v_cmp_eq_u32_e32 vcc, 0, v54
	s_movk_i32 s22, 0x1f8
	v_fma_f64 v[39:40], v[46:47], v[40:41], v[42:43]
	v_fma_f64 v[23:24], v[48:49], s[18:19], v[23:24]
	v_add_f64 v[48:49], -v[37:38], 1.0
	v_fma_f64 v[50:51], v[52:53], v[50:51], s[12:13]
	v_mul_f64 v[41:42], v[17:18], 0.5
	v_mul_f64 v[46:47], v[8:9], v[8:9]
	v_fma_f64 v[33:34], v[52:53], v[33:34], s[10:11]
	v_mov_b32_e32 v56, 0x7ff80000
	v_add_f64 v[39:40], v[44:45], v[39:40]
	v_add_f64 v[21:22], v[21:22], -v[23:24]
	v_xor_b32_e32 v23, v55, v7
	v_and_b32_e32 v45, 0x80000000, v23
	v_mul_f64 v[23:24], v[15:16], -v[52:53]
	v_add_f64 v[43:44], -v[48:49], 1.0
	v_fma_f64 v[50:51], v[52:53], v[50:51], s[14:15]
	v_fma_f64 v[33:34], v[52:53], v[33:34], s[2:3]
	v_cndmask_b32_e32 v54, v39, v21, vcc
	v_cndmask_b32_e32 v39, v40, v22, vcc
	v_fma_f64 v[21:22], v[46:47], s[0:1], v[29:30]
	v_xor_b32_e32 v45, v39, v45
	v_add_f64 v[37:38], v[43:44], -v[37:38]
	v_fma_f64 v[39:40], v[23:24], v[50:51], v[41:42]
	v_fma_f64 v[33:34], v[52:53], v[33:34], s[16:17]
	v_mul_f64 v[41:42], v[46:47], 0.5
	v_cmp_class_f64_e64 vcc, v[6:7], s22
	v_mul_f64 v[43:44], v[52:53], v[52:53]
	v_fma_f64 v[21:22], v[46:47], v[21:22], s[8:9]
	v_fma_f64 v[37:38], v[15:16], -v[17:18], v[37:38]
	v_fma_f64 v[17:18], v[52:53], v[39:40], -v[17:18]
	v_mul_f64 v[39:40], v[25:26], v[25:26]
	v_fma_f64 v[33:34], v[52:53], v[33:34], s[20:21]
	v_add_f64 v[50:51], -v[41:42], 1.0
	v_fma_f64 v[52:53], v[46:47], s[6:7], v[31:32]
	v_fma_f64 v[21:22], v[46:47], v[21:22], s[12:13]
	v_cndmask_b32_e32 v6, 0, v54, vcc
	v_cndmask_b32_e32 v7, v56, v45, vcc
	v_fma_f64 v[17:18], v[23:24], s[18:19], v[17:18]
	v_fma_f64 v[23:24], v[39:40], s[0:1], v[29:30]
	;; [unrolled: 1-line block ×3, first 2 shown]
	v_add_f64 v[29:30], -v[50:51], 1.0
	v_fma_f64 v[37:38], v[46:47], v[52:53], s[10:11]
	v_fma_f64 v[21:22], v[46:47], v[21:22], s[14:15]
	v_mul_f64 v[43:44], v[8:9], -v[46:47]
	v_mul_f64 v[52:53], v[10:11], 0.5
	v_mul_f64 v[54:55], v[39:40], 0.5
	v_fma_f64 v[31:32], v[39:40], s[6:7], v[31:32]
	v_fma_f64 v[23:24], v[39:40], v[23:24], s[8:9]
	v_add_f64 v[29:30], v[29:30], -v[41:42]
	v_fma_f64 v[37:38], v[46:47], v[37:38], s[2:3]
	v_add_f64 v[33:34], v[48:49], v[33:34]
	v_add_f64 v[15:16], v[15:16], -v[17:18]
	v_fma_f64 v[21:22], v[43:44], v[21:22], v[52:53]
	v_add_f64 v[41:42], -v[54:55], 1.0
	v_fma_f64 v[31:32], v[39:40], v[31:32], s[10:11]
	v_fma_f64 v[23:24], v[39:40], v[23:24], s[12:13]
	v_fma_f64 v[29:30], v[8:9], -v[10:11], v[29:30]
	v_fma_f64 v[17:18], v[46:47], v[37:38], s[16:17]
	v_mul_f64 v[37:38], v[25:26], -v[39:40]
	v_mul_f64 v[48:49], v[27:28], 0.5
	v_fma_f64 v[10:11], v[46:47], v[21:22], -v[10:11]
	v_add_f64 v[21:22], -v[41:42], 1.0
	v_fma_f64 v[31:32], v[39:40], v[31:32], s[2:3]
	v_fma_f64 v[23:24], v[39:40], v[23:24], s[14:15]
	v_and_b32_e32 v52, 1, v36
	v_cmp_eq_u32_e32 vcc, 0, v52
	v_fma_f64 v[17:18], v[46:47], v[17:18], s[20:21]
	v_mul_f64 v[45:46], v[46:47], v[46:47]
	v_cndmask_b32_e32 v33, v33, v15, vcc
	v_cndmask_b32_e32 v34, v34, v16, vcc
	v_fma_f64 v[15:16], v[39:40], v[31:32], s[16:17]
	v_add_f64 v[21:22], v[21:22], -v[54:55]
	v_fma_f64 v[23:24], v[37:38], v[23:24], v[48:49]
	v_fma_f64 v[10:11], v[43:44], s[18:19], v[10:11]
	v_lshlrev_b32_e32 v31, 30, v36
	v_fma_f64 v[17:18], v[45:46], v[17:18], v[29:30]
	v_mul_f64 v[29:30], v[39:40], v[39:40]
	v_cmp_class_f64_e64 vcc, v[12:13], s22
	v_fma_f64 v[15:16], v[39:40], v[15:16], s[20:21]
	v_fma_f64 v[21:22], v[25:26], -v[27:28], v[21:22]
	v_fma_f64 v[23:24], v[39:40], v[23:24], -v[27:28]
	v_xor_b32_e32 v31, v31, v13
	v_add_f64 v[8:9], v[8:9], -v[10:11]
	v_add_f64 v[12:13], v[50:51], v[17:18]
	v_and_b32_e32 v27, 0x80000000, v31
	v_xor_b32_e32 v11, v34, v27
	v_cndmask_b32_e32 v10, 0, v33, vcc
	v_fma_f64 v[15:16], v[29:30], v[15:16], v[21:22]
	v_fma_f64 v[17:18], v[37:38], s[18:19], v[23:24]
	v_and_b32_e32 v21, 1, v35
	v_cndmask_b32_e32 v11, v56, v11, vcc
	v_cmp_eq_u32_e32 vcc, 0, v21
	v_cndmask_b32_e32 v21, v12, v8, vcc
	v_cndmask_b32_e32 v22, v13, v9, vcc
	v_cmp_class_f64_e64 vcc, v[4:5], s22
	v_add_f64 v[8:9], v[41:42], v[15:16]
	v_add_f64 v[12:13], v[25:26], -v[17:18]
	v_lshlrev_b32_e32 v23, 30, v35
	v_cmp_class_f64_e64 s[2:3], v[19:20], s22
	v_xor_b32_e32 v15, v23, v5
	v_and_b32_e32 v4, 0x80000000, v15
	v_and_b32_e32 v15, 1, v14
	v_cmp_eq_u32_e64 s[0:1], 0, v15
	v_xor_b32_e32 v5, v22, v4
	v_cndmask_b32_e64 v8, v8, v12, s[0:1]
	v_lshlrev_b32_e32 v12, 30, v14
	v_xor_b32_e32 v12, v12, v20
	v_cndmask_b32_e64 v9, v9, v13, s[0:1]
	v_and_b32_e32 v12, 0x80000000, v12
	v_cndmask_b32_e32 v4, 0, v21, vcc
	v_cndmask_b32_e32 v5, v56, v5, vcc
	v_xor_b32_e32 v9, v9, v12
	v_cndmask_b32_e64 v8, 0, v8, s[2:3]
	v_cndmask_b32_e64 v9, v56, v9, s[2:3]
	global_store_dwordx2 v0, v[4:5], s[4:5]
	global_store_dwordx2 v1, v[10:11], s[4:5]
	;; [unrolled: 1-line block ×4, first 2 shown]
	s_endpgm
.LBB5_89:
	v_mov_b32_e32 v0, 0
	v_mov_b32_e32 v2, 0
	s_branch .LBB5_95
.LBB5_90:
	v_mov_b32_e32 v0, 0
	v_mov_b32_e32 v2, 0
	s_branch .LBB5_115
.LBB5_91:
	s_mov_b32 s57, 0
	v_mov_b32_e32 v0, 0
	v_mov_b32_e32 v2, 0
	;; [unrolled: 1-line block ×3, first 2 shown]
.LBB5_92:
	s_and_b32 s4, s58, 3
	s_cmp_eq_u32 s4, 0
	s_cbranch_scc1 .LBB5_95
; %bb.93:
	s_lshl_b32 s0, s57, 3
	s_add_u32 s0, s34, s0
	s_addc_u32 s1, s35, 0
	s_add_u32 s0, s0, 0xc4
	s_addc_u32 s1, s1, 0
	s_mul_i32 s2, s57, 12
	s_add_u32 s2, s34, s2
	s_addc_u32 s3, s35, 0
.LBB5_94:                               ; =>This Inner Loop Header: Depth=1
	s_load_dwordx2 s[6:7], s[2:3], 0x4
	s_load_dword s5, s[2:3], 0xc
	s_load_dwordx2 s[8:9], s[0:1], 0x0
	s_add_u32 s2, s2, 12
	s_addc_u32 s3, s3, 0
	s_waitcnt lgkmcnt(0)
	v_mul_hi_u32 v3, s7, v1
	s_add_u32 s0, s0, 8
	s_addc_u32 s1, s1, 0
	s_add_i32 s4, s4, -1
	v_add_u32_e32 v3, v1, v3
	v_lshrrev_b32_e32 v4, s5, v3
	v_mul_lo_u32 v3, v4, s6
	s_cmp_lg_u32 s4, 0
	v_sub_u32_e32 v3, v1, v3
	v_mad_u64_u32 v[0:1], s[6:7], v3, s8, v[0:1]
	v_mad_u64_u32 v[2:3], s[6:7], v3, s9, v[2:3]
	v_mov_b32_e32 v1, v4
	s_cbranch_scc1 .LBB5_94
.LBB5_95:
	s_cbranch_execnz .LBB5_98
.LBB5_96:
	s_waitcnt lgkmcnt(0)
	v_mul_hi_u32 v0, s25, v8
	s_andn2_b64 vcc, exec, s[42:43]
	v_add_u32_e32 v0, v8, v0
	v_lshrrev_b32_e32 v1, s26, v0
	v_mul_lo_u32 v0, v1, s24
	v_sub_u32_e32 v2, v8, v0
	v_mul_lo_u32 v0, v2, s20
	v_mul_lo_u32 v2, v2, s21
	s_cbranch_vccnz .LBB5_98
; %bb.97:
	v_mul_hi_u32 v3, s40, v1
	v_add_u32_e32 v3, v1, v3
	v_lshrrev_b32_e32 v3, s41, v3
	v_mul_lo_u32 v3, v3, s27
	v_sub_u32_e32 v3, v1, v3
	v_mad_u64_u32 v[0:1], s[0:1], v3, s22, v[0:1]
	v_mad_u64_u32 v[2:3], s[0:1], v3, s23, v[2:3]
.LBB5_98:
	s_waitcnt lgkmcnt(0)
	global_load_dwordx2 v[1:2], v2, s[18:19]
	s_mov_b32 s0, 0
	s_mov_b32 s1, 0x41d00000
                                        ; implicit-def: $vgpr7
                                        ; implicit-def: $vgpr3_vgpr4
                                        ; implicit-def: $vgpr5_vgpr6
	s_waitcnt vmcnt(0)
	v_cmp_nlt_f64_e64 s[0:1], |v[1:2]|, s[0:1]
	s_and_saveexec_b64 s[2:3], s[0:1]
	s_xor_b64 s[2:3], exec, s[2:3]
	s_cbranch_execz .LBB5_100
; %bb.99:
	v_trig_preop_f64 v[3:4], |v[1:2]|, 0
	s_mov_b32 s0, 0
	s_mov_b32 s1, 0x7b000000
	s_movk_i32 s4, 0xff80
	v_ldexp_f64 v[9:10], |v[1:2]|, s4
	v_cmp_ge_f64_e64 vcc, |v[1:2]|, s[0:1]
	v_trig_preop_f64 v[5:6], |v[1:2]|, 1
	v_and_b32_e32 v7, 0x7fffffff, v2
	v_trig_preop_f64 v[17:18], |v[1:2]|, 2
	s_mov_b32 s0, 0
	s_mov_b32 s1, 0x7ff00000
	v_mov_b32_e32 v27, 0
	s_mov_b32 s4, 0x33145c07
	v_cndmask_b32_e32 v10, v7, v10, vcc
	v_cndmask_b32_e32 v9, v1, v9, vcc
	v_mov_b32_e32 v7, 0x40100000
	v_mul_f64 v[11:12], v[3:4], v[9:10]
	s_mov_b32 s5, 0x3c91a626
	v_mul_f64 v[13:14], v[5:6], v[9:10]
	v_mul_f64 v[23:24], v[17:18], v[9:10]
	v_fma_f64 v[3:4], v[3:4], v[9:10], -v[11:12]
	v_fma_f64 v[5:6], v[5:6], v[9:10], -v[13:14]
	;; [unrolled: 1-line block ×3, first 2 shown]
	v_add_f64 v[15:16], v[13:14], v[3:4]
	v_add_f64 v[19:20], v[15:16], -v[13:14]
	v_add_f64 v[25:26], v[11:12], v[15:16]
	v_add_f64 v[21:22], v[15:16], -v[19:20]
	v_add_f64 v[3:4], v[3:4], -v[19:20]
	v_add_f64 v[19:20], v[23:24], v[5:6]
	v_add_f64 v[11:12], v[25:26], -v[11:12]
	v_add_f64 v[13:14], v[13:14], -v[21:22]
	v_ldexp_f64 v[21:22], v[25:26], -2
	v_add_f64 v[29:30], v[19:20], -v[23:24]
	v_add_f64 v[11:12], v[15:16], -v[11:12]
	v_add_f64 v[3:4], v[3:4], v[13:14]
	v_fract_f64_e32 v[13:14], v[21:22]
	v_cmp_neq_f64_e64 vcc, |v[21:22]|, s[0:1]
	v_add_f64 v[5:6], v[5:6], -v[29:30]
	v_add_f64 v[15:16], v[19:20], v[3:4]
	v_ldexp_f64 v[13:14], v[13:14], 2
	v_add_f64 v[21:22], v[11:12], v[15:16]
	v_cndmask_b32_e32 v14, 0, v14, vcc
	v_cndmask_b32_e32 v13, 0, v13, vcc
	v_add_f64 v[31:32], v[15:16], -v[19:20]
	v_add_f64 v[25:26], v[21:22], v[13:14]
	v_add_f64 v[11:12], v[21:22], -v[11:12]
	v_add_f64 v[33:34], v[15:16], -v[31:32]
	;; [unrolled: 1-line block ×3, first 2 shown]
	v_cmp_gt_f64_e32 vcc, 0, v[25:26]
	v_add_f64 v[25:26], v[19:20], -v[29:30]
	v_add_f64 v[11:12], v[15:16], -v[11:12]
	;; [unrolled: 1-line block ×3, first 2 shown]
	v_cndmask_b32_e32 v28, 0, v7, vcc
	v_add_f64 v[13:14], v[13:14], v[27:28]
	v_add_f64 v[25:26], v[23:24], -v[25:26]
	v_add_f64 v[3:4], v[3:4], v[19:20]
	v_add_f64 v[35:36], v[21:22], v[13:14]
	;; [unrolled: 1-line block ×3, first 2 shown]
	v_cvt_i32_f64_e32 v7, v[35:36]
	v_add_f64 v[3:4], v[5:6], v[3:4]
	v_cvt_f64_i32_e32 v[28:29], v7
	v_add_f64 v[13:14], v[13:14], -v[28:29]
	v_add_f64 v[3:4], v[9:10], v[3:4]
	v_add_f64 v[5:6], v[21:22], v[13:14]
	;; [unrolled: 1-line block ×3, first 2 shown]
	v_mov_b32_e32 v11, 0x3ff00000
	v_add_f64 v[9:10], v[5:6], -v[13:14]
	v_cmp_le_f64_e32 vcc, 0.5, v[5:6]
	v_add_f64 v[9:10], v[21:22], -v[9:10]
	v_cndmask_b32_e32 v28, 0, v11, vcc
	v_add_f64 v[5:6], v[5:6], -v[27:28]
	v_addc_co_u32_e64 v7, s[0:1], 0, v7, vcc
	s_mov_b32 s0, 0x54442d18
	s_mov_b32 s1, 0x3ff921fb
	v_add_f64 v[3:4], v[3:4], v[9:10]
	v_add_f64 v[9:10], v[5:6], v[3:4]
	v_mul_f64 v[11:12], v[9:10], s[0:1]
	v_add_f64 v[5:6], v[9:10], -v[5:6]
	v_fma_f64 v[13:14], v[9:10], s[0:1], -v[11:12]
	v_add_f64 v[3:4], v[3:4], -v[5:6]
	v_fma_f64 v[5:6], v[9:10], s[4:5], v[13:14]
	v_fma_f64 v[5:6], v[3:4], s[0:1], v[5:6]
	v_add_f64 v[3:4], v[11:12], v[5:6]
	v_add_f64 v[9:10], v[3:4], -v[11:12]
	v_add_f64 v[5:6], v[5:6], -v[9:10]
.LBB5_100:
	s_andn2_saveexec_b64 s[0:1], s[2:3]
	s_cbranch_execz .LBB5_102
; %bb.101:
	s_mov_b32 s2, 0x6dc9c883
	s_mov_b32 s3, 0x3fe45f30
	v_mul_f64 v[3:4], |v[1:2]|, s[2:3]
	s_mov_b32 s2, 0x54442d18
	s_mov_b32 s3, 0xbff921fb
	;; [unrolled: 1-line block ×4, first 2 shown]
	v_rndne_f64_e32 v[9:10], v[3:4]
	v_fma_f64 v[3:4], v[9:10], s[2:3], |v[1:2]|
	v_mul_f64 v[5:6], v[9:10], s[4:5]
	s_mov_b32 s2, 0x252049c0
	s_mov_b32 s3, 0xb97b839a
	v_cvt_i32_f64_e32 v7, v[9:10]
	v_fma_f64 v[15:16], v[9:10], s[4:5], v[3:4]
	v_add_f64 v[11:12], v[3:4], v[5:6]
	s_mov_b32 s5, 0x3c91a626
	v_add_f64 v[13:14], v[3:4], -v[11:12]
	v_add_f64 v[11:12], v[11:12], -v[15:16]
	v_add_f64 v[3:4], v[13:14], v[5:6]
	v_fma_f64 v[5:6], v[9:10], s[4:5], v[5:6]
	v_add_f64 v[3:4], v[11:12], v[3:4]
	v_add_f64 v[3:4], v[3:4], -v[5:6]
	v_fma_f64 v[5:6], v[9:10], s[2:3], v[3:4]
	v_add_f64 v[3:4], v[15:16], v[5:6]
	v_add_f64 v[11:12], v[3:4], -v[15:16]
	v_add_f64 v[5:6], v[5:6], -v[11:12]
.LBB5_102:
	s_or_b64 exec, exec, s[0:1]
	v_mul_f64 v[9:10], v[3:4], v[3:4]
	s_mov_b32 s0, 0xf9a43bb8
	v_mov_b32_e32 v12, 0xb42fdfa7
	v_mov_b32_e32 v13, 0xbe5ae600
	s_mov_b32 s1, 0x3de5e0b2
	s_mov_b32 s2, 0x796cde01
	v_mov_b32_e32 v11, 0x9037ab78
	s_mov_b32 s3, 0x3ec71de3
	v_fma_f64 v[13:14], v[9:10], s[0:1], v[12:13]
	s_mov_b32 s0, 0x46cc5e42
	v_mov_b32_e32 v12, 0x3e21eeb6
	s_mov_b32 s1, 0xbda907db
	v_fma_f64 v[11:12], v[9:10], s[0:1], v[11:12]
	v_mul_f64 v[15:16], v[9:10], 0.5
	s_mov_b32 s0, 0xa17f65f6
	s_mov_b32 s4, 0x19e83e5c
	v_fma_f64 v[13:14], v[9:10], v[13:14], s[2:3]
	s_mov_b32 s1, 0xbe927e4f
	s_mov_b32 s5, 0xbf2a01a0
	;; [unrolled: 1-line block ×3, first 2 shown]
	v_fma_f64 v[11:12], v[9:10], v[11:12], s[0:1]
	v_add_f64 v[17:18], -v[15:16], 1.0
	s_mov_b32 s0, 0x11110bb3
	s_mov_b32 s3, 0x3efa01a0
	v_fma_f64 v[13:14], v[9:10], v[13:14], s[4:5]
	s_mov_b32 s1, 0x3f811111
	v_mul_f64 v[19:20], v[5:6], 0.5
	v_mul_f64 v[21:22], v[3:4], -v[9:10]
	v_fma_f64 v[11:12], v[9:10], v[11:12], s[2:3]
	v_add_f64 v[23:24], -v[17:18], 1.0
	v_add_u32_e32 v8, 0x80, v8
	v_fma_f64 v[13:14], v[9:10], v[13:14], s[0:1]
	s_mov_b32 s0, 0x16c16967
	s_mov_b32 s1, 0xbf56c16c
	v_fma_f64 v[11:12], v[9:10], v[11:12], s[0:1]
	v_add_f64 v[15:16], v[23:24], -v[15:16]
	s_mov_b32 s1, 0x3fa55555
	s_mov_b32 s0, 0x55555555
	v_fma_f64 v[13:14], v[21:22], v[13:14], v[19:20]
	v_mul_f64 v[19:20], v[9:10], v[9:10]
	v_fma_f64 v[11:12], v[9:10], v[11:12], s[0:1]
	v_fma_f64 v[15:16], v[3:4], -v[5:6], v[15:16]
	s_mov_b32 s1, 0xbfc55555
	v_fma_f64 v[5:6], v[9:10], v[13:14], -v[5:6]
	v_fma_f64 v[9:10], v[19:20], v[11:12], v[15:16]
	v_fma_f64 v[5:6], v[21:22], s[0:1], v[5:6]
	s_movk_i32 s0, 0x1f8
	v_cmp_class_f64_e64 s[0:1], v[1:2], s0
	v_lshlrev_b32_e32 v1, 30, v7
	v_xor_b32_e32 v1, v1, v2
	v_add_f64 v[9:10], v[17:18], v[9:10]
	v_and_b32_e32 v1, 0x80000000, v1
	v_add_f64 v[3:4], v[3:4], -v[5:6]
	v_and_b32_e32 v5, 1, v7
	v_cmp_eq_u32_e32 vcc, 0, v5
	v_mov_b32_e32 v5, 0x7ff80000
	v_cndmask_b32_e32 v2, v10, v4, vcc
	v_cndmask_b32_e32 v3, v9, v3, vcc
	v_xor_b32_e32 v2, v2, v1
	v_cndmask_b32_e64 v1, 0, v3, s[0:1]
	v_cndmask_b32_e64 v2, v5, v2, s[0:1]
	global_store_dwordx2 v0, v[1:2], s[16:17]
	s_or_b64 exec, exec, s[48:49]
	v_cmp_gt_i32_e32 vcc, s55, v8
	s_and_saveexec_b64 s[48:49], vcc
	s_cbranch_execnz .LBB5_15
.LBB5_103:
	s_or_b64 exec, exec, s[48:49]
	v_cmp_gt_i32_e32 vcc, s55, v8
	s_and_saveexec_b64 s[48:49], vcc
	s_cbranch_execz .LBB5_123
.LBB5_104:
	s_andn2_b64 vcc, exec, s[36:37]
	s_cbranch_vccnz .LBB5_109
; %bb.105:
	s_andn2_b64 vcc, exec, s[46:47]
	s_cbranch_vccnz .LBB5_110
; %bb.106:
	s_add_i32 s58, s56, 1
	s_cmp_eq_u32 s54, 2
	s_cbranch_scc1 .LBB5_126
; %bb.107:
	s_and_b32 s57, s58, 28
	v_mov_b32_e32 v2, 0
	s_mov_b32 s59, 0
	s_mov_b64 s[50:51], s[34:35]
	s_mov_b64 s[52:53], s[44:45]
	v_mov_b32_e32 v0, 0
	v_mov_b32_e32 v1, v8
.LBB5_108:                              ; =>This Inner Loop Header: Depth=1
	s_load_dwordx8 s[8:15], s[50:51], 0x4
	s_load_dwordx4 s[28:31], s[50:51], 0x24
	s_load_dwordx8 s[0:7], s[52:53], 0x0
	s_add_u32 s50, s50, 48
	s_addc_u32 s51, s51, 0
	s_waitcnt lgkmcnt(0)
	v_mul_hi_u32 v3, s9, v1
	s_add_i32 s59, s59, 4
	s_add_u32 s52, s52, 32
	s_addc_u32 s53, s53, 0
	v_add_u32_e32 v3, v1, v3
	v_lshrrev_b32_e32 v3, s10, v3
	v_mul_lo_u32 v4, v3, s8
	v_mul_hi_u32 v5, s12, v3
	s_cmp_eq_u32 s57, s59
	v_sub_u32_e32 v1, v1, v4
	v_add_u32_e32 v4, v3, v5
	v_mul_lo_u32 v5, v1, s0
	v_mul_lo_u32 v6, v1, s1
	v_lshrrev_b32_e32 v1, s13, v4
	v_mul_lo_u32 v4, v1, s11
	v_mul_hi_u32 v7, s15, v1
	v_sub_u32_e32 v3, v3, v4
	v_add_u32_e32 v4, v1, v7
	v_lshrrev_b32_e32 v4, s28, v4
	v_mul_hi_u32 v9, s30, v4
	v_mul_lo_u32 v10, v4, s14
	v_mul_lo_u32 v7, v3, s2
	v_mul_lo_u32 v3, v3, s3
	v_sub_u32_e32 v10, v1, v10
	v_add_u32_e32 v1, v4, v9
	v_lshrrev_b32_e32 v1, s31, v1
	v_mul_lo_u32 v9, v1, s29
	v_mul_lo_u32 v11, v10, s4
	;; [unrolled: 1-line block ×3, first 2 shown]
	v_add3_u32 v0, v5, v0, v7
	v_sub_u32_e32 v4, v4, v9
	v_mul_lo_u32 v9, v4, s6
	v_mul_lo_u32 v4, v4, s7
	v_add3_u32 v2, v6, v2, v3
	v_add3_u32 v0, v11, v0, v9
	;; [unrolled: 1-line block ×3, first 2 shown]
	s_cbranch_scc0 .LBB5_108
	s_branch .LBB5_127
.LBB5_109:
                                        ; implicit-def: $vgpr0
                                        ; implicit-def: $vgpr2
	s_branch .LBB5_131
.LBB5_110:
	v_mov_b32_e32 v0, 0
	v_mov_b32_e32 v2, 0
	s_branch .LBB5_130
.LBB5_111:
	s_mov_b32 s57, 0
	v_mov_b32_e32 v0, 0
	v_mov_b32_e32 v2, 0
	;; [unrolled: 1-line block ×3, first 2 shown]
.LBB5_112:
	s_and_b32 s4, s58, 3
	s_cmp_eq_u32 s4, 0
	s_cbranch_scc1 .LBB5_115
; %bb.113:
	s_lshl_b32 s0, s57, 3
	s_add_u32 s0, s34, s0
	s_addc_u32 s1, s35, 0
	s_add_u32 s0, s0, 0xc4
	s_addc_u32 s1, s1, 0
	s_mul_i32 s2, s57, 12
	s_add_u32 s2, s34, s2
	s_addc_u32 s3, s35, 0
.LBB5_114:                              ; =>This Inner Loop Header: Depth=1
	s_load_dwordx2 s[6:7], s[2:3], 0x4
	s_load_dword s5, s[2:3], 0xc
	s_load_dwordx2 s[8:9], s[0:1], 0x0
	s_add_u32 s2, s2, 12
	s_addc_u32 s3, s3, 0
	s_waitcnt lgkmcnt(0)
	v_mul_hi_u32 v3, s7, v1
	s_add_u32 s0, s0, 8
	s_addc_u32 s1, s1, 0
	s_add_i32 s4, s4, -1
	v_add_u32_e32 v3, v1, v3
	v_lshrrev_b32_e32 v4, s5, v3
	v_mul_lo_u32 v3, v4, s6
	s_cmp_lg_u32 s4, 0
	v_sub_u32_e32 v3, v1, v3
	v_mad_u64_u32 v[0:1], s[6:7], v3, s8, v[0:1]
	v_mad_u64_u32 v[2:3], s[6:7], v3, s9, v[2:3]
	v_mov_b32_e32 v1, v4
	s_cbranch_scc1 .LBB5_114
.LBB5_115:
	s_cbranch_execnz .LBB5_118
.LBB5_116:
	s_waitcnt lgkmcnt(0)
	v_mul_hi_u32 v0, s25, v8
	s_andn2_b64 vcc, exec, s[42:43]
	v_add_u32_e32 v0, v8, v0
	v_lshrrev_b32_e32 v1, s26, v0
	v_mul_lo_u32 v0, v1, s24
	v_sub_u32_e32 v2, v8, v0
	v_mul_lo_u32 v0, v2, s20
	v_mul_lo_u32 v2, v2, s21
	s_cbranch_vccnz .LBB5_118
; %bb.117:
	v_mul_hi_u32 v3, s40, v1
	v_add_u32_e32 v3, v1, v3
	v_lshrrev_b32_e32 v3, s41, v3
	v_mul_lo_u32 v3, v3, s27
	v_sub_u32_e32 v3, v1, v3
	v_mad_u64_u32 v[0:1], s[0:1], v3, s22, v[0:1]
	v_mad_u64_u32 v[2:3], s[0:1], v3, s23, v[2:3]
.LBB5_118:
	s_waitcnt lgkmcnt(0)
	global_load_dwordx2 v[1:2], v2, s[18:19]
	s_mov_b32 s0, 0
	s_mov_b32 s1, 0x41d00000
                                        ; implicit-def: $vgpr7
                                        ; implicit-def: $vgpr3_vgpr4
                                        ; implicit-def: $vgpr5_vgpr6
	s_waitcnt vmcnt(0)
	v_cmp_nlt_f64_e64 s[0:1], |v[1:2]|, s[0:1]
	s_and_saveexec_b64 s[2:3], s[0:1]
	s_xor_b64 s[2:3], exec, s[2:3]
	s_cbranch_execz .LBB5_120
; %bb.119:
	v_trig_preop_f64 v[3:4], |v[1:2]|, 0
	s_mov_b32 s0, 0
	s_mov_b32 s1, 0x7b000000
	s_movk_i32 s4, 0xff80
	v_ldexp_f64 v[9:10], |v[1:2]|, s4
	v_cmp_ge_f64_e64 vcc, |v[1:2]|, s[0:1]
	v_trig_preop_f64 v[5:6], |v[1:2]|, 1
	v_and_b32_e32 v7, 0x7fffffff, v2
	v_trig_preop_f64 v[17:18], |v[1:2]|, 2
	s_mov_b32 s0, 0
	s_mov_b32 s1, 0x7ff00000
	v_mov_b32_e32 v27, 0
	s_mov_b32 s4, 0x33145c07
	v_cndmask_b32_e32 v10, v7, v10, vcc
	v_cndmask_b32_e32 v9, v1, v9, vcc
	v_mov_b32_e32 v7, 0x40100000
	v_mul_f64 v[11:12], v[3:4], v[9:10]
	s_mov_b32 s5, 0x3c91a626
	v_mul_f64 v[13:14], v[5:6], v[9:10]
	v_mul_f64 v[23:24], v[17:18], v[9:10]
	v_fma_f64 v[3:4], v[3:4], v[9:10], -v[11:12]
	v_fma_f64 v[5:6], v[5:6], v[9:10], -v[13:14]
	;; [unrolled: 1-line block ×3, first 2 shown]
	v_add_f64 v[15:16], v[13:14], v[3:4]
	v_add_f64 v[19:20], v[15:16], -v[13:14]
	v_add_f64 v[25:26], v[11:12], v[15:16]
	v_add_f64 v[21:22], v[15:16], -v[19:20]
	v_add_f64 v[3:4], v[3:4], -v[19:20]
	v_add_f64 v[19:20], v[23:24], v[5:6]
	v_add_f64 v[11:12], v[25:26], -v[11:12]
	v_add_f64 v[13:14], v[13:14], -v[21:22]
	v_ldexp_f64 v[21:22], v[25:26], -2
	v_add_f64 v[29:30], v[19:20], -v[23:24]
	v_add_f64 v[11:12], v[15:16], -v[11:12]
	v_add_f64 v[3:4], v[3:4], v[13:14]
	v_fract_f64_e32 v[13:14], v[21:22]
	v_cmp_neq_f64_e64 vcc, |v[21:22]|, s[0:1]
	v_add_f64 v[5:6], v[5:6], -v[29:30]
	v_add_f64 v[15:16], v[19:20], v[3:4]
	v_ldexp_f64 v[13:14], v[13:14], 2
	v_add_f64 v[21:22], v[11:12], v[15:16]
	v_cndmask_b32_e32 v14, 0, v14, vcc
	v_cndmask_b32_e32 v13, 0, v13, vcc
	v_add_f64 v[31:32], v[15:16], -v[19:20]
	v_add_f64 v[25:26], v[21:22], v[13:14]
	v_add_f64 v[11:12], v[21:22], -v[11:12]
	v_add_f64 v[33:34], v[15:16], -v[31:32]
	;; [unrolled: 1-line block ×3, first 2 shown]
	v_cmp_gt_f64_e32 vcc, 0, v[25:26]
	v_add_f64 v[25:26], v[19:20], -v[29:30]
	v_add_f64 v[11:12], v[15:16], -v[11:12]
	;; [unrolled: 1-line block ×3, first 2 shown]
	v_cndmask_b32_e32 v28, 0, v7, vcc
	v_add_f64 v[13:14], v[13:14], v[27:28]
	v_add_f64 v[25:26], v[23:24], -v[25:26]
	v_add_f64 v[3:4], v[3:4], v[19:20]
	v_add_f64 v[35:36], v[21:22], v[13:14]
	;; [unrolled: 1-line block ×3, first 2 shown]
	v_cvt_i32_f64_e32 v7, v[35:36]
	v_add_f64 v[3:4], v[5:6], v[3:4]
	v_cvt_f64_i32_e32 v[28:29], v7
	v_add_f64 v[13:14], v[13:14], -v[28:29]
	v_add_f64 v[3:4], v[9:10], v[3:4]
	v_add_f64 v[5:6], v[21:22], v[13:14]
	;; [unrolled: 1-line block ×3, first 2 shown]
	v_mov_b32_e32 v11, 0x3ff00000
	v_add_f64 v[9:10], v[5:6], -v[13:14]
	v_cmp_le_f64_e32 vcc, 0.5, v[5:6]
	v_add_f64 v[9:10], v[21:22], -v[9:10]
	v_cndmask_b32_e32 v28, 0, v11, vcc
	v_add_f64 v[5:6], v[5:6], -v[27:28]
	v_addc_co_u32_e64 v7, s[0:1], 0, v7, vcc
	s_mov_b32 s0, 0x54442d18
	s_mov_b32 s1, 0x3ff921fb
	v_add_f64 v[3:4], v[3:4], v[9:10]
	v_add_f64 v[9:10], v[5:6], v[3:4]
	v_mul_f64 v[11:12], v[9:10], s[0:1]
	v_add_f64 v[5:6], v[9:10], -v[5:6]
	v_fma_f64 v[13:14], v[9:10], s[0:1], -v[11:12]
	v_add_f64 v[3:4], v[3:4], -v[5:6]
	v_fma_f64 v[5:6], v[9:10], s[4:5], v[13:14]
	v_fma_f64 v[5:6], v[3:4], s[0:1], v[5:6]
	v_add_f64 v[3:4], v[11:12], v[5:6]
	v_add_f64 v[9:10], v[3:4], -v[11:12]
	v_add_f64 v[5:6], v[5:6], -v[9:10]
.LBB5_120:
	s_andn2_saveexec_b64 s[0:1], s[2:3]
	s_cbranch_execz .LBB5_122
; %bb.121:
	s_mov_b32 s2, 0x6dc9c883
	s_mov_b32 s3, 0x3fe45f30
	v_mul_f64 v[3:4], |v[1:2]|, s[2:3]
	s_mov_b32 s2, 0x54442d18
	s_mov_b32 s3, 0xbff921fb
	;; [unrolled: 1-line block ×4, first 2 shown]
	v_rndne_f64_e32 v[9:10], v[3:4]
	v_fma_f64 v[3:4], v[9:10], s[2:3], |v[1:2]|
	v_mul_f64 v[5:6], v[9:10], s[4:5]
	s_mov_b32 s2, 0x252049c0
	s_mov_b32 s3, 0xb97b839a
	v_cvt_i32_f64_e32 v7, v[9:10]
	v_fma_f64 v[15:16], v[9:10], s[4:5], v[3:4]
	v_add_f64 v[11:12], v[3:4], v[5:6]
	s_mov_b32 s5, 0x3c91a626
	v_add_f64 v[13:14], v[3:4], -v[11:12]
	v_add_f64 v[11:12], v[11:12], -v[15:16]
	v_add_f64 v[3:4], v[13:14], v[5:6]
	v_fma_f64 v[5:6], v[9:10], s[4:5], v[5:6]
	v_add_f64 v[3:4], v[11:12], v[3:4]
	v_add_f64 v[3:4], v[3:4], -v[5:6]
	v_fma_f64 v[5:6], v[9:10], s[2:3], v[3:4]
	v_add_f64 v[3:4], v[15:16], v[5:6]
	v_add_f64 v[11:12], v[3:4], -v[15:16]
	v_add_f64 v[5:6], v[5:6], -v[11:12]
.LBB5_122:
	s_or_b64 exec, exec, s[0:1]
	v_mul_f64 v[9:10], v[3:4], v[3:4]
	s_mov_b32 s0, 0xf9a43bb8
	v_mov_b32_e32 v12, 0xb42fdfa7
	v_mov_b32_e32 v13, 0xbe5ae600
	s_mov_b32 s1, 0x3de5e0b2
	s_mov_b32 s2, 0x796cde01
	v_mov_b32_e32 v11, 0x9037ab78
	s_mov_b32 s3, 0x3ec71de3
	v_fma_f64 v[13:14], v[9:10], s[0:1], v[12:13]
	s_mov_b32 s0, 0x46cc5e42
	v_mov_b32_e32 v12, 0x3e21eeb6
	s_mov_b32 s1, 0xbda907db
	v_fma_f64 v[11:12], v[9:10], s[0:1], v[11:12]
	v_mul_f64 v[15:16], v[9:10], 0.5
	s_mov_b32 s0, 0xa17f65f6
	s_mov_b32 s4, 0x19e83e5c
	v_fma_f64 v[13:14], v[9:10], v[13:14], s[2:3]
	s_mov_b32 s1, 0xbe927e4f
	s_mov_b32 s5, 0xbf2a01a0
	;; [unrolled: 1-line block ×3, first 2 shown]
	v_fma_f64 v[11:12], v[9:10], v[11:12], s[0:1]
	v_add_f64 v[17:18], -v[15:16], 1.0
	s_mov_b32 s0, 0x11110bb3
	s_mov_b32 s3, 0x3efa01a0
	v_fma_f64 v[13:14], v[9:10], v[13:14], s[4:5]
	s_mov_b32 s1, 0x3f811111
	v_mul_f64 v[19:20], v[5:6], 0.5
	v_mul_f64 v[21:22], v[3:4], -v[9:10]
	v_fma_f64 v[11:12], v[9:10], v[11:12], s[2:3]
	v_add_f64 v[23:24], -v[17:18], 1.0
	v_add_u32_e32 v8, 0x80, v8
	v_fma_f64 v[13:14], v[9:10], v[13:14], s[0:1]
	s_mov_b32 s0, 0x16c16967
	s_mov_b32 s1, 0xbf56c16c
	v_fma_f64 v[11:12], v[9:10], v[11:12], s[0:1]
	v_add_f64 v[15:16], v[23:24], -v[15:16]
	s_mov_b32 s1, 0x3fa55555
	s_mov_b32 s0, 0x55555555
	v_fma_f64 v[13:14], v[21:22], v[13:14], v[19:20]
	v_mul_f64 v[19:20], v[9:10], v[9:10]
	v_fma_f64 v[11:12], v[9:10], v[11:12], s[0:1]
	v_fma_f64 v[15:16], v[3:4], -v[5:6], v[15:16]
	s_mov_b32 s1, 0xbfc55555
	v_fma_f64 v[5:6], v[9:10], v[13:14], -v[5:6]
	v_fma_f64 v[9:10], v[19:20], v[11:12], v[15:16]
	v_fma_f64 v[5:6], v[21:22], s[0:1], v[5:6]
	s_movk_i32 s0, 0x1f8
	v_cmp_class_f64_e64 s[0:1], v[1:2], s0
	v_lshlrev_b32_e32 v1, 30, v7
	v_xor_b32_e32 v1, v1, v2
	v_add_f64 v[9:10], v[17:18], v[9:10]
	v_and_b32_e32 v1, 0x80000000, v1
	v_add_f64 v[3:4], v[3:4], -v[5:6]
	v_and_b32_e32 v5, 1, v7
	v_cmp_eq_u32_e32 vcc, 0, v5
	v_mov_b32_e32 v5, 0x7ff80000
	v_cndmask_b32_e32 v2, v10, v4, vcc
	v_cndmask_b32_e32 v3, v9, v3, vcc
	v_xor_b32_e32 v2, v2, v1
	v_cndmask_b32_e64 v1, 0, v3, s[0:1]
	v_cndmask_b32_e64 v2, v5, v2, s[0:1]
	global_store_dwordx2 v0, v[1:2], s[16:17]
	s_or_b64 exec, exec, s[48:49]
	v_cmp_gt_i32_e32 vcc, s55, v8
	s_and_saveexec_b64 s[48:49], vcc
	s_cbranch_execnz .LBB5_104
.LBB5_123:
	s_or_b64 exec, exec, s[48:49]
	v_cmp_gt_i32_e32 vcc, s55, v8
	s_and_saveexec_b64 s[48:49], vcc
	s_cbranch_execnz .LBB5_138
.LBB5_124:
	s_or_b64 exec, exec, s[48:49]
                                        ; implicit-def: $vgpr9
                                        ; implicit-def: $vgpr8
	s_andn2_saveexec_b64 s[0:1], s[38:39]
	s_cbranch_execnz .LBB5_8
.LBB5_125:
	s_endpgm
.LBB5_126:
	s_mov_b32 s57, 0
	v_mov_b32_e32 v0, 0
	v_mov_b32_e32 v2, 0
	;; [unrolled: 1-line block ×3, first 2 shown]
.LBB5_127:
	s_and_b32 s4, s58, 3
	s_cmp_eq_u32 s4, 0
	s_cbranch_scc1 .LBB5_130
; %bb.128:
	s_lshl_b32 s0, s57, 3
	s_add_u32 s0, s34, s0
	s_addc_u32 s1, s35, 0
	s_add_u32 s0, s0, 0xc4
	s_addc_u32 s1, s1, 0
	s_mul_i32 s2, s57, 12
	s_add_u32 s2, s34, s2
	s_addc_u32 s3, s35, 0
.LBB5_129:                              ; =>This Inner Loop Header: Depth=1
	s_load_dwordx2 s[6:7], s[2:3], 0x4
	s_load_dword s5, s[2:3], 0xc
	s_load_dwordx2 s[8:9], s[0:1], 0x0
	s_add_u32 s2, s2, 12
	s_addc_u32 s3, s3, 0
	s_waitcnt lgkmcnt(0)
	v_mul_hi_u32 v3, s7, v1
	s_add_u32 s0, s0, 8
	s_addc_u32 s1, s1, 0
	s_add_i32 s4, s4, -1
	v_add_u32_e32 v3, v1, v3
	v_lshrrev_b32_e32 v4, s5, v3
	v_mul_lo_u32 v3, v4, s6
	s_cmp_lg_u32 s4, 0
	v_sub_u32_e32 v3, v1, v3
	v_mad_u64_u32 v[0:1], s[6:7], v3, s8, v[0:1]
	v_mad_u64_u32 v[2:3], s[6:7], v3, s9, v[2:3]
	v_mov_b32_e32 v1, v4
	s_cbranch_scc1 .LBB5_129
.LBB5_130:
	s_cbranch_execnz .LBB5_133
.LBB5_131:
	s_waitcnt lgkmcnt(0)
	v_mul_hi_u32 v0, s25, v8
	s_andn2_b64 vcc, exec, s[42:43]
	v_add_u32_e32 v0, v8, v0
	v_lshrrev_b32_e32 v1, s26, v0
	v_mul_lo_u32 v0, v1, s24
	v_sub_u32_e32 v2, v8, v0
	v_mul_lo_u32 v0, v2, s20
	v_mul_lo_u32 v2, v2, s21
	s_cbranch_vccnz .LBB5_133
; %bb.132:
	v_mul_hi_u32 v3, s40, v1
	v_add_u32_e32 v3, v1, v3
	v_lshrrev_b32_e32 v3, s41, v3
	v_mul_lo_u32 v3, v3, s27
	v_sub_u32_e32 v3, v1, v3
	v_mad_u64_u32 v[0:1], s[0:1], v3, s22, v[0:1]
	v_mad_u64_u32 v[2:3], s[0:1], v3, s23, v[2:3]
.LBB5_133:
	s_waitcnt lgkmcnt(0)
	global_load_dwordx2 v[1:2], v2, s[18:19]
	s_mov_b32 s0, 0
	s_mov_b32 s1, 0x41d00000
                                        ; implicit-def: $vgpr7
                                        ; implicit-def: $vgpr3_vgpr4
                                        ; implicit-def: $vgpr5_vgpr6
	s_waitcnt vmcnt(0)
	v_cmp_nlt_f64_e64 s[0:1], |v[1:2]|, s[0:1]
	s_and_saveexec_b64 s[2:3], s[0:1]
	s_xor_b64 s[2:3], exec, s[2:3]
	s_cbranch_execz .LBB5_135
; %bb.134:
	v_trig_preop_f64 v[3:4], |v[1:2]|, 0
	s_mov_b32 s0, 0
	s_mov_b32 s1, 0x7b000000
	s_movk_i32 s4, 0xff80
	v_ldexp_f64 v[9:10], |v[1:2]|, s4
	v_cmp_ge_f64_e64 vcc, |v[1:2]|, s[0:1]
	v_trig_preop_f64 v[5:6], |v[1:2]|, 1
	v_and_b32_e32 v7, 0x7fffffff, v2
	v_trig_preop_f64 v[17:18], |v[1:2]|, 2
	s_mov_b32 s0, 0
	s_mov_b32 s1, 0x7ff00000
	v_mov_b32_e32 v27, 0
	s_mov_b32 s4, 0x33145c07
	v_cndmask_b32_e32 v10, v7, v10, vcc
	v_cndmask_b32_e32 v9, v1, v9, vcc
	v_mov_b32_e32 v7, 0x40100000
	v_mul_f64 v[11:12], v[3:4], v[9:10]
	s_mov_b32 s5, 0x3c91a626
	v_mul_f64 v[13:14], v[5:6], v[9:10]
	v_mul_f64 v[23:24], v[17:18], v[9:10]
	v_fma_f64 v[3:4], v[3:4], v[9:10], -v[11:12]
	v_fma_f64 v[5:6], v[5:6], v[9:10], -v[13:14]
	;; [unrolled: 1-line block ×3, first 2 shown]
	v_add_f64 v[15:16], v[13:14], v[3:4]
	v_add_f64 v[19:20], v[15:16], -v[13:14]
	v_add_f64 v[25:26], v[11:12], v[15:16]
	v_add_f64 v[21:22], v[15:16], -v[19:20]
	v_add_f64 v[3:4], v[3:4], -v[19:20]
	v_add_f64 v[19:20], v[23:24], v[5:6]
	v_add_f64 v[11:12], v[25:26], -v[11:12]
	v_add_f64 v[13:14], v[13:14], -v[21:22]
	v_ldexp_f64 v[21:22], v[25:26], -2
	v_add_f64 v[29:30], v[19:20], -v[23:24]
	v_add_f64 v[11:12], v[15:16], -v[11:12]
	v_add_f64 v[3:4], v[3:4], v[13:14]
	v_fract_f64_e32 v[13:14], v[21:22]
	v_cmp_neq_f64_e64 vcc, |v[21:22]|, s[0:1]
	v_add_f64 v[5:6], v[5:6], -v[29:30]
	v_add_f64 v[15:16], v[19:20], v[3:4]
	v_ldexp_f64 v[13:14], v[13:14], 2
	v_add_f64 v[21:22], v[11:12], v[15:16]
	v_cndmask_b32_e32 v14, 0, v14, vcc
	v_cndmask_b32_e32 v13, 0, v13, vcc
	v_add_f64 v[31:32], v[15:16], -v[19:20]
	v_add_f64 v[25:26], v[21:22], v[13:14]
	v_add_f64 v[11:12], v[21:22], -v[11:12]
	v_add_f64 v[33:34], v[15:16], -v[31:32]
	;; [unrolled: 1-line block ×3, first 2 shown]
	v_cmp_gt_f64_e32 vcc, 0, v[25:26]
	v_add_f64 v[25:26], v[19:20], -v[29:30]
	v_add_f64 v[11:12], v[15:16], -v[11:12]
	;; [unrolled: 1-line block ×3, first 2 shown]
	v_cndmask_b32_e32 v28, 0, v7, vcc
	v_add_f64 v[13:14], v[13:14], v[27:28]
	v_add_f64 v[25:26], v[23:24], -v[25:26]
	v_add_f64 v[3:4], v[3:4], v[19:20]
	v_add_f64 v[35:36], v[21:22], v[13:14]
	;; [unrolled: 1-line block ×3, first 2 shown]
	v_cvt_i32_f64_e32 v7, v[35:36]
	v_add_f64 v[3:4], v[5:6], v[3:4]
	v_cvt_f64_i32_e32 v[28:29], v7
	v_add_f64 v[13:14], v[13:14], -v[28:29]
	v_add_f64 v[3:4], v[9:10], v[3:4]
	v_add_f64 v[5:6], v[21:22], v[13:14]
	;; [unrolled: 1-line block ×3, first 2 shown]
	v_mov_b32_e32 v11, 0x3ff00000
	v_add_f64 v[9:10], v[5:6], -v[13:14]
	v_cmp_le_f64_e32 vcc, 0.5, v[5:6]
	v_add_f64 v[9:10], v[21:22], -v[9:10]
	v_cndmask_b32_e32 v28, 0, v11, vcc
	v_add_f64 v[5:6], v[5:6], -v[27:28]
	v_addc_co_u32_e64 v7, s[0:1], 0, v7, vcc
	s_mov_b32 s0, 0x54442d18
	s_mov_b32 s1, 0x3ff921fb
	v_add_f64 v[3:4], v[3:4], v[9:10]
	v_add_f64 v[9:10], v[5:6], v[3:4]
	v_mul_f64 v[11:12], v[9:10], s[0:1]
	v_add_f64 v[5:6], v[9:10], -v[5:6]
	v_fma_f64 v[13:14], v[9:10], s[0:1], -v[11:12]
	v_add_f64 v[3:4], v[3:4], -v[5:6]
	v_fma_f64 v[5:6], v[9:10], s[4:5], v[13:14]
	v_fma_f64 v[5:6], v[3:4], s[0:1], v[5:6]
	v_add_f64 v[3:4], v[11:12], v[5:6]
	v_add_f64 v[9:10], v[3:4], -v[11:12]
	v_add_f64 v[5:6], v[5:6], -v[9:10]
.LBB5_135:
	s_andn2_saveexec_b64 s[0:1], s[2:3]
	s_cbranch_execz .LBB5_137
; %bb.136:
	s_mov_b32 s2, 0x6dc9c883
	s_mov_b32 s3, 0x3fe45f30
	v_mul_f64 v[3:4], |v[1:2]|, s[2:3]
	s_mov_b32 s2, 0x54442d18
	s_mov_b32 s3, 0xbff921fb
	;; [unrolled: 1-line block ×4, first 2 shown]
	v_rndne_f64_e32 v[9:10], v[3:4]
	v_fma_f64 v[3:4], v[9:10], s[2:3], |v[1:2]|
	v_mul_f64 v[5:6], v[9:10], s[4:5]
	s_mov_b32 s2, 0x252049c0
	s_mov_b32 s3, 0xb97b839a
	v_cvt_i32_f64_e32 v7, v[9:10]
	v_fma_f64 v[15:16], v[9:10], s[4:5], v[3:4]
	v_add_f64 v[11:12], v[3:4], v[5:6]
	s_mov_b32 s5, 0x3c91a626
	v_add_f64 v[13:14], v[3:4], -v[11:12]
	v_add_f64 v[11:12], v[11:12], -v[15:16]
	v_add_f64 v[3:4], v[13:14], v[5:6]
	v_fma_f64 v[5:6], v[9:10], s[4:5], v[5:6]
	v_add_f64 v[3:4], v[11:12], v[3:4]
	v_add_f64 v[3:4], v[3:4], -v[5:6]
	v_fma_f64 v[5:6], v[9:10], s[2:3], v[3:4]
	v_add_f64 v[3:4], v[15:16], v[5:6]
	v_add_f64 v[11:12], v[3:4], -v[15:16]
	v_add_f64 v[5:6], v[5:6], -v[11:12]
.LBB5_137:
	s_or_b64 exec, exec, s[0:1]
	v_mul_f64 v[9:10], v[3:4], v[3:4]
	s_mov_b32 s0, 0xf9a43bb8
	v_mov_b32_e32 v12, 0xb42fdfa7
	v_mov_b32_e32 v13, 0xbe5ae600
	s_mov_b32 s1, 0x3de5e0b2
	s_mov_b32 s2, 0x796cde01
	v_mov_b32_e32 v11, 0x9037ab78
	s_mov_b32 s3, 0x3ec71de3
	v_fma_f64 v[13:14], v[9:10], s[0:1], v[12:13]
	s_mov_b32 s0, 0x46cc5e42
	v_mov_b32_e32 v12, 0x3e21eeb6
	s_mov_b32 s1, 0xbda907db
	v_fma_f64 v[11:12], v[9:10], s[0:1], v[11:12]
	v_mul_f64 v[15:16], v[9:10], 0.5
	s_mov_b32 s0, 0xa17f65f6
	s_mov_b32 s4, 0x19e83e5c
	v_fma_f64 v[13:14], v[9:10], v[13:14], s[2:3]
	s_mov_b32 s1, 0xbe927e4f
	s_mov_b32 s5, 0xbf2a01a0
	;; [unrolled: 1-line block ×3, first 2 shown]
	v_fma_f64 v[11:12], v[9:10], v[11:12], s[0:1]
	v_add_f64 v[17:18], -v[15:16], 1.0
	s_mov_b32 s0, 0x11110bb3
	s_mov_b32 s3, 0x3efa01a0
	v_fma_f64 v[13:14], v[9:10], v[13:14], s[4:5]
	s_mov_b32 s1, 0x3f811111
	v_mul_f64 v[19:20], v[5:6], 0.5
	v_mul_f64 v[21:22], v[3:4], -v[9:10]
	v_fma_f64 v[11:12], v[9:10], v[11:12], s[2:3]
	v_add_f64 v[23:24], -v[17:18], 1.0
	v_add_u32_e32 v8, 0x80, v8
	v_fma_f64 v[13:14], v[9:10], v[13:14], s[0:1]
	s_mov_b32 s0, 0x16c16967
	s_mov_b32 s1, 0xbf56c16c
	v_fma_f64 v[11:12], v[9:10], v[11:12], s[0:1]
	v_add_f64 v[15:16], v[23:24], -v[15:16]
	s_mov_b32 s1, 0x3fa55555
	s_mov_b32 s0, 0x55555555
	v_fma_f64 v[13:14], v[21:22], v[13:14], v[19:20]
	v_mul_f64 v[19:20], v[9:10], v[9:10]
	v_fma_f64 v[11:12], v[9:10], v[11:12], s[0:1]
	v_fma_f64 v[15:16], v[3:4], -v[5:6], v[15:16]
	s_mov_b32 s1, 0xbfc55555
	v_fma_f64 v[5:6], v[9:10], v[13:14], -v[5:6]
	v_fma_f64 v[9:10], v[19:20], v[11:12], v[15:16]
	v_fma_f64 v[5:6], v[21:22], s[0:1], v[5:6]
	s_movk_i32 s0, 0x1f8
	v_cmp_class_f64_e64 s[0:1], v[1:2], s0
	v_lshlrev_b32_e32 v1, 30, v7
	v_xor_b32_e32 v1, v1, v2
	v_add_f64 v[9:10], v[17:18], v[9:10]
	v_and_b32_e32 v1, 0x80000000, v1
	v_add_f64 v[3:4], v[3:4], -v[5:6]
	v_and_b32_e32 v5, 1, v7
	v_cmp_eq_u32_e32 vcc, 0, v5
	v_mov_b32_e32 v5, 0x7ff80000
	v_cndmask_b32_e32 v2, v10, v4, vcc
	v_cndmask_b32_e32 v3, v9, v3, vcc
	v_xor_b32_e32 v2, v2, v1
	v_cndmask_b32_e64 v1, 0, v3, s[0:1]
	v_cndmask_b32_e64 v2, v5, v2, s[0:1]
	global_store_dwordx2 v0, v[1:2], s[16:17]
	s_or_b64 exec, exec, s[48:49]
	v_cmp_gt_i32_e32 vcc, s55, v8
	s_and_saveexec_b64 s[48:49], vcc
	s_cbranch_execz .LBB5_124
.LBB5_138:
	s_andn2_b64 vcc, exec, s[36:37]
	s_cbranch_vccnz .LBB5_143
; %bb.139:
	s_andn2_b64 vcc, exec, s[46:47]
	s_cbranch_vccnz .LBB5_144
; %bb.140:
	s_add_i32 s56, s56, 1
	s_cmp_eq_u32 s54, 2
	s_cbranch_scc1 .LBB5_145
; %bb.141:
	s_and_b32 s50, s56, 28
	v_mov_b32_e32 v2, 0
	s_mov_b32 s51, 0
	s_mov_b64 s[46:47], s[34:35]
	v_mov_b32_e32 v0, 0
	v_mov_b32_e32 v1, v8
.LBB5_142:                              ; =>This Inner Loop Header: Depth=1
	s_load_dwordx8 s[8:15], s[46:47], 0x4
	s_load_dwordx4 s[28:31], s[46:47], 0x24
	s_load_dwordx8 s[0:7], s[44:45], 0x0
	s_add_u32 s46, s46, 48
	s_addc_u32 s47, s47, 0
	s_waitcnt lgkmcnt(0)
	v_mul_hi_u32 v3, s9, v1
	s_add_i32 s51, s51, 4
	s_add_u32 s44, s44, 32
	s_addc_u32 s45, s45, 0
	v_add_u32_e32 v3, v1, v3
	v_lshrrev_b32_e32 v3, s10, v3
	v_mul_lo_u32 v4, v3, s8
	v_mul_hi_u32 v5, s12, v3
	s_cmp_eq_u32 s50, s51
	v_sub_u32_e32 v1, v1, v4
	v_add_u32_e32 v4, v3, v5
	v_mul_lo_u32 v5, v1, s0
	v_mul_lo_u32 v6, v1, s1
	v_lshrrev_b32_e32 v1, s13, v4
	v_mul_lo_u32 v4, v1, s11
	v_mul_hi_u32 v7, s15, v1
	v_sub_u32_e32 v3, v3, v4
	v_add_u32_e32 v4, v1, v7
	v_lshrrev_b32_e32 v4, s28, v4
	v_mul_hi_u32 v9, s30, v4
	v_mul_lo_u32 v10, v4, s14
	v_mul_lo_u32 v7, v3, s2
	;; [unrolled: 1-line block ×3, first 2 shown]
	v_sub_u32_e32 v10, v1, v10
	v_add_u32_e32 v1, v4, v9
	v_lshrrev_b32_e32 v1, s31, v1
	v_mul_lo_u32 v9, v1, s29
	v_mul_lo_u32 v11, v10, s4
	;; [unrolled: 1-line block ×3, first 2 shown]
	v_add3_u32 v0, v5, v0, v7
	v_sub_u32_e32 v4, v4, v9
	v_mul_lo_u32 v9, v4, s6
	v_mul_lo_u32 v4, v4, s7
	v_add3_u32 v2, v6, v2, v3
	v_add3_u32 v0, v11, v0, v9
	;; [unrolled: 1-line block ×3, first 2 shown]
	s_cbranch_scc0 .LBB5_142
	s_branch .LBB5_146
.LBB5_143:
                                        ; implicit-def: $vgpr0
                                        ; implicit-def: $vgpr2
	s_branch .LBB5_150
.LBB5_144:
	v_mov_b32_e32 v0, 0
	v_mov_b32_e32 v2, 0
	s_branch .LBB5_149
.LBB5_145:
	s_mov_b32 s50, 0
	v_mov_b32_e32 v0, 0
	v_mov_b32_e32 v2, 0
	;; [unrolled: 1-line block ×3, first 2 shown]
.LBB5_146:
	s_and_b32 s4, s56, 3
	s_cmp_eq_u32 s4, 0
	s_cbranch_scc1 .LBB5_149
; %bb.147:
	s_lshl_b32 s0, s50, 3
	s_add_u32 s0, s34, s0
	s_addc_u32 s1, s35, 0
	s_add_u32 s0, s0, 0xc4
	s_addc_u32 s1, s1, 0
	s_mul_i32 s2, s50, 12
	s_add_u32 s2, s34, s2
	s_addc_u32 s3, s35, 0
.LBB5_148:                              ; =>This Inner Loop Header: Depth=1
	s_load_dwordx2 s[6:7], s[2:3], 0x4
	s_load_dword s5, s[2:3], 0xc
	s_load_dwordx2 s[8:9], s[0:1], 0x0
	s_add_u32 s2, s2, 12
	s_addc_u32 s3, s3, 0
	s_waitcnt lgkmcnt(0)
	v_mul_hi_u32 v3, s7, v1
	s_add_u32 s0, s0, 8
	s_addc_u32 s1, s1, 0
	s_add_i32 s4, s4, -1
	v_add_u32_e32 v3, v1, v3
	v_lshrrev_b32_e32 v4, s5, v3
	v_mul_lo_u32 v3, v4, s6
	s_cmp_lg_u32 s4, 0
	v_sub_u32_e32 v3, v1, v3
	v_mad_u64_u32 v[0:1], s[6:7], v3, s8, v[0:1]
	v_mad_u64_u32 v[2:3], s[6:7], v3, s9, v[2:3]
	v_mov_b32_e32 v1, v4
	s_cbranch_scc1 .LBB5_148
.LBB5_149:
	s_cbranch_execnz .LBB5_152
.LBB5_150:
	s_waitcnt lgkmcnt(0)
	v_mul_hi_u32 v0, s25, v8
	s_andn2_b64 vcc, exec, s[42:43]
	v_add_u32_e32 v0, v8, v0
	v_lshrrev_b32_e32 v1, s26, v0
	v_mul_lo_u32 v0, v1, s24
	v_sub_u32_e32 v2, v8, v0
	v_mul_lo_u32 v0, v2, s20
	v_mul_lo_u32 v2, v2, s21
	s_cbranch_vccnz .LBB5_152
; %bb.151:
	v_mul_hi_u32 v3, s40, v1
	v_add_u32_e32 v3, v1, v3
	v_lshrrev_b32_e32 v3, s41, v3
	v_mul_lo_u32 v3, v3, s27
	v_sub_u32_e32 v3, v1, v3
	v_mad_u64_u32 v[0:1], s[0:1], v3, s22, v[0:1]
	v_mad_u64_u32 v[2:3], s[0:1], v3, s23, v[2:3]
.LBB5_152:
	s_waitcnt lgkmcnt(0)
	global_load_dwordx2 v[1:2], v2, s[18:19]
	s_mov_b32 s0, 0
	s_mov_b32 s1, 0x41d00000
                                        ; implicit-def: $vgpr7
                                        ; implicit-def: $vgpr3_vgpr4
                                        ; implicit-def: $vgpr5_vgpr6
	s_waitcnt vmcnt(0)
	v_cmp_nlt_f64_e64 s[0:1], |v[1:2]|, s[0:1]
	s_and_saveexec_b64 s[2:3], s[0:1]
	s_xor_b64 s[2:3], exec, s[2:3]
	s_cbranch_execz .LBB5_154
; %bb.153:
	v_trig_preop_f64 v[3:4], |v[1:2]|, 0
	s_mov_b32 s0, 0
	s_mov_b32 s1, 0x7b000000
	s_movk_i32 s4, 0xff80
	v_ldexp_f64 v[7:8], |v[1:2]|, s4
	v_cmp_ge_f64_e64 vcc, |v[1:2]|, s[0:1]
	v_trig_preop_f64 v[5:6], |v[1:2]|, 1
	v_and_b32_e32 v9, 0x7fffffff, v2
	v_trig_preop_f64 v[15:16], |v[1:2]|, 2
	s_mov_b32 s0, 0
	s_mov_b32 s1, 0x7ff00000
	v_mov_b32_e32 v26, 0x40100000
	v_mov_b32_e32 v25, 0
	v_cndmask_b32_e32 v8, v9, v8, vcc
	v_cndmask_b32_e32 v7, v1, v7, vcc
	s_mov_b32 s4, 0x33145c07
	v_mul_f64 v[9:10], v[3:4], v[7:8]
	s_mov_b32 s5, 0x3c91a626
	v_mul_f64 v[11:12], v[5:6], v[7:8]
	v_mul_f64 v[21:22], v[15:16], v[7:8]
	v_fma_f64 v[3:4], v[3:4], v[7:8], -v[9:10]
	v_fma_f64 v[5:6], v[5:6], v[7:8], -v[11:12]
	v_fma_f64 v[7:8], v[15:16], v[7:8], -v[21:22]
	v_add_f64 v[13:14], v[11:12], v[3:4]
	v_add_f64 v[17:18], v[13:14], -v[11:12]
	v_add_f64 v[23:24], v[9:10], v[13:14]
	v_add_f64 v[19:20], v[13:14], -v[17:18]
	v_add_f64 v[3:4], v[3:4], -v[17:18]
	v_add_f64 v[17:18], v[21:22], v[5:6]
	v_add_f64 v[9:10], v[23:24], -v[9:10]
	v_add_f64 v[11:12], v[11:12], -v[19:20]
	v_ldexp_f64 v[19:20], v[23:24], -2
	v_add_f64 v[27:28], v[17:18], -v[21:22]
	v_add_f64 v[9:10], v[13:14], -v[9:10]
	v_add_f64 v[3:4], v[3:4], v[11:12]
	v_fract_f64_e32 v[11:12], v[19:20]
	v_cmp_neq_f64_e64 vcc, |v[19:20]|, s[0:1]
	v_add_f64 v[5:6], v[5:6], -v[27:28]
	v_add_f64 v[13:14], v[17:18], v[3:4]
	v_ldexp_f64 v[11:12], v[11:12], 2
	v_add_f64 v[19:20], v[9:10], v[13:14]
	v_cndmask_b32_e32 v12, 0, v12, vcc
	v_cndmask_b32_e32 v11, 0, v11, vcc
	v_add_f64 v[29:30], v[13:14], -v[17:18]
	v_add_f64 v[23:24], v[19:20], v[11:12]
	v_add_f64 v[9:10], v[19:20], -v[9:10]
	v_add_f64 v[31:32], v[13:14], -v[29:30]
	;; [unrolled: 1-line block ×3, first 2 shown]
	v_cmp_gt_f64_e32 vcc, 0, v[23:24]
	v_add_f64 v[23:24], v[17:18], -v[27:28]
	v_add_f64 v[9:10], v[13:14], -v[9:10]
	;; [unrolled: 1-line block ×3, first 2 shown]
	v_cndmask_b32_e32 v26, 0, v26, vcc
	v_add_f64 v[11:12], v[11:12], v[25:26]
	v_add_f64 v[23:24], v[21:22], -v[23:24]
	v_add_f64 v[3:4], v[3:4], v[17:18]
	v_add_f64 v[33:34], v[19:20], v[11:12]
	;; [unrolled: 1-line block ×3, first 2 shown]
	v_cvt_i32_f64_e32 v28, v[33:34]
	v_add_f64 v[3:4], v[5:6], v[3:4]
	v_cvt_f64_i32_e32 v[26:27], v28
	v_add_f64 v[11:12], v[11:12], -v[26:27]
	v_add_f64 v[3:4], v[7:8], v[3:4]
	v_add_f64 v[5:6], v[19:20], v[11:12]
	;; [unrolled: 1-line block ×3, first 2 shown]
	v_mov_b32_e32 v10, 0x3ff00000
	v_add_f64 v[7:8], v[5:6], -v[11:12]
	v_cmp_le_f64_e32 vcc, 0.5, v[5:6]
	v_add_f64 v[8:9], v[19:20], -v[7:8]
	v_cndmask_b32_e32 v26, 0, v10, vcc
	v_add_f64 v[5:6], v[5:6], -v[25:26]
	v_addc_co_u32_e64 v7, s[0:1], 0, v28, vcc
	s_mov_b32 s0, 0x54442d18
	s_mov_b32 s1, 0x3ff921fb
	v_add_f64 v[3:4], v[3:4], v[8:9]
	v_add_f64 v[8:9], v[5:6], v[3:4]
	v_mul_f64 v[10:11], v[8:9], s[0:1]
	v_add_f64 v[5:6], v[8:9], -v[5:6]
	v_fma_f64 v[12:13], v[8:9], s[0:1], -v[10:11]
	v_add_f64 v[3:4], v[3:4], -v[5:6]
	v_fma_f64 v[5:6], v[8:9], s[4:5], v[12:13]
	v_fma_f64 v[5:6], v[3:4], s[0:1], v[5:6]
	v_add_f64 v[3:4], v[10:11], v[5:6]
	v_add_f64 v[8:9], v[3:4], -v[10:11]
	v_add_f64 v[5:6], v[5:6], -v[8:9]
.LBB5_154:
	s_andn2_saveexec_b64 s[0:1], s[2:3]
	s_cbranch_execz .LBB5_156
; %bb.155:
	s_mov_b32 s2, 0x6dc9c883
	s_mov_b32 s3, 0x3fe45f30
	v_mul_f64 v[3:4], |v[1:2]|, s[2:3]
	s_mov_b32 s2, 0x54442d18
	s_mov_b32 s3, 0xbff921fb
	;; [unrolled: 1-line block ×4, first 2 shown]
	v_rndne_f64_e32 v[7:8], v[3:4]
	v_fma_f64 v[3:4], v[7:8], s[2:3], |v[1:2]|
	v_mul_f64 v[5:6], v[7:8], s[4:5]
	s_mov_b32 s2, 0x252049c0
	s_mov_b32 s3, 0xb97b839a
	v_fma_f64 v[13:14], v[7:8], s[4:5], v[3:4]
	v_add_f64 v[9:10], v[3:4], v[5:6]
	s_mov_b32 s5, 0x3c91a626
	v_add_f64 v[11:12], v[3:4], -v[9:10]
	v_add_f64 v[9:10], v[9:10], -v[13:14]
	v_add_f64 v[3:4], v[11:12], v[5:6]
	v_fma_f64 v[5:6], v[7:8], s[4:5], v[5:6]
	v_add_f64 v[3:4], v[9:10], v[3:4]
	v_add_f64 v[3:4], v[3:4], -v[5:6]
	v_fma_f64 v[5:6], v[7:8], s[2:3], v[3:4]
	v_cvt_i32_f64_e32 v7, v[7:8]
	v_add_f64 v[3:4], v[13:14], v[5:6]
	v_add_f64 v[9:10], v[3:4], -v[13:14]
	v_add_f64 v[5:6], v[5:6], -v[9:10]
.LBB5_156:
	s_or_b64 exec, exec, s[0:1]
	v_mul_f64 v[8:9], v[3:4], v[3:4]
	s_mov_b32 s0, 0xf9a43bb8
	v_mov_b32_e32 v11, 0xb42fdfa7
	v_mov_b32_e32 v12, 0xbe5ae600
	s_mov_b32 s1, 0x3de5e0b2
	s_mov_b32 s2, 0x796cde01
	v_mov_b32_e32 v10, 0x9037ab78
	s_mov_b32 s3, 0x3ec71de3
	v_fma_f64 v[12:13], v[8:9], s[0:1], v[11:12]
	s_mov_b32 s0, 0x46cc5e42
	v_mov_b32_e32 v11, 0x3e21eeb6
	s_mov_b32 s1, 0xbda907db
	v_fma_f64 v[10:11], v[8:9], s[0:1], v[10:11]
	v_mul_f64 v[14:15], v[8:9], 0.5
	s_mov_b32 s0, 0xa17f65f6
	s_mov_b32 s4, 0x19e83e5c
	v_fma_f64 v[12:13], v[8:9], v[12:13], s[2:3]
	s_mov_b32 s1, 0xbe927e4f
	s_mov_b32 s5, 0xbf2a01a0
	;; [unrolled: 1-line block ×3, first 2 shown]
	v_fma_f64 v[10:11], v[8:9], v[10:11], s[0:1]
	v_add_f64 v[16:17], -v[14:15], 1.0
	s_mov_b32 s0, 0x11110bb3
	s_mov_b32 s3, 0x3efa01a0
	v_fma_f64 v[12:13], v[8:9], v[12:13], s[4:5]
	s_mov_b32 s1, 0x3f811111
	v_mul_f64 v[18:19], v[5:6], 0.5
	v_mul_f64 v[20:21], v[3:4], -v[8:9]
	v_fma_f64 v[10:11], v[8:9], v[10:11], s[2:3]
	v_add_f64 v[22:23], -v[16:17], 1.0
	v_fma_f64 v[12:13], v[8:9], v[12:13], s[0:1]
	s_mov_b32 s0, 0x16c16967
	s_mov_b32 s1, 0xbf56c16c
	v_fma_f64 v[10:11], v[8:9], v[10:11], s[0:1]
	v_add_f64 v[14:15], v[22:23], -v[14:15]
	s_mov_b32 s1, 0x3fa55555
	s_mov_b32 s0, 0x55555555
	v_fma_f64 v[12:13], v[20:21], v[12:13], v[18:19]
	v_mul_f64 v[18:19], v[8:9], v[8:9]
	v_fma_f64 v[10:11], v[8:9], v[10:11], s[0:1]
	v_fma_f64 v[14:15], v[3:4], -v[5:6], v[14:15]
	s_mov_b32 s1, 0xbfc55555
	v_fma_f64 v[5:6], v[8:9], v[12:13], -v[5:6]
	v_fma_f64 v[8:9], v[18:19], v[10:11], v[14:15]
	v_fma_f64 v[5:6], v[20:21], s[0:1], v[5:6]
	s_movk_i32 s0, 0x1f8
	v_cmp_class_f64_e64 s[0:1], v[1:2], s0
	v_add_f64 v[8:9], v[16:17], v[8:9]
	v_add_f64 v[3:4], v[3:4], -v[5:6]
	v_and_b32_e32 v5, 1, v7
	v_cmp_eq_u32_e32 vcc, 0, v5
	v_cndmask_b32_e32 v1, v9, v4, vcc
	v_lshlrev_b32_e32 v4, 30, v7
	v_xor_b32_e32 v2, v4, v2
	v_cndmask_b32_e32 v3, v8, v3, vcc
	v_and_b32_e32 v2, 0x80000000, v2
	v_xor_b32_e32 v2, v1, v2
	v_cndmask_b32_e64 v1, 0, v3, s[0:1]
	v_mov_b32_e32 v3, 0x7ff80000
	v_cndmask_b32_e64 v2, v3, v2, s[0:1]
	global_store_dwordx2 v0, v[1:2], s[16:17]
	s_or_b64 exec, exec, s[48:49]
                                        ; implicit-def: $vgpr9
                                        ; implicit-def: $vgpr8
	s_andn2_saveexec_b64 s[0:1], s[38:39]
	s_cbranch_execz .LBB5_125
	s_branch .LBB5_8
	.section	.rodata,"a",@progbits
	.p2align	6, 0x0
	.amdhsa_kernel _ZN2at6native32elementwise_kernel_manual_unrollILi128ELi4EZNS0_22gpu_kernel_impl_nocastIZZZNS0_15sin_kernel_cudaERNS_18TensorIteratorBaseEENKUlvE0_clEvENKUlvE_clEvEUldE_EEvS4_RKT_EUlibE_EEviT1_
		.amdhsa_group_segment_fixed_size 0
		.amdhsa_private_segment_fixed_size 0
		.amdhsa_kernarg_size 360
		.amdhsa_user_sgpr_count 6
		.amdhsa_user_sgpr_private_segment_buffer 1
		.amdhsa_user_sgpr_dispatch_ptr 0
		.amdhsa_user_sgpr_queue_ptr 0
		.amdhsa_user_sgpr_kernarg_segment_ptr 1
		.amdhsa_user_sgpr_dispatch_id 0
		.amdhsa_user_sgpr_flat_scratch_init 0
		.amdhsa_user_sgpr_private_segment_size 0
		.amdhsa_uses_dynamic_stack 0
		.amdhsa_system_sgpr_private_segment_wavefront_offset 0
		.amdhsa_system_sgpr_workgroup_id_x 1
		.amdhsa_system_sgpr_workgroup_id_y 0
		.amdhsa_system_sgpr_workgroup_id_z 0
		.amdhsa_system_sgpr_workgroup_info 0
		.amdhsa_system_vgpr_workitem_id 0
		.amdhsa_next_free_vgpr 60
		.amdhsa_next_free_sgpr 60
		.amdhsa_reserve_vcc 1
		.amdhsa_reserve_flat_scratch 0
		.amdhsa_float_round_mode_32 0
		.amdhsa_float_round_mode_16_64 0
		.amdhsa_float_denorm_mode_32 3
		.amdhsa_float_denorm_mode_16_64 3
		.amdhsa_dx10_clamp 1
		.amdhsa_ieee_mode 1
		.amdhsa_fp16_overflow 0
		.amdhsa_exception_fp_ieee_invalid_op 0
		.amdhsa_exception_fp_denorm_src 0
		.amdhsa_exception_fp_ieee_div_zero 0
		.amdhsa_exception_fp_ieee_overflow 0
		.amdhsa_exception_fp_ieee_underflow 0
		.amdhsa_exception_fp_ieee_inexact 0
		.amdhsa_exception_int_div_zero 0
	.end_amdhsa_kernel
	.section	.text._ZN2at6native32elementwise_kernel_manual_unrollILi128ELi4EZNS0_22gpu_kernel_impl_nocastIZZZNS0_15sin_kernel_cudaERNS_18TensorIteratorBaseEENKUlvE0_clEvENKUlvE_clEvEUldE_EEvS4_RKT_EUlibE_EEviT1_,"axG",@progbits,_ZN2at6native32elementwise_kernel_manual_unrollILi128ELi4EZNS0_22gpu_kernel_impl_nocastIZZZNS0_15sin_kernel_cudaERNS_18TensorIteratorBaseEENKUlvE0_clEvENKUlvE_clEvEUldE_EEvS4_RKT_EUlibE_EEviT1_,comdat
.Lfunc_end5:
	.size	_ZN2at6native32elementwise_kernel_manual_unrollILi128ELi4EZNS0_22gpu_kernel_impl_nocastIZZZNS0_15sin_kernel_cudaERNS_18TensorIteratorBaseEENKUlvE0_clEvENKUlvE_clEvEUldE_EEvS4_RKT_EUlibE_EEviT1_, .Lfunc_end5-_ZN2at6native32elementwise_kernel_manual_unrollILi128ELi4EZNS0_22gpu_kernel_impl_nocastIZZZNS0_15sin_kernel_cudaERNS_18TensorIteratorBaseEENKUlvE0_clEvENKUlvE_clEvEUldE_EEvS4_RKT_EUlibE_EEviT1_
                                        ; -- End function
	.set _ZN2at6native32elementwise_kernel_manual_unrollILi128ELi4EZNS0_22gpu_kernel_impl_nocastIZZZNS0_15sin_kernel_cudaERNS_18TensorIteratorBaseEENKUlvE0_clEvENKUlvE_clEvEUldE_EEvS4_RKT_EUlibE_EEviT1_.num_vgpr, 60
	.set _ZN2at6native32elementwise_kernel_manual_unrollILi128ELi4EZNS0_22gpu_kernel_impl_nocastIZZZNS0_15sin_kernel_cudaERNS_18TensorIteratorBaseEENKUlvE0_clEvENKUlvE_clEvEUldE_EEvS4_RKT_EUlibE_EEviT1_.num_agpr, 0
	.set _ZN2at6native32elementwise_kernel_manual_unrollILi128ELi4EZNS0_22gpu_kernel_impl_nocastIZZZNS0_15sin_kernel_cudaERNS_18TensorIteratorBaseEENKUlvE0_clEvENKUlvE_clEvEUldE_EEvS4_RKT_EUlibE_EEviT1_.numbered_sgpr, 60
	.set _ZN2at6native32elementwise_kernel_manual_unrollILi128ELi4EZNS0_22gpu_kernel_impl_nocastIZZZNS0_15sin_kernel_cudaERNS_18TensorIteratorBaseEENKUlvE0_clEvENKUlvE_clEvEUldE_EEvS4_RKT_EUlibE_EEviT1_.num_named_barrier, 0
	.set _ZN2at6native32elementwise_kernel_manual_unrollILi128ELi4EZNS0_22gpu_kernel_impl_nocastIZZZNS0_15sin_kernel_cudaERNS_18TensorIteratorBaseEENKUlvE0_clEvENKUlvE_clEvEUldE_EEvS4_RKT_EUlibE_EEviT1_.private_seg_size, 0
	.set _ZN2at6native32elementwise_kernel_manual_unrollILi128ELi4EZNS0_22gpu_kernel_impl_nocastIZZZNS0_15sin_kernel_cudaERNS_18TensorIteratorBaseEENKUlvE0_clEvENKUlvE_clEvEUldE_EEvS4_RKT_EUlibE_EEviT1_.uses_vcc, 1
	.set _ZN2at6native32elementwise_kernel_manual_unrollILi128ELi4EZNS0_22gpu_kernel_impl_nocastIZZZNS0_15sin_kernel_cudaERNS_18TensorIteratorBaseEENKUlvE0_clEvENKUlvE_clEvEUldE_EEvS4_RKT_EUlibE_EEviT1_.uses_flat_scratch, 0
	.set _ZN2at6native32elementwise_kernel_manual_unrollILi128ELi4EZNS0_22gpu_kernel_impl_nocastIZZZNS0_15sin_kernel_cudaERNS_18TensorIteratorBaseEENKUlvE0_clEvENKUlvE_clEvEUldE_EEvS4_RKT_EUlibE_EEviT1_.has_dyn_sized_stack, 0
	.set _ZN2at6native32elementwise_kernel_manual_unrollILi128ELi4EZNS0_22gpu_kernel_impl_nocastIZZZNS0_15sin_kernel_cudaERNS_18TensorIteratorBaseEENKUlvE0_clEvENKUlvE_clEvEUldE_EEvS4_RKT_EUlibE_EEviT1_.has_recursion, 0
	.set _ZN2at6native32elementwise_kernel_manual_unrollILi128ELi4EZNS0_22gpu_kernel_impl_nocastIZZZNS0_15sin_kernel_cudaERNS_18TensorIteratorBaseEENKUlvE0_clEvENKUlvE_clEvEUldE_EEvS4_RKT_EUlibE_EEviT1_.has_indirect_call, 0
	.section	.AMDGPU.csdata,"",@progbits
; Kernel info:
; codeLenInByte = 15592
; TotalNumSgprs: 64
; NumVgprs: 60
; ScratchSize: 0
; MemoryBound: 0
; FloatMode: 240
; IeeeMode: 1
; LDSByteSize: 0 bytes/workgroup (compile time only)
; SGPRBlocks: 7
; VGPRBlocks: 14
; NumSGPRsForWavesPerEU: 64
; NumVGPRsForWavesPerEU: 60
; Occupancy: 4
; WaveLimiterHint : 1
; COMPUTE_PGM_RSRC2:SCRATCH_EN: 0
; COMPUTE_PGM_RSRC2:USER_SGPR: 6
; COMPUTE_PGM_RSRC2:TRAP_HANDLER: 0
; COMPUTE_PGM_RSRC2:TGID_X_EN: 1
; COMPUTE_PGM_RSRC2:TGID_Y_EN: 0
; COMPUTE_PGM_RSRC2:TGID_Z_EN: 0
; COMPUTE_PGM_RSRC2:TIDIG_COMP_CNT: 0
	.section	.text._ZN2at6native32elementwise_kernel_manual_unrollILi128ELi4EZNS0_15gpu_kernel_implIZZZNS0_15sin_kernel_cudaERNS_18TensorIteratorBaseEENKUlvE0_clEvENKUlvE_clEvEUldE_EEvS4_RKT_EUlibE_EEviT1_,"axG",@progbits,_ZN2at6native32elementwise_kernel_manual_unrollILi128ELi4EZNS0_15gpu_kernel_implIZZZNS0_15sin_kernel_cudaERNS_18TensorIteratorBaseEENKUlvE0_clEvENKUlvE_clEvEUldE_EEvS4_RKT_EUlibE_EEviT1_,comdat
	.globl	_ZN2at6native32elementwise_kernel_manual_unrollILi128ELi4EZNS0_15gpu_kernel_implIZZZNS0_15sin_kernel_cudaERNS_18TensorIteratorBaseEENKUlvE0_clEvENKUlvE_clEvEUldE_EEvS4_RKT_EUlibE_EEviT1_ ; -- Begin function _ZN2at6native32elementwise_kernel_manual_unrollILi128ELi4EZNS0_15gpu_kernel_implIZZZNS0_15sin_kernel_cudaERNS_18TensorIteratorBaseEENKUlvE0_clEvENKUlvE_clEvEUldE_EEvS4_RKT_EUlibE_EEviT1_
	.p2align	8
	.type	_ZN2at6native32elementwise_kernel_manual_unrollILi128ELi4EZNS0_15gpu_kernel_implIZZZNS0_15sin_kernel_cudaERNS_18TensorIteratorBaseEENKUlvE0_clEvENKUlvE_clEvEUldE_EEvS4_RKT_EUlibE_EEviT1_,@function
_ZN2at6native32elementwise_kernel_manual_unrollILi128ELi4EZNS0_15gpu_kernel_implIZZZNS0_15sin_kernel_cudaERNS_18TensorIteratorBaseEENKUlvE0_clEvENKUlvE_clEvEUldE_EEvS4_RKT_EUlibE_EEviT1_: ; @_ZN2at6native32elementwise_kernel_manual_unrollILi128ELi4EZNS0_15gpu_kernel_implIZZZNS0_15sin_kernel_cudaERNS_18TensorIteratorBaseEENKUlvE0_clEvENKUlvE_clEvEUldE_EEvS4_RKT_EUlibE_EEviT1_
; %bb.0:
	v_mov_b32_e32 v1, 0
	global_load_ushort v1, v1, s[4:5] offset:33
	s_load_dwordx4 s[8:11], s[4:5], 0x8
	s_load_dwordx2 s[2:3], s[4:5], 0x18
	s_load_dword s38, s[4:5], 0x0
	v_lshl_or_b32 v24, s6, 9, v0
	v_or_b32_e32 v0, 0x180, v24
	s_mov_b64 s[12:13], 0
	s_mov_b64 s[6:7], 0
	s_waitcnt lgkmcnt(0)
	v_cmp_le_i32_e32 vcc, s38, v0
	s_waitcnt vmcnt(0)
	v_readfirstlane_b32 s33, v1
	s_and_b32 s0, 0xffff, s33
	s_lshr_b32 s42, s0, 8
	s_and_saveexec_b64 s[0:1], vcc
	s_xor_b64 s[4:5], exec, s[0:1]
	s_cbranch_execz .LBB6_1043
; %bb.1:
	v_cmp_gt_i32_e32 vcc, s38, v24
	s_mov_b64 s[18:19], -1
	s_mov_b64 s[20:21], 0
	s_mov_b64 s[14:15], 0
	s_and_saveexec_b64 s[16:17], vcc
	s_cbranch_execz .LBB6_256
; %bb.2:
	v_mul_lo_u32 v0, v24, s3
	v_mov_b32_e32 v1, s11
	s_and_b32 s22, 0xffff, s42
	s_cmp_lt_i32 s22, 11
	v_ashrrev_i32_e32 v2, 31, v0
	v_add_co_u32_e32 v0, vcc, s10, v0
	v_addc_co_u32_e32 v1, vcc, v1, v2, vcc
	s_cbranch_scc1 .LBB6_9
; %bb.3:
	s_cmp_gt_i32 s22, 25
	s_cbranch_scc0 .LBB6_22
; %bb.4:
	s_cmp_gt_i32 s22, 28
	s_cbranch_scc0 .LBB6_26
	;; [unrolled: 3-line block ×4, first 2 shown]
; %bb.7:
	s_cmp_eq_u32 s22, 46
	s_cbranch_scc0 .LBB6_32
; %bb.8:
	global_load_dword v2, v[0:1], off
	s_mov_b64 s[0:1], -1
	s_waitcnt vmcnt(0)
	v_lshlrev_b32_e32 v2, 16, v2
	v_cvt_f64_f32_e32 v[2:3], v2
	s_branch .LBB6_34
.LBB6_9:
                                        ; implicit-def: $vgpr2_vgpr3
	s_mov_b64 s[0:1], 0
	s_cbranch_execnz .LBB6_207
.LBB6_10:
	s_andn2_b64 vcc, exec, s[0:1]
	s_cbranch_vccnz .LBB6_254
.LBB6_11:
	s_mov_b32 s0, 0
	s_mov_b32 s1, 0x41d00000
	s_waitcnt vmcnt(0)
	v_cmp_nlt_f64_e64 s[0:1], |v[2:3]|, s[0:1]
                                        ; implicit-def: $vgpr6
                                        ; implicit-def: $vgpr0_vgpr1
                                        ; implicit-def: $vgpr4_vgpr5
	s_and_saveexec_b64 s[6:7], s[0:1]
	s_xor_b64 s[6:7], exec, s[6:7]
	s_cbranch_execz .LBB6_13
; %bb.12:
	v_trig_preop_f64 v[0:1], |v[2:3]|, 0
	s_mov_b32 s0, 0
	s_mov_b32 s1, 0x7b000000
	s_movk_i32 s18, 0xff80
	v_ldexp_f64 v[6:7], |v[2:3]|, s18
	v_cmp_ge_f64_e64 vcc, |v[2:3]|, s[0:1]
	v_trig_preop_f64 v[4:5], |v[2:3]|, 1
	v_and_b32_e32 v8, 0x7fffffff, v3
	v_trig_preop_f64 v[14:15], |v[2:3]|, 2
	s_mov_b32 s0, 0
	s_mov_b32 s1, 0x7ff00000
	v_mov_b32_e32 v26, 0x40100000
	v_mov_b32_e32 v25, 0
	v_cndmask_b32_e32 v7, v8, v7, vcc
	v_cndmask_b32_e32 v6, v2, v6, vcc
	s_mov_b32 s18, 0x33145c07
	v_mul_f64 v[8:9], v[0:1], v[6:7]
	s_mov_b32 s19, 0x3c91a626
	v_mul_f64 v[10:11], v[4:5], v[6:7]
	v_mul_f64 v[20:21], v[14:15], v[6:7]
	v_fma_f64 v[0:1], v[0:1], v[6:7], -v[8:9]
	v_fma_f64 v[4:5], v[4:5], v[6:7], -v[10:11]
	;; [unrolled: 1-line block ×3, first 2 shown]
	v_add_f64 v[12:13], v[10:11], v[0:1]
	v_add_f64 v[16:17], v[12:13], -v[10:11]
	v_add_f64 v[22:23], v[8:9], v[12:13]
	v_add_f64 v[18:19], v[12:13], -v[16:17]
	v_add_f64 v[0:1], v[0:1], -v[16:17]
	v_add_f64 v[16:17], v[20:21], v[4:5]
	v_add_f64 v[8:9], v[22:23], -v[8:9]
	v_add_f64 v[10:11], v[10:11], -v[18:19]
	v_ldexp_f64 v[18:19], v[22:23], -2
	v_add_f64 v[27:28], v[16:17], -v[20:21]
	v_add_f64 v[8:9], v[12:13], -v[8:9]
	v_add_f64 v[0:1], v[0:1], v[10:11]
	v_fract_f64_e32 v[10:11], v[18:19]
	v_cmp_neq_f64_e64 vcc, |v[18:19]|, s[0:1]
	v_add_f64 v[4:5], v[4:5], -v[27:28]
	v_add_f64 v[12:13], v[16:17], v[0:1]
	v_ldexp_f64 v[10:11], v[10:11], 2
	v_add_f64 v[18:19], v[8:9], v[12:13]
	v_cndmask_b32_e32 v11, 0, v11, vcc
	v_cndmask_b32_e32 v10, 0, v10, vcc
	v_add_f64 v[29:30], v[12:13], -v[16:17]
	v_add_f64 v[22:23], v[18:19], v[10:11]
	v_add_f64 v[8:9], v[18:19], -v[8:9]
	v_add_f64 v[31:32], v[12:13], -v[29:30]
	;; [unrolled: 1-line block ×3, first 2 shown]
	v_cmp_gt_f64_e32 vcc, 0, v[22:23]
	v_add_f64 v[22:23], v[16:17], -v[27:28]
	v_add_f64 v[8:9], v[12:13], -v[8:9]
	;; [unrolled: 1-line block ×3, first 2 shown]
	v_cndmask_b32_e32 v26, 0, v26, vcc
	v_add_f64 v[10:11], v[10:11], v[25:26]
	v_add_f64 v[22:23], v[20:21], -v[22:23]
	v_add_f64 v[0:1], v[0:1], v[16:17]
	v_add_f64 v[33:34], v[18:19], v[10:11]
	;; [unrolled: 1-line block ×3, first 2 shown]
	v_cvt_i32_f64_e32 v28, v[33:34]
	v_add_f64 v[0:1], v[4:5], v[0:1]
	v_cvt_f64_i32_e32 v[26:27], v28
	v_add_f64 v[10:11], v[10:11], -v[26:27]
	v_add_f64 v[0:1], v[6:7], v[0:1]
	v_add_f64 v[4:5], v[18:19], v[10:11]
	;; [unrolled: 1-line block ×3, first 2 shown]
	v_mov_b32_e32 v9, 0x3ff00000
	v_add_f64 v[6:7], v[4:5], -v[10:11]
	v_cmp_le_f64_e32 vcc, 0.5, v[4:5]
	v_add_f64 v[7:8], v[18:19], -v[6:7]
	v_cndmask_b32_e32 v26, 0, v9, vcc
	v_add_f64 v[4:5], v[4:5], -v[25:26]
	v_addc_co_u32_e64 v6, s[0:1], 0, v28, vcc
	s_mov_b32 s0, 0x54442d18
	s_mov_b32 s1, 0x3ff921fb
	v_add_f64 v[0:1], v[0:1], v[7:8]
	v_add_f64 v[7:8], v[4:5], v[0:1]
	v_mul_f64 v[9:10], v[7:8], s[0:1]
	v_add_f64 v[4:5], v[7:8], -v[4:5]
	v_fma_f64 v[11:12], v[7:8], s[0:1], -v[9:10]
	v_add_f64 v[0:1], v[0:1], -v[4:5]
	v_fma_f64 v[4:5], v[7:8], s[18:19], v[11:12]
	v_fma_f64 v[4:5], v[0:1], s[0:1], v[4:5]
	v_add_f64 v[0:1], v[9:10], v[4:5]
	v_add_f64 v[7:8], v[0:1], -v[9:10]
	v_add_f64 v[4:5], v[4:5], -v[7:8]
.LBB6_13:
	s_andn2_saveexec_b64 s[0:1], s[6:7]
	s_cbranch_execz .LBB6_15
; %bb.14:
	s_mov_b32 s6, 0x6dc9c883
	s_mov_b32 s7, 0x3fe45f30
	v_mul_f64 v[0:1], |v[2:3]|, s[6:7]
	s_mov_b32 s6, 0x54442d18
	s_mov_b32 s7, 0xbff921fb
	;; [unrolled: 1-line block ×4, first 2 shown]
	v_rndne_f64_e32 v[6:7], v[0:1]
	v_fma_f64 v[0:1], v[6:7], s[6:7], |v[2:3]|
	v_mul_f64 v[4:5], v[6:7], s[18:19]
	s_mov_b32 s6, 0x252049c0
	s_mov_b32 s7, 0xb97b839a
	v_fma_f64 v[12:13], v[6:7], s[18:19], v[0:1]
	v_add_f64 v[8:9], v[0:1], v[4:5]
	s_mov_b32 s19, 0x3c91a626
	v_add_f64 v[10:11], v[0:1], -v[8:9]
	v_add_f64 v[8:9], v[8:9], -v[12:13]
	v_add_f64 v[0:1], v[10:11], v[4:5]
	v_fma_f64 v[4:5], v[6:7], s[18:19], v[4:5]
	v_add_f64 v[0:1], v[8:9], v[0:1]
	v_add_f64 v[0:1], v[0:1], -v[4:5]
	v_fma_f64 v[4:5], v[6:7], s[6:7], v[0:1]
	v_cvt_i32_f64_e32 v6, v[6:7]
	v_add_f64 v[0:1], v[12:13], v[4:5]
	v_add_f64 v[8:9], v[0:1], -v[12:13]
	v_add_f64 v[4:5], v[4:5], -v[8:9]
.LBB6_15:
	s_or_b64 exec, exec, s[0:1]
	v_mul_f64 v[7:8], v[0:1], v[0:1]
	s_mov_b32 s0, 0xf9a43bb8
	v_mov_b32_e32 v10, 0xb42fdfa7
	v_mov_b32_e32 v11, 0xbe5ae600
	s_mov_b32 s1, 0x3de5e0b2
	s_mov_b32 s6, 0x796cde01
	v_mov_b32_e32 v9, 0x9037ab78
	s_mov_b32 s7, 0x3ec71de3
	v_fma_f64 v[11:12], v[7:8], s[0:1], v[10:11]
	s_mov_b32 s0, 0x46cc5e42
	v_mov_b32_e32 v10, 0x3e21eeb6
	s_mov_b32 s1, 0xbda907db
	v_fma_f64 v[9:10], v[7:8], s[0:1], v[9:10]
	v_mul_f64 v[13:14], v[7:8], 0.5
	s_mov_b32 s0, 0xa17f65f6
	s_mov_b32 s18, 0x19e83e5c
	v_fma_f64 v[11:12], v[7:8], v[11:12], s[6:7]
	s_mov_b32 s1, 0xbe927e4f
	s_mov_b32 s19, 0xbf2a01a0
	s_mov_b32 s6, 0x19f4ec90
	v_fma_f64 v[9:10], v[7:8], v[9:10], s[0:1]
	v_add_f64 v[15:16], -v[13:14], 1.0
	s_mov_b32 s0, 0x11110bb3
	s_mov_b32 s7, 0x3efa01a0
	v_fma_f64 v[11:12], v[7:8], v[11:12], s[18:19]
	s_mov_b32 s1, 0x3f811111
	v_mul_f64 v[17:18], v[4:5], 0.5
	v_mul_f64 v[19:20], v[0:1], -v[7:8]
	v_fma_f64 v[9:10], v[7:8], v[9:10], s[6:7]
	v_add_f64 v[21:22], -v[15:16], 1.0
	s_and_b32 s24, s33, 0xff
	s_cmp_lt_i32 s24, 11
	v_fma_f64 v[11:12], v[7:8], v[11:12], s[0:1]
	s_mov_b32 s0, 0x16c16967
	s_mov_b32 s1, 0xbf56c16c
	v_fma_f64 v[9:10], v[7:8], v[9:10], s[0:1]
	v_add_f64 v[13:14], v[21:22], -v[13:14]
	s_mov_b32 s1, 0x3fa55555
	s_mov_b32 s0, 0x55555555
	v_fma_f64 v[11:12], v[19:20], v[11:12], v[17:18]
	v_mul_f64 v[17:18], v[7:8], v[7:8]
	v_fma_f64 v[9:10], v[7:8], v[9:10], s[0:1]
	v_fma_f64 v[13:14], v[0:1], -v[4:5], v[13:14]
	s_mov_b32 s1, 0xbfc55555
	v_fma_f64 v[4:5], v[7:8], v[11:12], -v[4:5]
	v_fma_f64 v[7:8], v[17:18], v[9:10], v[13:14]
	v_and_b32_e32 v9, 1, v6
	v_cmp_eq_u32_e32 vcc, 0, v9
	v_fma_f64 v[4:5], v[19:20], s[0:1], v[4:5]
	s_movk_i32 s0, 0x1f8
	v_cmp_class_f64_e64 s[0:1], v[2:3], s0
	v_mov_b32_e32 v10, s9
	v_add_f64 v[7:8], v[15:16], v[7:8]
	v_add_f64 v[0:1], v[0:1], -v[4:5]
	v_lshlrev_b32_e32 v4, 30, v6
	v_mul_lo_u32 v6, v24, s2
	v_xor_b32_e32 v2, v4, v3
	v_and_b32_e32 v2, 0x80000000, v2
	v_mov_b32_e32 v5, 0x7ff80000
	v_ashrrev_i32_e32 v3, 31, v6
	v_cndmask_b32_e32 v1, v8, v1, vcc
	v_cndmask_b32_e32 v0, v7, v0, vcc
	v_xor_b32_e32 v1, v1, v2
	v_add_co_u32_e32 v4, vcc, s8, v6
	v_cndmask_b32_e64 v0, 0, v0, s[0:1]
	v_cndmask_b32_e64 v1, v5, v1, s[0:1]
	v_addc_co_u32_e32 v5, vcc, v10, v3, vcc
	s_cbranch_scc1 .LBB6_23
; %bb.16:
	s_and_b32 s25, 0xffff, s24
	s_cmp_gt_i32 s25, 25
	s_cbranch_scc0 .LBB6_27
; %bb.17:
	s_cmp_gt_i32 s25, 28
	s_cbranch_scc0 .LBB6_29
; %bb.18:
	;; [unrolled: 3-line block ×4, first 2 shown]
	s_mov_b64 s[18:19], 0
	s_mov_b64 s[0:1], -1
	s_cmp_eq_u32 s25, 46
	s_mov_b64 s[6:7], 0
	s_cbranch_scc0 .LBB6_38
; %bb.21:
	v_cvt_f32_f64_e32 v2, v[0:1]
	s_movk_i32 s0, 0x7fff
	v_mov_b32_e32 v3, 0x7fc0
	s_mov_b64 s[6:7], -1
	v_bfe_u32 v6, v2, 16, 1
	v_cmp_o_f32_e32 vcc, v2, v2
	v_add3_u32 v2, v2, v6, s0
	v_cndmask_b32_sdwa v2, v3, v2, vcc dst_sel:DWORD dst_unused:UNUSED_PAD src0_sel:DWORD src1_sel:WORD_1
	global_store_dword v[4:5], v2, off
	s_mov_b64 s[0:1], 0
	s_branch .LBB6_38
.LBB6_22:
	s_mov_b64 s[0:1], 0
                                        ; implicit-def: $vgpr2_vgpr3
	s_cbranch_execnz .LBB6_174
	s_branch .LBB6_206
.LBB6_23:
	s_mov_b64 s[0:1], 0
	s_mov_b64 s[6:7], 0
	s_cbranch_execnz .LBB6_107
.LBB6_24:
	s_andn2_b64 vcc, exec, s[6:7]
	s_cbranch_vccnz .LBB6_145
.LBB6_25:
	v_add_u32_e32 v24, 0x80, v24
	s_mov_b64 s[18:19], -1
	s_branch .LBB6_255
.LBB6_26:
	s_mov_b64 s[6:7], -1
	s_mov_b64 s[0:1], 0
                                        ; implicit-def: $vgpr2_vgpr3
	s_branch .LBB6_153
.LBB6_27:
	s_mov_b64 s[18:19], -1
	s_mov_b64 s[0:1], 0
	s_mov_b64 s[6:7], 0
	s_branch .LBB6_65
.LBB6_28:
	s_mov_b64 s[6:7], -1
	s_mov_b64 s[0:1], 0
                                        ; implicit-def: $vgpr2_vgpr3
	s_branch .LBB6_148
.LBB6_29:
	s_mov_b64 s[18:19], -1
	s_mov_b64 s[0:1], 0
	s_mov_b64 s[6:7], 0
	s_branch .LBB6_48
.LBB6_30:
	s_mov_b64 s[6:7], -1
	s_branch .LBB6_33
.LBB6_31:
	s_mov_b64 s[18:19], -1
	s_mov_b64 s[0:1], 0
	s_mov_b64 s[6:7], 0
	s_branch .LBB6_44
.LBB6_32:
	s_mov_b64 s[14:15], -1
.LBB6_33:
	s_mov_b64 s[0:1], 0
                                        ; implicit-def: $vgpr2_vgpr3
.LBB6_34:
	s_and_b64 vcc, exec, s[6:7]
	s_cbranch_vccz .LBB6_147
; %bb.35:
	s_cmp_eq_u32 s22, 44
	s_cbranch_scc0 .LBB6_146
; %bb.36:
	global_load_ubyte v4, v[0:1], off
	s_movk_i32 s6, 0xff
	v_bfrev_b32_e32 v5, 4
	v_mov_b32_e32 v6, 0x7ff80000
	v_bfrev_b32_e32 v7, 28
	s_mov_b64 s[0:1], -1
	s_mov_b64 s[14:15], 0
	s_waitcnt vmcnt(0)
	v_lshlrev_b32_e32 v2, 23, v4
	v_cvt_f64_f32_e32 v[2:3], v2
	v_cmp_ne_u32_e32 vcc, s6, v4
	v_cndmask_b32_e32 v2, v5, v2, vcc
	v_cndmask_b32_e32 v3, v6, v3, vcc
	v_cmp_ne_u32_e32 vcc, 0, v4
	v_cndmask_b32_e32 v3, v7, v3, vcc
	v_cndmask_b32_e32 v2, 0, v2, vcc
	s_branch .LBB6_147
.LBB6_37:
	s_mov_b64 s[18:19], -1
	s_mov_b64 s[0:1], 0
	s_mov_b64 s[6:7], 0
.LBB6_38:
	s_and_b64 vcc, exec, s[18:19]
	s_cbranch_vccz .LBB6_43
; %bb.39:
	s_cmp_eq_u32 s25, 44
	s_mov_b64 s[0:1], -1
	s_cbranch_scc0 .LBB6_43
; %bb.40:
	v_cvt_f32_f64_e32 v2, v[0:1]
	s_movk_i32 s0, 0xff
	v_mov_b32_e32 v6, 0xff
	v_bfe_u32 v3, v2, 23, 8
	v_cmp_ne_u32_e32 vcc, s0, v3
	s_and_saveexec_b64 s[6:7], vcc
; %bb.41:
	s_mov_b32 s0, 0x3fffff
	v_lshrrev_b32_e32 v6, 23, v2
	v_and_b32_e32 v7, 0x400000, v2
	v_and_or_b32 v2, v2, s0, v3
	v_cmp_ne_u32_e32 vcc, 0, v7
	v_cmp_ne_u32_e64 s[0:1], 0, v2
	s_and_b64 s[0:1], vcc, s[0:1]
	v_cndmask_b32_e64 v2, 0, 1, s[0:1]
	v_add_u32_e32 v6, v6, v2
; %bb.42:
	s_or_b64 exec, exec, s[6:7]
	s_mov_b64 s[6:7], -1
	s_mov_b64 s[0:1], 0
	global_store_byte v[4:5], v6, off
.LBB6_43:
	s_mov_b64 s[18:19], 0
.LBB6_44:
	s_and_b64 vcc, exec, s[18:19]
	s_cbranch_vccz .LBB6_47
; %bb.45:
	s_cmp_eq_u32 s25, 29
	s_mov_b64 s[0:1], -1
	s_cbranch_scc0 .LBB6_47
; %bb.46:
	v_trunc_f64_e32 v[2:3], v[0:1]
	s_movk_i32 s0, 0xffe0
	s_mov_b64 s[6:7], -1
	s_mov_b64 s[18:19], 0
	v_ldexp_f64 v[6:7], v[2:3], s0
	s_mov_b32 s0, 0
	s_mov_b32 s1, 0xc1f00000
	v_floor_f64_e32 v[6:7], v[6:7]
	v_fma_f64 v[2:3], v[6:7], s[0:1], v[2:3]
	v_cvt_u32_f64_e32 v7, v[6:7]
	s_mov_b64 s[0:1], 0
	v_cvt_u32_f64_e32 v6, v[2:3]
	global_store_dwordx2 v[4:5], v[6:7], off
	s_branch .LBB6_48
.LBB6_47:
	s_mov_b64 s[18:19], 0
.LBB6_48:
	s_and_b64 vcc, exec, s[18:19]
	s_cbranch_vccz .LBB6_64
; %bb.49:
	s_cmp_lt_i32 s25, 27
	s_mov_b64 s[6:7], -1
	s_cbranch_scc1 .LBB6_55
; %bb.50:
	v_cvt_u32_f64_e32 v2, v[0:1]
	s_cmp_gt_i32 s25, 27
	s_cbranch_scc0 .LBB6_52
; %bb.51:
	s_mov_b64 s[6:7], 0
	global_store_dword v[4:5], v2, off
.LBB6_52:
	s_andn2_b64 vcc, exec, s[6:7]
	s_cbranch_vccnz .LBB6_54
; %bb.53:
	global_store_short v[4:5], v2, off
.LBB6_54:
	s_mov_b64 s[6:7], 0
.LBB6_55:
	s_andn2_b64 vcc, exec, s[6:7]
	s_cbranch_vccnz .LBB6_63
; %bb.56:
	v_cvt_f32_f64_e32 v2, v[0:1]
	s_mov_b32 s6, 0x43800000
	v_mov_b32_e32 v6, 0x80
	v_and_b32_e32 v3, 0x7fffffff, v2
	v_cmp_gt_u32_e32 vcc, s6, v3
	s_and_saveexec_b64 s[6:7], vcc
	s_cbranch_execz .LBB6_62
; %bb.57:
	s_mov_b32 s18, 0x3bffffff
	v_cmp_lt_u32_e32 vcc, s18, v3
	s_mov_b64 s[18:19], 0
                                        ; implicit-def: $vgpr3
	s_and_saveexec_b64 s[22:23], vcc
	s_xor_b64 s[22:23], exec, s[22:23]
	s_cbranch_execz .LBB6_287
; %bb.58:
	v_bfe_u32 v3, v2, 20, 1
	s_mov_b32 s26, 0x487ffff
	v_add3_u32 v3, v2, v3, s26
	s_mov_b64 s[18:19], exec
	v_lshrrev_b32_e32 v3, 20, v3
	s_andn2_saveexec_b64 s[22:23], s[22:23]
	s_cbranch_execnz .LBB6_288
.LBB6_59:
	s_or_b64 exec, exec, s[22:23]
	v_mov_b32_e32 v6, 0
	s_and_saveexec_b64 s[22:23], s[18:19]
.LBB6_60:
	v_lshrrev_b32_e32 v2, 24, v2
	s_movk_i32 s18, 0x80
	v_and_or_b32 v6, v2, s18, v3
.LBB6_61:
	s_or_b64 exec, exec, s[22:23]
.LBB6_62:
	s_or_b64 exec, exec, s[6:7]
	global_store_byte v[4:5], v6, off
.LBB6_63:
	s_mov_b64 s[6:7], -1
.LBB6_64:
	s_mov_b64 s[18:19], 0
.LBB6_65:
	s_and_b64 vcc, exec, s[18:19]
	s_cbranch_vccz .LBB6_106
; %bb.66:
	s_cmp_gt_i32 s25, 22
	s_mov_b64 s[18:19], -1
	s_cbranch_scc0 .LBB6_98
; %bb.67:
	s_cmp_lt_i32 s25, 24
	s_mov_b64 s[6:7], -1
	s_cbranch_scc1 .LBB6_87
; %bb.68:
	s_cmp_gt_i32 s25, 24
	s_cbranch_scc0 .LBB6_76
; %bb.69:
	v_cvt_f32_f64_e32 v2, v[0:1]
	s_mov_b32 s6, 0x47800000
	v_mov_b32_e32 v6, 0x80
	v_and_b32_e32 v3, 0x7fffffff, v2
	v_cmp_gt_u32_e32 vcc, s6, v3
	s_and_saveexec_b64 s[6:7], vcc
	s_cbranch_execz .LBB6_75
; %bb.70:
	s_mov_b32 s18, 0x37ffffff
	v_cmp_lt_u32_e32 vcc, s18, v3
	s_mov_b64 s[18:19], 0
                                        ; implicit-def: $vgpr3
	s_and_saveexec_b64 s[22:23], vcc
	s_xor_b64 s[22:23], exec, s[22:23]
	s_cbranch_execz .LBB6_291
; %bb.71:
	v_bfe_u32 v3, v2, 21, 1
	s_mov_b32 s26, 0x88fffff
	v_add3_u32 v3, v2, v3, s26
	s_mov_b64 s[18:19], exec
	v_lshrrev_b32_e32 v3, 21, v3
	s_andn2_saveexec_b64 s[22:23], s[22:23]
	s_cbranch_execnz .LBB6_292
.LBB6_72:
	s_or_b64 exec, exec, s[22:23]
	v_mov_b32_e32 v6, 0
	s_and_saveexec_b64 s[22:23], s[18:19]
.LBB6_73:
	v_lshrrev_b32_e32 v2, 24, v2
	s_movk_i32 s18, 0x80
	v_and_or_b32 v6, v2, s18, v3
.LBB6_74:
	s_or_b64 exec, exec, s[22:23]
.LBB6_75:
	s_or_b64 exec, exec, s[6:7]
	s_mov_b64 s[6:7], 0
	global_store_byte v[4:5], v6, off
.LBB6_76:
	s_and_b64 vcc, exec, s[6:7]
	s_cbranch_vccz .LBB6_86
; %bb.77:
	v_cvt_f32_f64_e32 v2, v[0:1]
	s_mov_b32 s6, 0x43f00000
                                        ; implicit-def: $vgpr3
	v_and_b32_e32 v6, 0x7fffffff, v2
	v_cmp_gt_u32_e32 vcc, s6, v6
	s_and_saveexec_b64 s[6:7], vcc
	s_xor_b64 s[6:7], exec, s[6:7]
	s_cbranch_execz .LBB6_83
; %bb.78:
	s_mov_b32 s18, 0x3c7fffff
	v_cmp_lt_u32_e32 vcc, s18, v6
                                        ; implicit-def: $vgpr3
	s_and_saveexec_b64 s[18:19], vcc
	s_xor_b64 s[18:19], exec, s[18:19]
; %bb.79:
	v_bfe_u32 v3, v2, 20, 1
	s_mov_b32 s22, 0x407ffff
	v_add3_u32 v3, v2, v3, s22
	v_lshrrev_b32_e32 v6, 20, v3
	v_and_b32_e32 v3, 0xff00000, v3
	s_mov_b32 s22, 0x7f00000
	v_mov_b32_e32 v7, 0x7e
	v_cmp_ne_u32_e32 vcc, s22, v3
	v_cndmask_b32_e32 v3, v7, v6, vcc
; %bb.80:
	s_andn2_saveexec_b64 s[18:19], s[18:19]
; %bb.81:
	s_mov_b32 s22, 0x46800000
	v_add_f32_e64 v3, |v2|, s22
; %bb.82:
	s_or_b64 exec, exec, s[18:19]
                                        ; implicit-def: $vgpr6
.LBB6_83:
	s_andn2_saveexec_b64 s[6:7], s[6:7]
; %bb.84:
	s_mov_b32 s18, 0x7f800000
	v_mov_b32_e32 v3, 0x7e
	v_mov_b32_e32 v7, 0x7f
	v_cmp_lt_u32_e32 vcc, s18, v6
	v_cndmask_b32_e32 v3, v3, v7, vcc
; %bb.85:
	s_or_b64 exec, exec, s[6:7]
	v_lshrrev_b32_e32 v2, 24, v2
	s_movk_i32 s6, 0x80
	v_and_or_b32 v2, v2, s6, v3
	global_store_byte v[4:5], v2, off
.LBB6_86:
	s_mov_b64 s[6:7], 0
.LBB6_87:
	s_andn2_b64 vcc, exec, s[6:7]
	s_cbranch_vccnz .LBB6_97
; %bb.88:
	v_cvt_f32_f64_e32 v2, v[0:1]
	s_mov_b32 s6, 0x47800000
                                        ; implicit-def: $vgpr3
	v_and_b32_e32 v6, 0x7fffffff, v2
	v_cmp_gt_u32_e32 vcc, s6, v6
	s_and_saveexec_b64 s[6:7], vcc
	s_xor_b64 s[6:7], exec, s[6:7]
	s_cbranch_execz .LBB6_94
; %bb.89:
	s_mov_b32 s18, 0x387fffff
	v_cmp_lt_u32_e32 vcc, s18, v6
                                        ; implicit-def: $vgpr3
	s_and_saveexec_b64 s[18:19], vcc
	s_xor_b64 s[18:19], exec, s[18:19]
; %bb.90:
	v_bfe_u32 v3, v2, 21, 1
	s_mov_b32 s22, 0x80fffff
	v_add3_u32 v3, v2, v3, s22
	v_lshrrev_b32_e32 v3, 21, v3
; %bb.91:
	s_andn2_saveexec_b64 s[18:19], s[18:19]
; %bb.92:
	s_mov_b32 s22, 0x43000000
	v_add_f32_e64 v3, |v2|, s22
; %bb.93:
	s_or_b64 exec, exec, s[18:19]
                                        ; implicit-def: $vgpr6
.LBB6_94:
	s_andn2_saveexec_b64 s[6:7], s[6:7]
; %bb.95:
	s_mov_b32 s18, 0x7f800000
	v_mov_b32_e32 v3, 0x7c
	v_mov_b32_e32 v7, 0x7f
	v_cmp_lt_u32_e32 vcc, s18, v6
	v_cndmask_b32_e32 v3, v3, v7, vcc
; %bb.96:
	s_or_b64 exec, exec, s[6:7]
	v_lshrrev_b32_e32 v2, 24, v2
	s_movk_i32 s6, 0x80
	v_and_or_b32 v2, v2, s6, v3
	global_store_byte v[4:5], v2, off
.LBB6_97:
	s_mov_b64 s[18:19], 0
	s_mov_b64 s[6:7], -1
.LBB6_98:
	s_andn2_b64 vcc, exec, s[18:19]
	s_cbranch_vccnz .LBB6_106
; %bb.99:
	s_cmp_gt_i32 s25, 14
	s_mov_b64 s[18:19], -1
	s_cbranch_scc0 .LBB6_103
; %bb.100:
	s_cmp_eq_u32 s25, 15
	s_mov_b64 s[0:1], -1
	s_cbranch_scc0 .LBB6_102
; %bb.101:
	v_cvt_f32_f64_e32 v2, v[0:1]
	s_movk_i32 s0, 0x7fff
	v_mov_b32_e32 v3, 0x7fc0
	s_mov_b64 s[6:7], -1
	v_bfe_u32 v6, v2, 16, 1
	v_cmp_o_f32_e32 vcc, v2, v2
	v_add3_u32 v2, v2, v6, s0
	v_cndmask_b32_sdwa v2, v3, v2, vcc dst_sel:DWORD dst_unused:UNUSED_PAD src0_sel:DWORD src1_sel:WORD_1
	global_store_short v[4:5], v2, off
	s_mov_b64 s[0:1], 0
.LBB6_102:
	s_mov_b64 s[18:19], 0
.LBB6_103:
	s_and_b64 vcc, exec, s[18:19]
	s_cbranch_vccz .LBB6_106
; %bb.104:
	s_cmp_eq_u32 s25, 11
	s_mov_b64 s[0:1], -1
	s_cbranch_scc0 .LBB6_106
; %bb.105:
	v_cmp_neq_f64_e32 vcc, 0, v[0:1]
	s_mov_b64 s[0:1], 0
	s_mov_b64 s[6:7], -1
	v_cndmask_b32_e64 v2, 0, 1, vcc
	global_store_byte v[4:5], v2, off
.LBB6_106:
	s_branch .LBB6_24
.LBB6_107:
	s_and_b32 s18, 0xffff, s24
	s_cmp_lt_i32 s18, 5
	s_mov_b64 s[6:7], -1
	s_cbranch_scc1 .LBB6_128
; %bb.108:
	s_cmp_lt_i32 s18, 8
	s_cbranch_scc1 .LBB6_118
; %bb.109:
	s_cmp_lt_i32 s18, 9
	s_cbranch_scc1 .LBB6_115
; %bb.110:
	s_cmp_gt_i32 s18, 9
	s_cbranch_scc0 .LBB6_112
; %bb.111:
	v_mov_b32_e32 v2, 0
	v_mov_b32_e32 v3, v2
	global_store_dwordx4 v[4:5], v[0:3], off
	s_mov_b64 s[6:7], 0
.LBB6_112:
	s_andn2_b64 vcc, exec, s[6:7]
	s_cbranch_vccnz .LBB6_114
; %bb.113:
	v_cvt_f32_f64_e32 v2, v[0:1]
	v_mov_b32_e32 v3, 0
	global_store_dwordx2 v[4:5], v[2:3], off
.LBB6_114:
	s_mov_b64 s[6:7], 0
.LBB6_115:
	s_andn2_b64 vcc, exec, s[6:7]
	s_cbranch_vccnz .LBB6_117
; %bb.116:
	s_movk_i32 s6, 0x1ff
	v_and_or_b32 v2, v1, s6, v0
	v_cmp_ne_u32_e32 vcc, 0, v2
	v_cndmask_b32_e64 v2, 0, 1, vcc
	v_lshrrev_b32_e32 v3, 8, v1
	s_movk_i32 s6, 0xffe
	v_bfe_u32 v6, v1, 20, 11
	v_and_or_b32 v2, v3, s6, v2
	v_sub_u32_e32 v7, 0x3f1, v6
	v_or_b32_e32 v3, 0x1000, v2
	v_med3_i32 v7, v7, 0, 13
	v_lshrrev_b32_e32 v8, v7, v3
	v_lshlrev_b32_e32 v7, v7, v8
	v_cmp_ne_u32_e32 vcc, v7, v3
	v_cndmask_b32_e64 v3, 0, 1, vcc
	v_add_u32_e32 v6, 0xfffffc10, v6
	v_or_b32_e32 v3, v8, v3
	v_lshl_or_b32 v7, v6, 12, v2
	v_cmp_gt_i32_e32 vcc, 1, v6
	v_cndmask_b32_e32 v3, v7, v3, vcc
	v_and_b32_e32 v7, 7, v3
	v_cmp_lt_i32_e32 vcc, 5, v7
	v_cndmask_b32_e64 v8, 0, 1, vcc
	v_cmp_eq_u32_e32 vcc, 3, v7
	v_cndmask_b32_e64 v7, 0, 1, vcc
	v_or_b32_e32 v7, v7, v8
	v_lshrrev_b32_e32 v3, 2, v3
	v_add_u32_e32 v3, v3, v7
	v_mov_b32_e32 v7, 0x7c00
	v_cmp_gt_i32_e32 vcc, 31, v6
	v_cndmask_b32_e32 v3, v7, v3, vcc
	v_mov_b32_e32 v8, 0x7e00
	v_cmp_ne_u32_e32 vcc, 0, v2
	s_movk_i32 s6, 0x40f
	v_cndmask_b32_e32 v2, v7, v8, vcc
	v_cmp_eq_u32_e32 vcc, s6, v6
	v_cndmask_b32_e32 v2, v3, v2, vcc
	v_lshrrev_b32_e32 v3, 16, v1
	s_mov_b32 s6, 0x8000
	v_and_or_b32 v2, v3, s6, v2
	v_and_b32_e32 v2, 0xffff, v2
	global_store_dword v[4:5], v2, off
.LBB6_117:
	s_mov_b64 s[6:7], 0
.LBB6_118:
	s_andn2_b64 vcc, exec, s[6:7]
	s_cbranch_vccnz .LBB6_127
; %bb.119:
	s_cmp_lt_i32 s18, 6
	s_mov_b64 s[6:7], -1
	s_cbranch_scc1 .LBB6_125
; %bb.120:
	s_cmp_gt_i32 s18, 6
	s_cbranch_scc0 .LBB6_122
; %bb.121:
	global_store_dwordx2 v[4:5], v[0:1], off
	s_mov_b64 s[6:7], 0
.LBB6_122:
	s_andn2_b64 vcc, exec, s[6:7]
	s_cbranch_vccnz .LBB6_124
; %bb.123:
	v_cvt_f32_f64_e32 v2, v[0:1]
	global_store_dword v[4:5], v2, off
.LBB6_124:
	s_mov_b64 s[6:7], 0
.LBB6_125:
	s_andn2_b64 vcc, exec, s[6:7]
	s_cbranch_vccnz .LBB6_127
; %bb.126:
	s_movk_i32 s6, 0x1ff
	v_and_or_b32 v2, v1, s6, v0
	v_cmp_ne_u32_e32 vcc, 0, v2
	v_cndmask_b32_e64 v2, 0, 1, vcc
	v_lshrrev_b32_e32 v3, 8, v1
	s_movk_i32 s6, 0xffe
	v_bfe_u32 v6, v1, 20, 11
	v_and_or_b32 v2, v3, s6, v2
	v_sub_u32_e32 v7, 0x3f1, v6
	v_or_b32_e32 v3, 0x1000, v2
	v_med3_i32 v7, v7, 0, 13
	v_lshrrev_b32_e32 v8, v7, v3
	v_lshlrev_b32_e32 v7, v7, v8
	v_cmp_ne_u32_e32 vcc, v7, v3
	v_cndmask_b32_e64 v3, 0, 1, vcc
	v_add_u32_e32 v6, 0xfffffc10, v6
	v_or_b32_e32 v3, v8, v3
	v_lshl_or_b32 v7, v6, 12, v2
	v_cmp_gt_i32_e32 vcc, 1, v6
	v_cndmask_b32_e32 v3, v7, v3, vcc
	v_and_b32_e32 v7, 7, v3
	v_cmp_lt_i32_e32 vcc, 5, v7
	v_cndmask_b32_e64 v8, 0, 1, vcc
	v_cmp_eq_u32_e32 vcc, 3, v7
	v_cndmask_b32_e64 v7, 0, 1, vcc
	v_or_b32_e32 v7, v7, v8
	v_lshrrev_b32_e32 v3, 2, v3
	v_add_u32_e32 v3, v3, v7
	v_mov_b32_e32 v7, 0x7c00
	v_cmp_gt_i32_e32 vcc, 31, v6
	v_cndmask_b32_e32 v3, v7, v3, vcc
	v_mov_b32_e32 v8, 0x7e00
	v_cmp_ne_u32_e32 vcc, 0, v2
	s_movk_i32 s6, 0x40f
	v_cndmask_b32_e32 v2, v7, v8, vcc
	v_cmp_eq_u32_e32 vcc, s6, v6
	v_cndmask_b32_e32 v2, v3, v2, vcc
	v_lshrrev_b32_e32 v3, 16, v1
	s_mov_b32 s6, 0x8000
	v_and_or_b32 v2, v3, s6, v2
	global_store_short v[4:5], v2, off
.LBB6_127:
	s_mov_b64 s[6:7], 0
.LBB6_128:
	s_andn2_b64 vcc, exec, s[6:7]
	s_cbranch_vccnz .LBB6_144
; %bb.129:
	s_cmp_lt_i32 s18, 2
	s_mov_b64 s[6:7], -1
	s_cbranch_scc1 .LBB6_139
; %bb.130:
	s_cmp_lt_i32 s18, 3
	s_cbranch_scc1 .LBB6_136
; %bb.131:
	s_cmp_gt_i32 s18, 3
	s_cbranch_scc0 .LBB6_133
; %bb.132:
	v_trunc_f64_e32 v[2:3], v[0:1]
	s_movk_i32 s6, 0xffe0
	v_ldexp_f64 v[6:7], v[2:3], s6
	s_mov_b32 s6, 0
	s_mov_b32 s7, 0xc1f00000
	v_floor_f64_e32 v[6:7], v[6:7]
	v_fma_f64 v[2:3], v[6:7], s[6:7], v[2:3]
	v_cvt_i32_f64_e32 v7, v[6:7]
	s_mov_b64 s[6:7], 0
	v_cvt_u32_f64_e32 v6, v[2:3]
	global_store_dwordx2 v[4:5], v[6:7], off
.LBB6_133:
	s_andn2_b64 vcc, exec, s[6:7]
	s_cbranch_vccnz .LBB6_135
; %bb.134:
	v_cvt_i32_f64_e32 v2, v[0:1]
	global_store_dword v[4:5], v2, off
.LBB6_135:
	s_mov_b64 s[6:7], 0
.LBB6_136:
	s_andn2_b64 vcc, exec, s[6:7]
	s_cbranch_vccnz .LBB6_138
; %bb.137:
	v_cvt_i32_f64_e32 v2, v[0:1]
	global_store_short v[4:5], v2, off
.LBB6_138:
	s_mov_b64 s[6:7], 0
.LBB6_139:
	s_andn2_b64 vcc, exec, s[6:7]
	s_cbranch_vccnz .LBB6_144
; %bb.140:
	s_cmp_gt_i32 s18, 0
	s_mov_b64 s[6:7], -1
	s_cbranch_scc0 .LBB6_142
; %bb.141:
	v_cvt_i32_f64_e32 v2, v[0:1]
	s_mov_b64 s[6:7], 0
	global_store_byte v[4:5], v2, off
.LBB6_142:
	s_andn2_b64 vcc, exec, s[6:7]
	s_cbranch_vccnz .LBB6_144
; %bb.143:
	v_trunc_f64_e32 v[0:1], v[0:1]
	s_movk_i32 s6, 0xffe0
	v_ldexp_f64 v[2:3], v[0:1], s6
	s_mov_b32 s6, 0
	s_mov_b32 s7, 0xc1f00000
	v_floor_f64_e32 v[2:3], v[2:3]
	v_fma_f64 v[0:1], v[2:3], s[6:7], v[0:1]
	v_cvt_u32_f64_e32 v0, v[0:1]
	global_store_byte v[4:5], v0, off
.LBB6_144:
	s_branch .LBB6_25
.LBB6_145:
	s_mov_b64 s[18:19], 0
                                        ; implicit-def: $vgpr24
	s_branch .LBB6_255
.LBB6_146:
	s_mov_b64 s[14:15], -1
                                        ; implicit-def: $vgpr2_vgpr3
.LBB6_147:
	s_mov_b64 s[6:7], 0
.LBB6_148:
	s_and_b64 vcc, exec, s[6:7]
	s_cbranch_vccz .LBB6_152
; %bb.149:
	s_cmp_eq_u32 s22, 29
	s_cbranch_scc0 .LBB6_151
; %bb.150:
	global_load_dwordx2 v[2:3], v[0:1], off
	s_mov_b64 s[0:1], -1
	s_mov_b64 s[14:15], 0
	s_mov_b64 s[6:7], 0
	s_waitcnt vmcnt(0)
	v_cvt_f64_u32_e32 v[3:4], v3
	v_cvt_f64_u32_e32 v[5:6], v2
	v_ldexp_f64 v[3:4], v[3:4], 32
	v_add_f64 v[2:3], v[3:4], v[5:6]
	s_branch .LBB6_153
.LBB6_151:
	s_mov_b64 s[14:15], -1
                                        ; implicit-def: $vgpr2_vgpr3
.LBB6_152:
	s_mov_b64 s[6:7], 0
.LBB6_153:
	s_and_b64 vcc, exec, s[6:7]
	s_cbranch_vccz .LBB6_173
; %bb.154:
	s_cmp_lt_i32 s22, 27
	s_cbranch_scc1 .LBB6_157
; %bb.155:
	s_cmp_gt_i32 s22, 27
	s_cbranch_scc0 .LBB6_158
; %bb.156:
	global_load_dword v2, v[0:1], off
	s_mov_b64 s[0:1], 0
	s_waitcnt vmcnt(0)
	v_cvt_f64_u32_e32 v[2:3], v2
	s_branch .LBB6_159
.LBB6_157:
	s_mov_b64 s[0:1], -1
                                        ; implicit-def: $vgpr2_vgpr3
	s_branch .LBB6_162
.LBB6_158:
	s_mov_b64 s[0:1], -1
                                        ; implicit-def: $vgpr2_vgpr3
.LBB6_159:
	s_andn2_b64 vcc, exec, s[0:1]
	s_cbranch_vccnz .LBB6_161
; %bb.160:
	global_load_ushort v2, v[0:1], off
	s_waitcnt vmcnt(0)
	v_cvt_f64_u32_e32 v[2:3], v2
.LBB6_161:
	s_mov_b64 s[0:1], 0
.LBB6_162:
	s_andn2_b64 vcc, exec, s[0:1]
	s_cbranch_vccnz .LBB6_172
; %bb.163:
	global_load_ubyte v4, v[0:1], off
	s_movk_i32 s0, 0x7f
	s_waitcnt vmcnt(0)
	v_cmp_lt_i16_e32 vcc, s0, v4
	s_mov_b64 s[0:1], 0
	s_and_saveexec_b64 s[6:7], vcc
	s_xor_b64 s[6:7], exec, s[6:7]
	s_cbranch_execz .LBB6_167
; %bb.164:
	s_movk_i32 s0, 0x80
	v_cmp_eq_u16_e32 vcc, s0, v4
	s_mov_b64 s[0:1], -1
	s_and_saveexec_b64 s[18:19], vcc
; %bb.165:
	s_xor_b64 s[0:1], exec, -1
; %bb.166:
	s_or_b64 exec, exec, s[18:19]
	s_and_b64 s[0:1], s[0:1], exec
.LBB6_167:
	s_or_saveexec_b64 s[6:7], s[6:7]
	v_bfrev_b32_e32 v2, 4
	v_mov_b32_e32 v3, 0x7ff80000
	s_xor_b64 exec, exec, s[6:7]
; %bb.168:
	v_cmp_ne_u16_e32 vcc, 0, v4
	v_mov_b32_e32 v2, 0
	s_andn2_b64 s[0:1], s[0:1], exec
	s_and_b64 s[18:19], vcc, exec
	v_mov_b32_e32 v3, 0
	s_or_b64 s[0:1], s[0:1], s[18:19]
; %bb.169:
	s_or_b64 exec, exec, s[6:7]
	s_and_saveexec_b64 s[6:7], s[0:1]
	s_cbranch_execz .LBB6_171
; %bb.170:
	v_and_b32_e32 v3, 0xffff, v4
	v_lshlrev_b32_e32 v2, 24, v4
	v_and_b32_e32 v4, 7, v3
	v_ffbh_u32_e32 v6, v4
	v_min_u32_e32 v6, 32, v6
	v_subrev_u32_e32 v7, 28, v6
	v_bfe_u32 v5, v3, 3, 4
	v_lshlrev_b32_e32 v3, v7, v3
	v_sub_u32_e32 v6, 29, v6
	v_and_b32_e32 v3, 7, v3
	v_cmp_eq_u32_e32 vcc, 0, v5
	v_cndmask_b32_e32 v5, v5, v6, vcc
	v_cndmask_b32_e32 v3, v4, v3, vcc
	v_mov_b32_e32 v4, 0x3b800000
	v_lshlrev_b32_e32 v3, 20, v3
	v_and_b32_e32 v2, 0x80000000, v2
	v_lshl_add_u32 v4, v5, 23, v4
	v_or3_b32 v2, v2, v4, v3
	v_cvt_f64_f32_e32 v[2:3], v2
.LBB6_171:
	s_or_b64 exec, exec, s[6:7]
.LBB6_172:
	s_mov_b64 s[0:1], -1
.LBB6_173:
	s_branch .LBB6_206
.LBB6_174:
	s_cmp_gt_i32 s22, 22
	s_cbranch_scc0 .LBB6_186
; %bb.175:
	s_cmp_lt_i32 s22, 24
	s_cbranch_scc1 .LBB6_187
; %bb.176:
	s_cmp_gt_i32 s22, 24
	s_cbranch_scc0 .LBB6_188
; %bb.177:
	global_load_ubyte v4, v[0:1], off
	s_movk_i32 s0, 0x7f
	s_waitcnt vmcnt(0)
	v_cmp_lt_i16_e32 vcc, s0, v4
	s_mov_b64 s[0:1], 0
	s_and_saveexec_b64 s[6:7], vcc
	s_xor_b64 s[6:7], exec, s[6:7]
	s_cbranch_execz .LBB6_181
; %bb.178:
	s_movk_i32 s0, 0x80
	v_cmp_eq_u16_e32 vcc, s0, v4
	s_mov_b64 s[0:1], -1
	s_and_saveexec_b64 s[18:19], vcc
; %bb.179:
	s_xor_b64 s[0:1], exec, -1
; %bb.180:
	s_or_b64 exec, exec, s[18:19]
	s_and_b64 s[0:1], s[0:1], exec
.LBB6_181:
	s_or_saveexec_b64 s[6:7], s[6:7]
	v_bfrev_b32_e32 v2, 4
	v_mov_b32_e32 v3, 0x7ff80000
	s_xor_b64 exec, exec, s[6:7]
; %bb.182:
	v_cmp_ne_u16_e32 vcc, 0, v4
	v_mov_b32_e32 v2, 0
	s_andn2_b64 s[0:1], s[0:1], exec
	s_and_b64 s[18:19], vcc, exec
	v_mov_b32_e32 v3, 0
	s_or_b64 s[0:1], s[0:1], s[18:19]
; %bb.183:
	s_or_b64 exec, exec, s[6:7]
	s_and_saveexec_b64 s[6:7], s[0:1]
	s_cbranch_execz .LBB6_185
; %bb.184:
	v_and_b32_e32 v3, 0xffff, v4
	v_lshlrev_b32_e32 v2, 24, v4
	v_and_b32_e32 v4, 3, v3
	v_ffbh_u32_e32 v6, v4
	v_min_u32_e32 v6, 32, v6
	v_subrev_u32_e32 v7, 29, v6
	v_bfe_u32 v5, v3, 2, 5
	v_lshlrev_b32_e32 v3, v7, v3
	v_sub_u32_e32 v6, 30, v6
	v_and_b32_e32 v3, 3, v3
	v_cmp_eq_u32_e32 vcc, 0, v5
	v_cndmask_b32_e32 v5, v5, v6, vcc
	v_cndmask_b32_e32 v3, v4, v3, vcc
	v_mov_b32_e32 v4, 0x37800000
	v_lshlrev_b32_e32 v3, 21, v3
	v_and_b32_e32 v2, 0x80000000, v2
	v_lshl_add_u32 v4, v5, 23, v4
	v_or3_b32 v2, v2, v4, v3
	v_cvt_f64_f32_e32 v[2:3], v2
.LBB6_185:
	s_or_b64 exec, exec, s[6:7]
	s_mov_b64 s[0:1], 0
	s_branch .LBB6_189
.LBB6_186:
	s_mov_b64 s[6:7], -1
                                        ; implicit-def: $vgpr2_vgpr3
	s_branch .LBB6_195
.LBB6_187:
	s_mov_b64 s[0:1], -1
                                        ; implicit-def: $vgpr2_vgpr3
	s_branch .LBB6_192
.LBB6_188:
	s_mov_b64 s[0:1], -1
                                        ; implicit-def: $vgpr2_vgpr3
.LBB6_189:
	s_and_b64 vcc, exec, s[0:1]
	s_cbranch_vccz .LBB6_191
; %bb.190:
	global_load_ubyte v2, v[0:1], off
	s_mov_b32 s0, 0x7f800000
	s_waitcnt vmcnt(0)
	v_lshlrev_b32_e32 v2, 24, v2
	v_and_b32_e32 v3, 0x7f000000, v2
	v_ffbh_u32_e32 v4, v3
	v_min_u32_e32 v4, 32, v4
	v_sub_u32_e64 v4, v4, 4 clamp
	v_lshlrev_b32_e32 v6, v4, v3
	v_lshlrev_b32_e32 v4, 23, v4
	v_lshrrev_b32_e32 v6, 4, v6
	v_add_u32_e32 v5, 0x1000000, v3
	v_sub_u32_e32 v4, v6, v4
	v_ashrrev_i32_e32 v5, 8, v5
	v_add_u32_e32 v4, 0x3c000000, v4
	v_and_or_b32 v4, v5, s0, v4
	v_cmp_ne_u32_e32 vcc, 0, v3
	v_cndmask_b32_e32 v3, 0, v4, vcc
	s_brev_b32 s0, 1
	v_and_or_b32 v2, v2, s0, v3
	v_cvt_f64_f32_e32 v[2:3], v2
.LBB6_191:
	s_mov_b64 s[0:1], 0
.LBB6_192:
	s_andn2_b64 vcc, exec, s[0:1]
	s_cbranch_vccnz .LBB6_194
; %bb.193:
	global_load_ubyte v2, v[0:1], off
	s_movk_i32 s0, 0x7f00
	s_brev_b32 s1, 16
	s_waitcnt vmcnt(0)
	v_lshlrev_b16_e32 v3, 8, v2
	v_lshlrev_b32_e32 v2, 25, v2
	v_lshrrev_b32_e32 v4, 4, v2
	v_and_or_b32 v5, v3, s0, 0.5
	v_or_b32_e32 v4, 0x70000000, v4
	v_add_f32_e32 v5, -0.5, v5
	v_mul_f32_e32 v4, 0x7800000, v4
	v_cmp_gt_u32_e32 vcc, s1, v2
	v_bfe_i32 v3, v3, 0, 16
	v_cndmask_b32_e32 v2, v4, v5, vcc
	s_brev_b32 s0, 1
	v_and_or_b32 v2, v3, s0, v2
	v_cvt_f64_f32_e32 v[2:3], v2
.LBB6_194:
	s_mov_b64 s[6:7], 0
	s_mov_b64 s[0:1], -1
.LBB6_195:
	s_andn2_b64 vcc, exec, s[6:7]
	s_cbranch_vccnz .LBB6_206
; %bb.196:
	s_cmp_gt_i32 s22, 14
	s_cbranch_scc0 .LBB6_199
; %bb.197:
	s_cmp_eq_u32 s22, 15
	s_cbranch_scc0 .LBB6_200
; %bb.198:
	global_load_ushort v2, v[0:1], off
	s_mov_b64 s[0:1], -1
	s_mov_b64 s[14:15], 0
	s_waitcnt vmcnt(0)
	v_lshlrev_b32_e32 v2, 16, v2
	v_cvt_f64_f32_e32 v[2:3], v2
	s_branch .LBB6_201
.LBB6_199:
	s_mov_b64 s[6:7], -1
                                        ; implicit-def: $vgpr2_vgpr3
	s_branch .LBB6_202
.LBB6_200:
	s_mov_b64 s[14:15], -1
                                        ; implicit-def: $vgpr2_vgpr3
.LBB6_201:
	s_mov_b64 s[6:7], 0
.LBB6_202:
	s_and_b64 vcc, exec, s[6:7]
	s_cbranch_vccz .LBB6_206
; %bb.203:
	s_cmp_eq_u32 s22, 11
	s_cbranch_scc0 .LBB6_205
; %bb.204:
	global_load_ubyte v3, v[0:1], off
	v_mov_b32_e32 v4, 0x3ff00000
	v_mov_b32_e32 v2, 0
	s_mov_b64 s[0:1], -1
	s_mov_b64 s[14:15], 0
	s_waitcnt vmcnt(0)
	v_cmp_ne_u16_e32 vcc, 0, v3
	v_cndmask_b32_e32 v3, 0, v4, vcc
	s_branch .LBB6_206
.LBB6_205:
	s_mov_b64 s[14:15], -1
                                        ; implicit-def: $vgpr2_vgpr3
.LBB6_206:
	s_branch .LBB6_10
.LBB6_207:
	s_cmp_lt_i32 s22, 5
	s_cbranch_scc1 .LBB6_212
; %bb.208:
	s_cmp_lt_i32 s22, 8
	s_cbranch_scc1 .LBB6_213
; %bb.209:
	;; [unrolled: 3-line block ×3, first 2 shown]
	s_cmp_gt_i32 s22, 9
	s_cbranch_scc0 .LBB6_215
; %bb.211:
	global_load_dwordx2 v[2:3], v[0:1], off
	s_mov_b64 s[0:1], 0
	s_branch .LBB6_216
.LBB6_212:
                                        ; implicit-def: $vgpr2_vgpr3
	s_branch .LBB6_234
.LBB6_213:
	s_mov_b64 s[0:1], -1
                                        ; implicit-def: $vgpr2_vgpr3
	s_branch .LBB6_222
.LBB6_214:
	s_mov_b64 s[0:1], -1
                                        ; implicit-def: $vgpr2_vgpr3
	s_branch .LBB6_219
.LBB6_215:
	s_mov_b64 s[0:1], -1
                                        ; implicit-def: $vgpr2_vgpr3
.LBB6_216:
	s_andn2_b64 vcc, exec, s[0:1]
	s_cbranch_vccnz .LBB6_218
; %bb.217:
	global_load_dword v2, v[0:1], off
	s_waitcnt vmcnt(0)
	v_cvt_f64_f32_e32 v[2:3], v2
.LBB6_218:
	s_mov_b64 s[0:1], 0
.LBB6_219:
	s_andn2_b64 vcc, exec, s[0:1]
	s_cbranch_vccnz .LBB6_221
; %bb.220:
	global_load_dword v2, v[0:1], off
	s_waitcnt vmcnt(0)
	v_cvt_f32_f16_e32 v2, v2
	v_cvt_f64_f32_e32 v[2:3], v2
.LBB6_221:
	s_mov_b64 s[0:1], 0
.LBB6_222:
	s_andn2_b64 vcc, exec, s[0:1]
	s_cbranch_vccnz .LBB6_233
; %bb.223:
	s_cmp_lt_i32 s22, 6
	s_cbranch_scc1 .LBB6_226
; %bb.224:
	s_cmp_gt_i32 s22, 6
	s_cbranch_scc0 .LBB6_227
; %bb.225:
	global_load_dwordx2 v[2:3], v[0:1], off
	s_mov_b64 s[0:1], 0
	s_branch .LBB6_228
.LBB6_226:
	s_mov_b64 s[0:1], -1
                                        ; implicit-def: $vgpr2_vgpr3
	s_branch .LBB6_231
.LBB6_227:
	s_mov_b64 s[0:1], -1
                                        ; implicit-def: $vgpr2_vgpr3
.LBB6_228:
	s_andn2_b64 vcc, exec, s[0:1]
	s_cbranch_vccnz .LBB6_230
; %bb.229:
	global_load_dword v2, v[0:1], off
	s_waitcnt vmcnt(0)
	v_cvt_f64_f32_e32 v[2:3], v2
.LBB6_230:
	s_mov_b64 s[0:1], 0
.LBB6_231:
	s_andn2_b64 vcc, exec, s[0:1]
	s_cbranch_vccnz .LBB6_233
; %bb.232:
	global_load_ushort v2, v[0:1], off
	s_waitcnt vmcnt(0)
	v_cvt_f32_f16_e32 v2, v2
	v_cvt_f64_f32_e32 v[2:3], v2
.LBB6_233:
	s_cbranch_execnz .LBB6_253
.LBB6_234:
	s_cmp_lt_i32 s22, 2
	s_cbranch_scc1 .LBB6_238
; %bb.235:
	s_cmp_lt_i32 s22, 3
	s_cbranch_scc1 .LBB6_239
; %bb.236:
	s_cmp_gt_i32 s22, 3
	s_cbranch_scc0 .LBB6_240
; %bb.237:
	global_load_dwordx2 v[2:3], v[0:1], off
	s_mov_b64 s[0:1], 0
	s_waitcnt vmcnt(0)
	v_cvt_f64_i32_e32 v[3:4], v3
	v_cvt_f64_u32_e32 v[5:6], v2
	v_ldexp_f64 v[3:4], v[3:4], 32
	v_add_f64 v[2:3], v[3:4], v[5:6]
	s_branch .LBB6_241
.LBB6_238:
	s_mov_b64 s[0:1], -1
                                        ; implicit-def: $vgpr2_vgpr3
	s_branch .LBB6_247
.LBB6_239:
	s_mov_b64 s[0:1], -1
                                        ; implicit-def: $vgpr2_vgpr3
	s_branch .LBB6_244
.LBB6_240:
	s_mov_b64 s[0:1], -1
                                        ; implicit-def: $vgpr2_vgpr3
.LBB6_241:
	s_andn2_b64 vcc, exec, s[0:1]
	s_cbranch_vccnz .LBB6_243
; %bb.242:
	global_load_dword v2, v[0:1], off
	s_waitcnt vmcnt(0)
	v_cvt_f64_i32_e32 v[2:3], v2
.LBB6_243:
	s_mov_b64 s[0:1], 0
.LBB6_244:
	s_andn2_b64 vcc, exec, s[0:1]
	s_cbranch_vccnz .LBB6_246
; %bb.245:
	global_load_sshort v2, v[0:1], off
	s_waitcnt vmcnt(0)
	v_cvt_f64_i32_e32 v[2:3], v2
.LBB6_246:
	s_mov_b64 s[0:1], 0
.LBB6_247:
	s_andn2_b64 vcc, exec, s[0:1]
	s_cbranch_vccnz .LBB6_253
; %bb.248:
	s_cmp_gt_i32 s22, 0
	s_cbranch_scc0 .LBB6_250
; %bb.249:
	global_load_sbyte v2, v[0:1], off
	s_mov_b64 s[0:1], 0
	s_waitcnt vmcnt(0)
	v_cvt_f64_i32_e32 v[2:3], v2
	s_branch .LBB6_251
.LBB6_250:
	s_mov_b64 s[0:1], -1
                                        ; implicit-def: $vgpr2_vgpr3
.LBB6_251:
	s_andn2_b64 vcc, exec, s[0:1]
	s_cbranch_vccnz .LBB6_253
; %bb.252:
	global_load_ubyte v0, v[0:1], off
	s_waitcnt vmcnt(0)
	v_cvt_f64_u32_e32 v[2:3], v0
.LBB6_253:
	s_branch .LBB6_11
.LBB6_254:
	s_mov_b64 s[0:1], 0
                                        ; implicit-def: $vgpr24
	s_mov_b64 s[18:19], 0
.LBB6_255:
	s_and_b64 s[6:7], s[0:1], exec
	s_and_b64 s[14:15], s[14:15], exec
	s_orn2_b64 s[18:19], s[18:19], exec
.LBB6_256:
	s_or_b64 exec, exec, s[16:17]
	s_mov_b64 s[22:23], 0
	s_mov_b64 s[0:1], 0
                                        ; implicit-def: $vgpr0_vgpr1
                                        ; implicit-def: $vgpr2_vgpr3
	s_and_saveexec_b64 s[16:17], s[18:19]
	s_cbranch_execz .LBB6_265
; %bb.257:
	v_cmp_gt_i32_e32 vcc, s38, v24
	s_mov_b64 s[0:1], -1
	s_mov_b64 s[18:19], s[14:15]
	s_mov_b64 s[20:21], s[6:7]
	s_and_saveexec_b64 s[22:23], vcc
	s_cbranch_execz .LBB6_521
; %bb.258:
	v_mul_lo_u32 v0, v24, s3
	v_mov_b32_e32 v1, s11
	s_and_b32 s26, 0xffff, s42
	s_cmp_lt_i32 s26, 11
	s_waitcnt vmcnt(0)
	v_ashrrev_i32_e32 v2, 31, v0
	v_add_co_u32_e32 v0, vcc, s10, v0
	v_addc_co_u32_e32 v1, vcc, v1, v2, vcc
	s_cbranch_scc1 .LBB6_268
; %bb.259:
	s_cmp_gt_i32 s26, 25
	s_cbranch_scc0 .LBB6_281
; %bb.260:
	s_cmp_gt_i32 s26, 28
	s_cbranch_scc0 .LBB6_283
; %bb.261:
	s_cmp_gt_i32 s26, 43
	s_cbranch_scc0 .LBB6_285
; %bb.262:
	s_cmp_gt_i32 s26, 45
	s_cbranch_scc0 .LBB6_289
; %bb.263:
	s_cmp_eq_u32 s26, 46
	s_mov_b64 s[20:21], 0
	s_cbranch_scc0 .LBB6_293
; %bb.264:
	global_load_dword v2, v[0:1], off
	s_mov_b64 s[18:19], 0
	s_waitcnt vmcnt(0)
	v_lshlrev_b32_e32 v2, 16, v2
	v_cvt_f64_f32_e32 v[2:3], v2
	s_branch .LBB6_294
.LBB6_265:
	s_or_b64 exec, exec, s[16:17]
	s_mov_b64 s[16:17], 0
	s_and_saveexec_b64 s[18:19], s[14:15]
	s_cbranch_execnz .LBB6_871
.LBB6_266:
	s_or_b64 exec, exec, s[18:19]
	s_and_saveexec_b64 s[14:15], s[20:21]
	s_xor_b64 s[14:15], exec, s[14:15]
	s_cbranch_execz .LBB6_872
.LBB6_267:
	global_load_ubyte v3, v[0:1], off
	v_mov_b32_e32 v4, 0x3ff00000
	s_waitcnt vmcnt(1)
	v_mov_b32_e32 v2, 0
	s_or_b64 s[0:1], s[0:1], exec
	s_waitcnt vmcnt(0)
	v_cmp_ne_u16_e32 vcc, 0, v3
	v_cndmask_b32_e32 v3, 0, v4, vcc
	s_or_b64 exec, exec, s[14:15]
	s_and_saveexec_b64 s[14:15], s[22:23]
	s_cbranch_execz .LBB6_918
	s_branch .LBB6_873
.LBB6_268:
	s_mov_b64 s[0:1], 0
                                        ; implicit-def: $vgpr2_vgpr3
	s_mov_b64 s[18:19], s[14:15]
	s_cbranch_execnz .LBB6_471
.LBB6_269:
	s_andn2_b64 vcc, exec, s[0:1]
	s_cbranch_vccnz .LBB6_519
.LBB6_270:
	s_mov_b32 s0, 0
	s_mov_b32 s1, 0x41d00000
	s_waitcnt vmcnt(0)
	v_cmp_nlt_f64_e64 s[0:1], |v[2:3]|, s[0:1]
                                        ; implicit-def: $vgpr6
                                        ; implicit-def: $vgpr0_vgpr1
                                        ; implicit-def: $vgpr4_vgpr5
	s_and_saveexec_b64 s[20:21], s[0:1]
	s_xor_b64 s[20:21], exec, s[20:21]
	s_cbranch_execz .LBB6_272
; %bb.271:
	v_trig_preop_f64 v[0:1], |v[2:3]|, 0
	s_mov_b32 s0, 0
	s_mov_b32 s1, 0x7b000000
	s_movk_i32 s24, 0xff80
	v_ldexp_f64 v[6:7], |v[2:3]|, s24
	v_cmp_ge_f64_e64 vcc, |v[2:3]|, s[0:1]
	v_trig_preop_f64 v[4:5], |v[2:3]|, 1
	v_and_b32_e32 v8, 0x7fffffff, v3
	v_trig_preop_f64 v[14:15], |v[2:3]|, 2
	s_mov_b32 s0, 0
	s_mov_b32 s1, 0x7ff00000
	v_mov_b32_e32 v26, 0x40100000
	v_mov_b32_e32 v25, 0
	v_cndmask_b32_e32 v7, v8, v7, vcc
	v_cndmask_b32_e32 v6, v2, v6, vcc
	s_mov_b32 s24, 0x33145c07
	v_mul_f64 v[8:9], v[0:1], v[6:7]
	s_mov_b32 s25, 0x3c91a626
	v_mul_f64 v[10:11], v[4:5], v[6:7]
	v_mul_f64 v[20:21], v[14:15], v[6:7]
	v_fma_f64 v[0:1], v[0:1], v[6:7], -v[8:9]
	v_fma_f64 v[4:5], v[4:5], v[6:7], -v[10:11]
	;; [unrolled: 1-line block ×3, first 2 shown]
	v_add_f64 v[12:13], v[10:11], v[0:1]
	v_add_f64 v[16:17], v[12:13], -v[10:11]
	v_add_f64 v[22:23], v[8:9], v[12:13]
	v_add_f64 v[18:19], v[12:13], -v[16:17]
	v_add_f64 v[0:1], v[0:1], -v[16:17]
	v_add_f64 v[16:17], v[20:21], v[4:5]
	v_add_f64 v[8:9], v[22:23], -v[8:9]
	v_add_f64 v[10:11], v[10:11], -v[18:19]
	v_ldexp_f64 v[18:19], v[22:23], -2
	v_add_f64 v[27:28], v[16:17], -v[20:21]
	v_add_f64 v[8:9], v[12:13], -v[8:9]
	v_add_f64 v[0:1], v[0:1], v[10:11]
	v_fract_f64_e32 v[10:11], v[18:19]
	v_cmp_neq_f64_e64 vcc, |v[18:19]|, s[0:1]
	v_add_f64 v[4:5], v[4:5], -v[27:28]
	v_add_f64 v[12:13], v[16:17], v[0:1]
	v_ldexp_f64 v[10:11], v[10:11], 2
	v_add_f64 v[18:19], v[8:9], v[12:13]
	v_cndmask_b32_e32 v11, 0, v11, vcc
	v_cndmask_b32_e32 v10, 0, v10, vcc
	v_add_f64 v[29:30], v[12:13], -v[16:17]
	v_add_f64 v[22:23], v[18:19], v[10:11]
	v_add_f64 v[8:9], v[18:19], -v[8:9]
	v_add_f64 v[31:32], v[12:13], -v[29:30]
	v_add_f64 v[0:1], v[0:1], -v[29:30]
	v_cmp_gt_f64_e32 vcc, 0, v[22:23]
	v_add_f64 v[22:23], v[16:17], -v[27:28]
	v_add_f64 v[8:9], v[12:13], -v[8:9]
	;; [unrolled: 1-line block ×3, first 2 shown]
	v_cndmask_b32_e32 v26, 0, v26, vcc
	v_add_f64 v[10:11], v[10:11], v[25:26]
	v_add_f64 v[22:23], v[20:21], -v[22:23]
	v_add_f64 v[0:1], v[0:1], v[16:17]
	v_add_f64 v[33:34], v[18:19], v[10:11]
	;; [unrolled: 1-line block ×3, first 2 shown]
	v_cvt_i32_f64_e32 v28, v[33:34]
	v_add_f64 v[0:1], v[4:5], v[0:1]
	v_cvt_f64_i32_e32 v[26:27], v28
	v_add_f64 v[10:11], v[10:11], -v[26:27]
	v_add_f64 v[0:1], v[6:7], v[0:1]
	v_add_f64 v[4:5], v[18:19], v[10:11]
	;; [unrolled: 1-line block ×3, first 2 shown]
	v_mov_b32_e32 v9, 0x3ff00000
	v_add_f64 v[6:7], v[4:5], -v[10:11]
	v_cmp_le_f64_e32 vcc, 0.5, v[4:5]
	v_add_f64 v[7:8], v[18:19], -v[6:7]
	v_cndmask_b32_e32 v26, 0, v9, vcc
	v_add_f64 v[4:5], v[4:5], -v[25:26]
	v_addc_co_u32_e64 v6, s[0:1], 0, v28, vcc
	s_mov_b32 s0, 0x54442d18
	s_mov_b32 s1, 0x3ff921fb
	v_add_f64 v[0:1], v[0:1], v[7:8]
	v_add_f64 v[7:8], v[4:5], v[0:1]
	v_mul_f64 v[9:10], v[7:8], s[0:1]
	v_add_f64 v[4:5], v[7:8], -v[4:5]
	v_fma_f64 v[11:12], v[7:8], s[0:1], -v[9:10]
	v_add_f64 v[0:1], v[0:1], -v[4:5]
	v_fma_f64 v[4:5], v[7:8], s[24:25], v[11:12]
	v_fma_f64 v[4:5], v[0:1], s[0:1], v[4:5]
	v_add_f64 v[0:1], v[9:10], v[4:5]
	v_add_f64 v[7:8], v[0:1], -v[9:10]
	v_add_f64 v[4:5], v[4:5], -v[7:8]
.LBB6_272:
	s_andn2_saveexec_b64 s[0:1], s[20:21]
	s_cbranch_execz .LBB6_274
; %bb.273:
	s_mov_b32 s20, 0x6dc9c883
	s_mov_b32 s21, 0x3fe45f30
	v_mul_f64 v[0:1], |v[2:3]|, s[20:21]
	s_mov_b32 s20, 0x54442d18
	s_mov_b32 s21, 0xbff921fb
	;; [unrolled: 1-line block ×4, first 2 shown]
	v_rndne_f64_e32 v[6:7], v[0:1]
	v_fma_f64 v[0:1], v[6:7], s[20:21], |v[2:3]|
	v_mul_f64 v[4:5], v[6:7], s[24:25]
	s_mov_b32 s20, 0x252049c0
	s_mov_b32 s21, 0xb97b839a
	v_fma_f64 v[12:13], v[6:7], s[24:25], v[0:1]
	v_add_f64 v[8:9], v[0:1], v[4:5]
	s_mov_b32 s25, 0x3c91a626
	v_add_f64 v[10:11], v[0:1], -v[8:9]
	v_add_f64 v[8:9], v[8:9], -v[12:13]
	v_add_f64 v[0:1], v[10:11], v[4:5]
	v_fma_f64 v[4:5], v[6:7], s[24:25], v[4:5]
	v_add_f64 v[0:1], v[8:9], v[0:1]
	v_add_f64 v[0:1], v[0:1], -v[4:5]
	v_fma_f64 v[4:5], v[6:7], s[20:21], v[0:1]
	v_cvt_i32_f64_e32 v6, v[6:7]
	v_add_f64 v[0:1], v[12:13], v[4:5]
	v_add_f64 v[8:9], v[0:1], -v[12:13]
	v_add_f64 v[4:5], v[4:5], -v[8:9]
.LBB6_274:
	s_or_b64 exec, exec, s[0:1]
	v_mul_f64 v[7:8], v[0:1], v[0:1]
	s_mov_b32 s0, 0xf9a43bb8
	v_mov_b32_e32 v10, 0xb42fdfa7
	v_mov_b32_e32 v11, 0xbe5ae600
	s_mov_b32 s1, 0x3de5e0b2
	s_mov_b32 s20, 0x796cde01
	v_mov_b32_e32 v9, 0x9037ab78
	s_mov_b32 s21, 0x3ec71de3
	v_fma_f64 v[11:12], v[7:8], s[0:1], v[10:11]
	s_mov_b32 s0, 0x46cc5e42
	v_mov_b32_e32 v10, 0x3e21eeb6
	s_mov_b32 s1, 0xbda907db
	v_fma_f64 v[9:10], v[7:8], s[0:1], v[9:10]
	v_mul_f64 v[13:14], v[7:8], 0.5
	s_mov_b32 s0, 0xa17f65f6
	s_mov_b32 s24, 0x19e83e5c
	v_fma_f64 v[11:12], v[7:8], v[11:12], s[20:21]
	s_mov_b32 s1, 0xbe927e4f
	s_mov_b32 s25, 0xbf2a01a0
	;; [unrolled: 1-line block ×3, first 2 shown]
	v_fma_f64 v[9:10], v[7:8], v[9:10], s[0:1]
	v_add_f64 v[15:16], -v[13:14], 1.0
	s_mov_b32 s0, 0x11110bb3
	s_mov_b32 s21, 0x3efa01a0
	v_fma_f64 v[11:12], v[7:8], v[11:12], s[24:25]
	s_mov_b32 s1, 0x3f811111
	v_mul_f64 v[17:18], v[4:5], 0.5
	v_mul_f64 v[19:20], v[0:1], -v[7:8]
	v_fma_f64 v[9:10], v[7:8], v[9:10], s[20:21]
	v_add_f64 v[21:22], -v[15:16], 1.0
	s_and_b32 s28, s33, 0xff
	s_cmp_lt_i32 s28, 11
	v_fma_f64 v[11:12], v[7:8], v[11:12], s[0:1]
	s_mov_b32 s0, 0x16c16967
	s_mov_b32 s1, 0xbf56c16c
	v_fma_f64 v[9:10], v[7:8], v[9:10], s[0:1]
	v_add_f64 v[13:14], v[21:22], -v[13:14]
	s_mov_b32 s1, 0x3fa55555
	s_mov_b32 s0, 0x55555555
	v_fma_f64 v[11:12], v[19:20], v[11:12], v[17:18]
	v_mul_f64 v[17:18], v[7:8], v[7:8]
	v_fma_f64 v[9:10], v[7:8], v[9:10], s[0:1]
	v_fma_f64 v[13:14], v[0:1], -v[4:5], v[13:14]
	s_mov_b32 s1, 0xbfc55555
	v_fma_f64 v[4:5], v[7:8], v[11:12], -v[4:5]
	v_fma_f64 v[7:8], v[17:18], v[9:10], v[13:14]
	v_and_b32_e32 v9, 1, v6
	v_cmp_eq_u32_e32 vcc, 0, v9
	v_fma_f64 v[4:5], v[19:20], s[0:1], v[4:5]
	s_movk_i32 s0, 0x1f8
	v_cmp_class_f64_e64 s[0:1], v[2:3], s0
	v_mov_b32_e32 v10, s9
	v_add_f64 v[7:8], v[15:16], v[7:8]
	v_add_f64 v[0:1], v[0:1], -v[4:5]
	v_lshlrev_b32_e32 v4, 30, v6
	v_mul_lo_u32 v6, v24, s2
	v_xor_b32_e32 v2, v4, v3
	v_and_b32_e32 v2, 0x80000000, v2
	v_mov_b32_e32 v5, 0x7ff80000
	v_ashrrev_i32_e32 v3, 31, v6
	v_cndmask_b32_e32 v1, v8, v1, vcc
	v_cndmask_b32_e32 v0, v7, v0, vcc
	v_xor_b32_e32 v1, v1, v2
	v_add_co_u32_e32 v4, vcc, s8, v6
	v_cndmask_b32_e64 v0, 0, v0, s[0:1]
	v_cndmask_b32_e64 v1, v5, v1, s[0:1]
	v_addc_co_u32_e32 v5, vcc, v10, v3, vcc
	s_cbranch_scc1 .LBB6_282
; %bb.275:
	s_and_b32 s29, 0xffff, s28
	s_cmp_gt_i32 s29, 25
	s_cbranch_scc0 .LBB6_284
; %bb.276:
	s_cmp_gt_i32 s29, 28
	s_cbranch_scc0 .LBB6_286
; %bb.277:
	;; [unrolled: 3-line block ×4, first 2 shown]
	s_mov_b64 s[24:25], 0
	s_mov_b64 s[0:1], -1
	s_cmp_eq_u32 s29, 46
	s_mov_b64 s[20:21], 0
	s_cbranch_scc0 .LBB6_298
; %bb.280:
	v_cvt_f32_f64_e32 v2, v[0:1]
	s_movk_i32 s0, 0x7fff
	v_mov_b32_e32 v3, 0x7fc0
	s_mov_b64 s[20:21], -1
	v_bfe_u32 v6, v2, 16, 1
	v_cmp_o_f32_e32 vcc, v2, v2
	v_add3_u32 v2, v2, v6, s0
	v_cndmask_b32_sdwa v2, v3, v2, vcc dst_sel:DWORD dst_unused:UNUSED_PAD src0_sel:DWORD src1_sel:WORD_1
	global_store_dword v[4:5], v2, off
	s_mov_b64 s[0:1], 0
	s_branch .LBB6_298
.LBB6_281:
	s_mov_b64 s[20:21], -1
	s_mov_b64 s[0:1], 0
	s_mov_b64 s[18:19], s[14:15]
                                        ; implicit-def: $vgpr2_vgpr3
	s_branch .LBB6_437
.LBB6_282:
	s_mov_b64 s[24:25], -1
	s_mov_b64 s[20:21], 0
	s_mov_b64 s[0:1], s[6:7]
	s_branch .LBB6_367
.LBB6_283:
	s_mov_b64 s[20:21], -1
	s_mov_b64 s[0:1], 0
	s_mov_b64 s[18:19], s[14:15]
                                        ; implicit-def: $vgpr2_vgpr3
	s_branch .LBB6_416
.LBB6_284:
	s_mov_b64 s[24:25], -1
	s_mov_b64 s[20:21], 0
	s_mov_b64 s[0:1], s[6:7]
	s_branch .LBB6_325
.LBB6_285:
	s_mov_b64 s[20:21], -1
	s_mov_b64 s[0:1], 0
	s_mov_b64 s[18:19], s[14:15]
                                        ; implicit-def: $vgpr2_vgpr3
	s_branch .LBB6_411
.LBB6_286:
	s_mov_b64 s[24:25], -1
	s_mov_b64 s[20:21], 0
	s_mov_b64 s[0:1], s[6:7]
	s_branch .LBB6_308
.LBB6_287:
	s_andn2_saveexec_b64 s[22:23], s[22:23]
	s_cbranch_execz .LBB6_59
.LBB6_288:
	s_mov_b32 s26, 0x46000000
	v_add_f32_e64 v3, |v2|, s26
	v_and_b32_e32 v3, 0xff, v3
	v_cmp_ne_u32_e32 vcc, 0, v3
	s_andn2_b64 s[18:19], s[18:19], exec
	s_and_b64 s[26:27], vcc, exec
	s_or_b64 s[18:19], s[18:19], s[26:27]
	s_or_b64 exec, exec, s[22:23]
	v_mov_b32_e32 v6, 0
	s_and_saveexec_b64 s[22:23], s[18:19]
	s_cbranch_execnz .LBB6_60
	s_branch .LBB6_61
.LBB6_289:
	s_mov_b64 s[20:21], -1
	s_mov_b64 s[0:1], 0
	s_mov_b64 s[18:19], s[14:15]
                                        ; implicit-def: $vgpr2_vgpr3
	s_branch .LBB6_294
.LBB6_290:
	s_mov_b64 s[24:25], -1
	s_mov_b64 s[20:21], 0
	s_mov_b64 s[0:1], s[6:7]
	s_branch .LBB6_304
.LBB6_291:
	s_andn2_saveexec_b64 s[22:23], s[22:23]
	s_cbranch_execz .LBB6_72
.LBB6_292:
	s_mov_b32 s26, 0x42800000
	v_add_f32_e64 v3, |v2|, s26
	v_and_b32_e32 v3, 0xff, v3
	v_cmp_ne_u32_e32 vcc, 0, v3
	s_andn2_b64 s[18:19], s[18:19], exec
	s_and_b64 s[26:27], vcc, exec
	s_or_b64 s[18:19], s[18:19], s[26:27]
	s_or_b64 exec, exec, s[22:23]
	v_mov_b32_e32 v6, 0
	s_and_saveexec_b64 s[22:23], s[18:19]
	s_cbranch_execnz .LBB6_73
	s_branch .LBB6_74
.LBB6_293:
	s_mov_b64 s[18:19], -1
                                        ; implicit-def: $vgpr2_vgpr3
	s_mov_b64 s[0:1], 0
.LBB6_294:
	s_and_b64 vcc, exec, s[20:21]
	s_cbranch_vccz .LBB6_410
; %bb.295:
	s_cmp_eq_u32 s26, 44
	s_cbranch_scc0 .LBB6_409
; %bb.296:
	global_load_ubyte v4, v[0:1], off
	s_movk_i32 s18, 0xff
	v_bfrev_b32_e32 v5, 4
	v_mov_b32_e32 v6, 0x7ff80000
	v_bfrev_b32_e32 v7, 28
	s_mov_b64 s[0:1], -1
	s_waitcnt vmcnt(0)
	v_lshlrev_b32_e32 v2, 23, v4
	v_cvt_f64_f32_e32 v[2:3], v2
	v_cmp_ne_u32_e32 vcc, s18, v4
	s_mov_b64 s[18:19], 0
	v_cndmask_b32_e32 v2, v5, v2, vcc
	v_cndmask_b32_e32 v3, v6, v3, vcc
	v_cmp_ne_u32_e32 vcc, 0, v4
	v_cndmask_b32_e32 v3, v7, v3, vcc
	v_cndmask_b32_e32 v2, 0, v2, vcc
	s_branch .LBB6_410
.LBB6_297:
	s_mov_b64 s[24:25], -1
	s_mov_b64 s[20:21], 0
	s_mov_b64 s[0:1], s[6:7]
.LBB6_298:
	s_and_b64 vcc, exec, s[24:25]
	s_cbranch_vccz .LBB6_303
; %bb.299:
	s_cmp_eq_u32 s29, 44
	s_mov_b64 s[0:1], -1
	s_cbranch_scc0 .LBB6_303
; %bb.300:
	v_cvt_f32_f64_e32 v2, v[0:1]
	s_movk_i32 s0, 0xff
	v_mov_b32_e32 v6, 0xff
	v_bfe_u32 v3, v2, 23, 8
	v_cmp_ne_u32_e32 vcc, s0, v3
	s_and_saveexec_b64 s[20:21], vcc
; %bb.301:
	s_mov_b32 s0, 0x3fffff
	v_lshrrev_b32_e32 v6, 23, v2
	v_and_b32_e32 v7, 0x400000, v2
	v_and_or_b32 v2, v2, s0, v3
	v_cmp_ne_u32_e32 vcc, 0, v7
	v_cmp_ne_u32_e64 s[0:1], 0, v2
	s_and_b64 s[0:1], vcc, s[0:1]
	v_cndmask_b32_e64 v2, 0, 1, s[0:1]
	v_add_u32_e32 v6, v6, v2
; %bb.302:
	s_or_b64 exec, exec, s[20:21]
	s_mov_b64 s[20:21], -1
	s_mov_b64 s[0:1], 0
	global_store_byte v[4:5], v6, off
.LBB6_303:
	s_mov_b64 s[24:25], 0
.LBB6_304:
	s_and_b64 vcc, exec, s[24:25]
	s_cbranch_vccz .LBB6_307
; %bb.305:
	s_cmp_eq_u32 s29, 29
	s_mov_b64 s[0:1], -1
	s_cbranch_scc0 .LBB6_307
; %bb.306:
	v_trunc_f64_e32 v[2:3], v[0:1]
	s_movk_i32 s0, 0xffe0
	s_mov_b64 s[20:21], -1
	s_mov_b64 s[24:25], 0
	v_ldexp_f64 v[6:7], v[2:3], s0
	s_mov_b32 s0, 0
	s_mov_b32 s1, 0xc1f00000
	v_floor_f64_e32 v[6:7], v[6:7]
	v_fma_f64 v[2:3], v[6:7], s[0:1], v[2:3]
	v_cvt_u32_f64_e32 v7, v[6:7]
	s_mov_b64 s[0:1], 0
	v_cvt_u32_f64_e32 v6, v[2:3]
	global_store_dwordx2 v[4:5], v[6:7], off
	s_branch .LBB6_308
.LBB6_307:
	s_mov_b64 s[24:25], 0
.LBB6_308:
	s_and_b64 vcc, exec, s[24:25]
	s_cbranch_vccz .LBB6_324
; %bb.309:
	s_cmp_lt_i32 s29, 27
	s_mov_b64 s[20:21], -1
	s_cbranch_scc1 .LBB6_315
; %bb.310:
	v_cvt_u32_f64_e32 v2, v[0:1]
	s_cmp_gt_i32 s29, 27
	s_cbranch_scc0 .LBB6_312
; %bb.311:
	s_mov_b64 s[20:21], 0
	global_store_dword v[4:5], v2, off
.LBB6_312:
	s_andn2_b64 vcc, exec, s[20:21]
	s_cbranch_vccnz .LBB6_314
; %bb.313:
	global_store_short v[4:5], v2, off
.LBB6_314:
	s_mov_b64 s[20:21], 0
.LBB6_315:
	s_andn2_b64 vcc, exec, s[20:21]
	s_cbranch_vccnz .LBB6_323
; %bb.316:
	v_cvt_f32_f64_e32 v2, v[0:1]
	s_mov_b32 s20, 0x43800000
	v_mov_b32_e32 v6, 0x80
	v_and_b32_e32 v3, 0x7fffffff, v2
	v_cmp_gt_u32_e32 vcc, s20, v3
	s_and_saveexec_b64 s[20:21], vcc
	s_cbranch_execz .LBB6_322
; %bb.317:
	s_mov_b32 s24, 0x3bffffff
	v_cmp_lt_u32_e32 vcc, s24, v3
	s_mov_b64 s[24:25], 0
                                        ; implicit-def: $vgpr3
	s_and_saveexec_b64 s[26:27], vcc
	s_xor_b64 s[26:27], exec, s[26:27]
	s_cbranch_execz .LBB6_534
; %bb.318:
	v_bfe_u32 v3, v2, 20, 1
	s_mov_b32 s30, 0x487ffff
	v_add3_u32 v3, v2, v3, s30
	s_mov_b64 s[24:25], exec
	v_lshrrev_b32_e32 v3, 20, v3
	s_andn2_saveexec_b64 s[26:27], s[26:27]
	s_cbranch_execnz .LBB6_535
.LBB6_319:
	s_or_b64 exec, exec, s[26:27]
	v_mov_b32_e32 v6, 0
	s_and_saveexec_b64 s[26:27], s[24:25]
.LBB6_320:
	v_lshrrev_b32_e32 v2, 24, v2
	s_movk_i32 s24, 0x80
	v_and_or_b32 v6, v2, s24, v3
.LBB6_321:
	s_or_b64 exec, exec, s[26:27]
.LBB6_322:
	s_or_b64 exec, exec, s[20:21]
	global_store_byte v[4:5], v6, off
.LBB6_323:
	s_mov_b64 s[20:21], -1
.LBB6_324:
	s_mov_b64 s[24:25], 0
.LBB6_325:
	s_and_b64 vcc, exec, s[24:25]
	s_cbranch_vccz .LBB6_366
; %bb.326:
	s_cmp_gt_i32 s29, 22
	s_mov_b64 s[24:25], -1
	s_cbranch_scc0 .LBB6_358
; %bb.327:
	s_cmp_lt_i32 s29, 24
	s_mov_b64 s[20:21], -1
	s_cbranch_scc1 .LBB6_347
; %bb.328:
	s_cmp_gt_i32 s29, 24
	s_cbranch_scc0 .LBB6_336
; %bb.329:
	v_cvt_f32_f64_e32 v2, v[0:1]
	s_mov_b32 s20, 0x47800000
	v_mov_b32_e32 v6, 0x80
	v_and_b32_e32 v3, 0x7fffffff, v2
	v_cmp_gt_u32_e32 vcc, s20, v3
	s_and_saveexec_b64 s[20:21], vcc
	s_cbranch_execz .LBB6_335
; %bb.330:
	s_mov_b32 s24, 0x37ffffff
	v_cmp_lt_u32_e32 vcc, s24, v3
	s_mov_b64 s[24:25], 0
                                        ; implicit-def: $vgpr3
	s_and_saveexec_b64 s[26:27], vcc
	s_xor_b64 s[26:27], exec, s[26:27]
	s_cbranch_execz .LBB6_537
; %bb.331:
	v_bfe_u32 v3, v2, 21, 1
	s_mov_b32 s30, 0x88fffff
	v_add3_u32 v3, v2, v3, s30
	s_mov_b64 s[24:25], exec
	v_lshrrev_b32_e32 v3, 21, v3
	s_andn2_saveexec_b64 s[26:27], s[26:27]
	s_cbranch_execnz .LBB6_538
.LBB6_332:
	s_or_b64 exec, exec, s[26:27]
	v_mov_b32_e32 v6, 0
	s_and_saveexec_b64 s[26:27], s[24:25]
.LBB6_333:
	v_lshrrev_b32_e32 v2, 24, v2
	s_movk_i32 s24, 0x80
	v_and_or_b32 v6, v2, s24, v3
.LBB6_334:
	s_or_b64 exec, exec, s[26:27]
.LBB6_335:
	s_or_b64 exec, exec, s[20:21]
	s_mov_b64 s[20:21], 0
	global_store_byte v[4:5], v6, off
.LBB6_336:
	s_and_b64 vcc, exec, s[20:21]
	s_cbranch_vccz .LBB6_346
; %bb.337:
	v_cvt_f32_f64_e32 v2, v[0:1]
	s_mov_b32 s20, 0x43f00000
                                        ; implicit-def: $vgpr3
	v_and_b32_e32 v6, 0x7fffffff, v2
	v_cmp_gt_u32_e32 vcc, s20, v6
	s_and_saveexec_b64 s[20:21], vcc
	s_xor_b64 s[20:21], exec, s[20:21]
	s_cbranch_execz .LBB6_343
; %bb.338:
	s_mov_b32 s24, 0x3c7fffff
	v_cmp_lt_u32_e32 vcc, s24, v6
                                        ; implicit-def: $vgpr3
	s_and_saveexec_b64 s[24:25], vcc
	s_xor_b64 s[24:25], exec, s[24:25]
; %bb.339:
	v_bfe_u32 v3, v2, 20, 1
	s_mov_b32 s26, 0x407ffff
	v_add3_u32 v3, v2, v3, s26
	v_lshrrev_b32_e32 v6, 20, v3
	v_and_b32_e32 v3, 0xff00000, v3
	s_mov_b32 s26, 0x7f00000
	v_mov_b32_e32 v7, 0x7e
	v_cmp_ne_u32_e32 vcc, s26, v3
	v_cndmask_b32_e32 v3, v7, v6, vcc
; %bb.340:
	s_andn2_saveexec_b64 s[24:25], s[24:25]
; %bb.341:
	s_mov_b32 s26, 0x46800000
	v_add_f32_e64 v3, |v2|, s26
; %bb.342:
	s_or_b64 exec, exec, s[24:25]
                                        ; implicit-def: $vgpr6
.LBB6_343:
	s_andn2_saveexec_b64 s[20:21], s[20:21]
; %bb.344:
	s_mov_b32 s24, 0x7f800000
	v_mov_b32_e32 v3, 0x7e
	v_mov_b32_e32 v7, 0x7f
	v_cmp_lt_u32_e32 vcc, s24, v6
	v_cndmask_b32_e32 v3, v3, v7, vcc
; %bb.345:
	s_or_b64 exec, exec, s[20:21]
	v_lshrrev_b32_e32 v2, 24, v2
	s_movk_i32 s20, 0x80
	v_and_or_b32 v2, v2, s20, v3
	global_store_byte v[4:5], v2, off
.LBB6_346:
	s_mov_b64 s[20:21], 0
.LBB6_347:
	s_andn2_b64 vcc, exec, s[20:21]
	s_cbranch_vccnz .LBB6_357
; %bb.348:
	v_cvt_f32_f64_e32 v2, v[0:1]
	s_mov_b32 s20, 0x47800000
                                        ; implicit-def: $vgpr3
	v_and_b32_e32 v6, 0x7fffffff, v2
	v_cmp_gt_u32_e32 vcc, s20, v6
	s_and_saveexec_b64 s[20:21], vcc
	s_xor_b64 s[20:21], exec, s[20:21]
	s_cbranch_execz .LBB6_354
; %bb.349:
	s_mov_b32 s24, 0x387fffff
	v_cmp_lt_u32_e32 vcc, s24, v6
                                        ; implicit-def: $vgpr3
	s_and_saveexec_b64 s[24:25], vcc
	s_xor_b64 s[24:25], exec, s[24:25]
; %bb.350:
	v_bfe_u32 v3, v2, 21, 1
	s_mov_b32 s26, 0x80fffff
	v_add3_u32 v3, v2, v3, s26
	v_lshrrev_b32_e32 v3, 21, v3
; %bb.351:
	s_andn2_saveexec_b64 s[24:25], s[24:25]
; %bb.352:
	s_mov_b32 s26, 0x43000000
	v_add_f32_e64 v3, |v2|, s26
; %bb.353:
	s_or_b64 exec, exec, s[24:25]
                                        ; implicit-def: $vgpr6
.LBB6_354:
	s_andn2_saveexec_b64 s[20:21], s[20:21]
; %bb.355:
	s_mov_b32 s24, 0x7f800000
	v_mov_b32_e32 v3, 0x7c
	v_mov_b32_e32 v7, 0x7f
	v_cmp_lt_u32_e32 vcc, s24, v6
	v_cndmask_b32_e32 v3, v3, v7, vcc
; %bb.356:
	s_or_b64 exec, exec, s[20:21]
	v_lshrrev_b32_e32 v2, 24, v2
	s_movk_i32 s20, 0x80
	v_and_or_b32 v2, v2, s20, v3
	global_store_byte v[4:5], v2, off
.LBB6_357:
	s_mov_b64 s[24:25], 0
	s_mov_b64 s[20:21], -1
.LBB6_358:
	s_andn2_b64 vcc, exec, s[24:25]
	s_cbranch_vccnz .LBB6_366
; %bb.359:
	s_cmp_gt_i32 s29, 14
	s_mov_b64 s[24:25], -1
	s_cbranch_scc0 .LBB6_363
; %bb.360:
	s_cmp_eq_u32 s29, 15
	s_mov_b64 s[0:1], -1
	s_cbranch_scc0 .LBB6_362
; %bb.361:
	v_cvt_f32_f64_e32 v2, v[0:1]
	s_movk_i32 s0, 0x7fff
	v_mov_b32_e32 v3, 0x7fc0
	s_mov_b64 s[20:21], -1
	v_bfe_u32 v6, v2, 16, 1
	v_cmp_o_f32_e32 vcc, v2, v2
	v_add3_u32 v2, v2, v6, s0
	v_cndmask_b32_sdwa v2, v3, v2, vcc dst_sel:DWORD dst_unused:UNUSED_PAD src0_sel:DWORD src1_sel:WORD_1
	global_store_short v[4:5], v2, off
	s_mov_b64 s[0:1], 0
.LBB6_362:
	s_mov_b64 s[24:25], 0
.LBB6_363:
	s_and_b64 vcc, exec, s[24:25]
	s_cbranch_vccz .LBB6_366
; %bb.364:
	s_cmp_eq_u32 s29, 11
	s_mov_b64 s[0:1], -1
	s_cbranch_scc0 .LBB6_366
; %bb.365:
	v_cmp_neq_f64_e32 vcc, 0, v[0:1]
	s_mov_b64 s[0:1], 0
	s_mov_b64 s[20:21], -1
	v_cndmask_b32_e64 v2, 0, 1, vcc
	global_store_byte v[4:5], v2, off
.LBB6_366:
	s_mov_b64 s[24:25], 0
.LBB6_367:
	s_and_b64 vcc, exec, s[24:25]
	s_cbranch_vccz .LBB6_406
; %bb.368:
	s_and_b32 s24, 0xffff, s28
	s_cmp_lt_i32 s24, 5
	s_mov_b64 s[20:21], -1
	s_cbranch_scc1 .LBB6_389
; %bb.369:
	s_cmp_lt_i32 s24, 8
	s_cbranch_scc1 .LBB6_379
; %bb.370:
	s_cmp_lt_i32 s24, 9
	s_cbranch_scc1 .LBB6_376
; %bb.371:
	s_cmp_gt_i32 s24, 9
	s_cbranch_scc0 .LBB6_373
; %bb.372:
	v_mov_b32_e32 v2, 0
	v_mov_b32_e32 v3, v2
	s_mov_b64 s[20:21], 0
	global_store_dwordx4 v[4:5], v[0:3], off
.LBB6_373:
	s_andn2_b64 vcc, exec, s[20:21]
	s_cbranch_vccnz .LBB6_375
; %bb.374:
	v_cvt_f32_f64_e32 v2, v[0:1]
	v_mov_b32_e32 v3, 0
	global_store_dwordx2 v[4:5], v[2:3], off
.LBB6_375:
	s_mov_b64 s[20:21], 0
.LBB6_376:
	s_andn2_b64 vcc, exec, s[20:21]
	s_cbranch_vccnz .LBB6_378
; %bb.377:
	s_movk_i32 s20, 0x1ff
	v_and_or_b32 v2, v1, s20, v0
	v_cmp_ne_u32_e32 vcc, 0, v2
	v_cndmask_b32_e64 v2, 0, 1, vcc
	v_lshrrev_b32_e32 v3, 8, v1
	s_movk_i32 s20, 0xffe
	v_bfe_u32 v6, v1, 20, 11
	v_and_or_b32 v2, v3, s20, v2
	v_sub_u32_e32 v7, 0x3f1, v6
	v_or_b32_e32 v3, 0x1000, v2
	v_med3_i32 v7, v7, 0, 13
	v_lshrrev_b32_e32 v8, v7, v3
	v_lshlrev_b32_e32 v7, v7, v8
	v_cmp_ne_u32_e32 vcc, v7, v3
	v_cndmask_b32_e64 v3, 0, 1, vcc
	v_add_u32_e32 v6, 0xfffffc10, v6
	v_or_b32_e32 v3, v8, v3
	v_lshl_or_b32 v7, v6, 12, v2
	v_cmp_gt_i32_e32 vcc, 1, v6
	v_cndmask_b32_e32 v3, v7, v3, vcc
	v_and_b32_e32 v7, 7, v3
	v_cmp_lt_i32_e32 vcc, 5, v7
	v_cndmask_b32_e64 v8, 0, 1, vcc
	v_cmp_eq_u32_e32 vcc, 3, v7
	v_cndmask_b32_e64 v7, 0, 1, vcc
	v_or_b32_e32 v7, v7, v8
	v_lshrrev_b32_e32 v3, 2, v3
	v_add_u32_e32 v3, v3, v7
	v_mov_b32_e32 v7, 0x7c00
	v_cmp_gt_i32_e32 vcc, 31, v6
	v_cndmask_b32_e32 v3, v7, v3, vcc
	v_mov_b32_e32 v8, 0x7e00
	v_cmp_ne_u32_e32 vcc, 0, v2
	s_movk_i32 s20, 0x40f
	v_cndmask_b32_e32 v2, v7, v8, vcc
	v_cmp_eq_u32_e32 vcc, s20, v6
	v_cndmask_b32_e32 v2, v3, v2, vcc
	v_lshrrev_b32_e32 v3, 16, v1
	s_mov_b32 s20, 0x8000
	v_and_or_b32 v2, v3, s20, v2
	v_and_b32_e32 v2, 0xffff, v2
	global_store_dword v[4:5], v2, off
.LBB6_378:
	s_mov_b64 s[20:21], 0
.LBB6_379:
	s_andn2_b64 vcc, exec, s[20:21]
	s_cbranch_vccnz .LBB6_388
; %bb.380:
	s_cmp_lt_i32 s24, 6
	s_mov_b64 s[20:21], -1
	s_cbranch_scc1 .LBB6_386
; %bb.381:
	s_cmp_gt_i32 s24, 6
	s_cbranch_scc0 .LBB6_383
; %bb.382:
	s_mov_b64 s[20:21], 0
	global_store_dwordx2 v[4:5], v[0:1], off
.LBB6_383:
	s_andn2_b64 vcc, exec, s[20:21]
	s_cbranch_vccnz .LBB6_385
; %bb.384:
	v_cvt_f32_f64_e32 v2, v[0:1]
	global_store_dword v[4:5], v2, off
.LBB6_385:
	s_mov_b64 s[20:21], 0
.LBB6_386:
	s_andn2_b64 vcc, exec, s[20:21]
	s_cbranch_vccnz .LBB6_388
; %bb.387:
	s_movk_i32 s20, 0x1ff
	v_and_or_b32 v2, v1, s20, v0
	v_cmp_ne_u32_e32 vcc, 0, v2
	v_cndmask_b32_e64 v2, 0, 1, vcc
	v_lshrrev_b32_e32 v3, 8, v1
	s_movk_i32 s20, 0xffe
	v_bfe_u32 v6, v1, 20, 11
	v_and_or_b32 v2, v3, s20, v2
	v_sub_u32_e32 v7, 0x3f1, v6
	v_or_b32_e32 v3, 0x1000, v2
	v_med3_i32 v7, v7, 0, 13
	v_lshrrev_b32_e32 v8, v7, v3
	v_lshlrev_b32_e32 v7, v7, v8
	v_cmp_ne_u32_e32 vcc, v7, v3
	v_cndmask_b32_e64 v3, 0, 1, vcc
	v_add_u32_e32 v6, 0xfffffc10, v6
	v_or_b32_e32 v3, v8, v3
	v_lshl_or_b32 v7, v6, 12, v2
	v_cmp_gt_i32_e32 vcc, 1, v6
	v_cndmask_b32_e32 v3, v7, v3, vcc
	v_and_b32_e32 v7, 7, v3
	v_cmp_lt_i32_e32 vcc, 5, v7
	v_cndmask_b32_e64 v8, 0, 1, vcc
	v_cmp_eq_u32_e32 vcc, 3, v7
	v_cndmask_b32_e64 v7, 0, 1, vcc
	v_or_b32_e32 v7, v7, v8
	v_lshrrev_b32_e32 v3, 2, v3
	v_add_u32_e32 v3, v3, v7
	v_mov_b32_e32 v7, 0x7c00
	v_cmp_gt_i32_e32 vcc, 31, v6
	v_cndmask_b32_e32 v3, v7, v3, vcc
	v_mov_b32_e32 v8, 0x7e00
	v_cmp_ne_u32_e32 vcc, 0, v2
	s_movk_i32 s20, 0x40f
	v_cndmask_b32_e32 v2, v7, v8, vcc
	v_cmp_eq_u32_e32 vcc, s20, v6
	v_cndmask_b32_e32 v2, v3, v2, vcc
	v_lshrrev_b32_e32 v3, 16, v1
	s_mov_b32 s20, 0x8000
	v_and_or_b32 v2, v3, s20, v2
	global_store_short v[4:5], v2, off
.LBB6_388:
	s_mov_b64 s[20:21], 0
.LBB6_389:
	s_andn2_b64 vcc, exec, s[20:21]
	s_cbranch_vccnz .LBB6_405
; %bb.390:
	s_cmp_lt_i32 s24, 2
	s_mov_b64 s[20:21], -1
	s_cbranch_scc1 .LBB6_400
; %bb.391:
	s_cmp_lt_i32 s24, 3
	s_cbranch_scc1 .LBB6_397
; %bb.392:
	s_cmp_gt_i32 s24, 3
	s_cbranch_scc0 .LBB6_394
; %bb.393:
	v_trunc_f64_e32 v[2:3], v[0:1]
	s_movk_i32 s20, 0xffe0
	v_ldexp_f64 v[6:7], v[2:3], s20
	s_mov_b32 s20, 0
	s_mov_b32 s21, 0xc1f00000
	v_floor_f64_e32 v[6:7], v[6:7]
	v_fma_f64 v[2:3], v[6:7], s[20:21], v[2:3]
	v_cvt_i32_f64_e32 v7, v[6:7]
	s_mov_b64 s[20:21], 0
	v_cvt_u32_f64_e32 v6, v[2:3]
	global_store_dwordx2 v[4:5], v[6:7], off
.LBB6_394:
	s_andn2_b64 vcc, exec, s[20:21]
	s_cbranch_vccnz .LBB6_396
; %bb.395:
	v_cvt_i32_f64_e32 v2, v[0:1]
	global_store_dword v[4:5], v2, off
.LBB6_396:
	s_mov_b64 s[20:21], 0
.LBB6_397:
	s_andn2_b64 vcc, exec, s[20:21]
	s_cbranch_vccnz .LBB6_399
; %bb.398:
	v_cvt_i32_f64_e32 v2, v[0:1]
	global_store_short v[4:5], v2, off
.LBB6_399:
	s_mov_b64 s[20:21], 0
.LBB6_400:
	s_andn2_b64 vcc, exec, s[20:21]
	s_cbranch_vccnz .LBB6_405
; %bb.401:
	s_cmp_gt_i32 s24, 0
	s_mov_b64 s[20:21], -1
	s_cbranch_scc0 .LBB6_403
; %bb.402:
	v_cvt_i32_f64_e32 v2, v[0:1]
	s_mov_b64 s[20:21], 0
	global_store_byte v[4:5], v2, off
.LBB6_403:
	s_andn2_b64 vcc, exec, s[20:21]
	s_cbranch_vccnz .LBB6_405
; %bb.404:
	v_trunc_f64_e32 v[0:1], v[0:1]
	s_movk_i32 s20, 0xffe0
	v_ldexp_f64 v[2:3], v[0:1], s20
	s_mov_b32 s20, 0
	s_mov_b32 s21, 0xc1f00000
	v_floor_f64_e32 v[2:3], v[2:3]
	v_fma_f64 v[0:1], v[2:3], s[20:21], v[0:1]
	v_cvt_u32_f64_e32 v0, v[0:1]
	global_store_byte v[4:5], v0, off
.LBB6_405:
	s_mov_b64 s[20:21], -1
.LBB6_406:
	s_andn2_b64 vcc, exec, s[20:21]
	s_cbranch_vccnz .LBB6_408
; %bb.407:
	v_add_u32_e32 v24, 0x80, v24
	s_mov_b64 s[24:25], -1
	s_branch .LBB6_520
.LBB6_408:
	s_mov_b64 s[24:25], 0
                                        ; implicit-def: $vgpr24
	s_branch .LBB6_520
.LBB6_409:
	s_mov_b64 s[18:19], -1
                                        ; implicit-def: $vgpr2_vgpr3
.LBB6_410:
	s_mov_b64 s[20:21], 0
.LBB6_411:
	s_and_b64 vcc, exec, s[20:21]
	s_cbranch_vccz .LBB6_415
; %bb.412:
	s_cmp_eq_u32 s26, 29
	s_cbranch_scc0 .LBB6_414
; %bb.413:
	global_load_dwordx2 v[2:3], v[0:1], off
	s_mov_b64 s[0:1], -1
	s_mov_b64 s[18:19], 0
	s_mov_b64 s[20:21], 0
	s_waitcnt vmcnt(0)
	v_cvt_f64_u32_e32 v[3:4], v3
	v_cvt_f64_u32_e32 v[5:6], v2
	v_ldexp_f64 v[3:4], v[3:4], 32
	v_add_f64 v[2:3], v[3:4], v[5:6]
	s_branch .LBB6_416
.LBB6_414:
	s_mov_b64 s[18:19], -1
                                        ; implicit-def: $vgpr2_vgpr3
.LBB6_415:
	s_mov_b64 s[20:21], 0
.LBB6_416:
	s_and_b64 vcc, exec, s[20:21]
	s_cbranch_vccz .LBB6_436
; %bb.417:
	s_cmp_lt_i32 s26, 27
	s_cbranch_scc1 .LBB6_420
; %bb.418:
	s_cmp_gt_i32 s26, 27
	s_cbranch_scc0 .LBB6_421
; %bb.419:
	global_load_dword v2, v[0:1], off
	s_mov_b64 s[0:1], 0
	s_waitcnt vmcnt(0)
	v_cvt_f64_u32_e32 v[2:3], v2
	s_branch .LBB6_422
.LBB6_420:
	s_mov_b64 s[0:1], -1
                                        ; implicit-def: $vgpr2_vgpr3
	s_branch .LBB6_425
.LBB6_421:
	s_mov_b64 s[0:1], -1
                                        ; implicit-def: $vgpr2_vgpr3
.LBB6_422:
	s_andn2_b64 vcc, exec, s[0:1]
	s_cbranch_vccnz .LBB6_424
; %bb.423:
	global_load_ushort v2, v[0:1], off
	s_waitcnt vmcnt(0)
	v_cvt_f64_u32_e32 v[2:3], v2
.LBB6_424:
	s_mov_b64 s[0:1], 0
.LBB6_425:
	s_andn2_b64 vcc, exec, s[0:1]
	s_cbranch_vccnz .LBB6_435
; %bb.426:
	global_load_ubyte v4, v[0:1], off
	s_movk_i32 s0, 0x7f
	s_waitcnt vmcnt(0)
	v_cmp_lt_i16_e32 vcc, s0, v4
	s_mov_b64 s[0:1], 0
	s_and_saveexec_b64 s[20:21], vcc
	s_xor_b64 s[20:21], exec, s[20:21]
	s_cbranch_execz .LBB6_430
; %bb.427:
	s_movk_i32 s0, 0x80
	v_cmp_eq_u16_e32 vcc, s0, v4
	s_mov_b64 s[0:1], -1
	s_and_saveexec_b64 s[24:25], vcc
; %bb.428:
	s_xor_b64 s[0:1], exec, -1
; %bb.429:
	s_or_b64 exec, exec, s[24:25]
	s_and_b64 s[0:1], s[0:1], exec
.LBB6_430:
	s_or_saveexec_b64 s[20:21], s[20:21]
	v_bfrev_b32_e32 v2, 4
	v_mov_b32_e32 v3, 0x7ff80000
	s_xor_b64 exec, exec, s[20:21]
; %bb.431:
	v_cmp_ne_u16_e32 vcc, 0, v4
	v_mov_b32_e32 v2, 0
	s_andn2_b64 s[0:1], s[0:1], exec
	s_and_b64 s[24:25], vcc, exec
	v_mov_b32_e32 v3, 0
	s_or_b64 s[0:1], s[0:1], s[24:25]
; %bb.432:
	s_or_b64 exec, exec, s[20:21]
	s_and_saveexec_b64 s[20:21], s[0:1]
	s_cbranch_execz .LBB6_434
; %bb.433:
	v_and_b32_e32 v3, 0xffff, v4
	v_lshlrev_b32_e32 v2, 24, v4
	v_and_b32_e32 v4, 7, v3
	v_ffbh_u32_e32 v6, v4
	v_min_u32_e32 v6, 32, v6
	v_subrev_u32_e32 v7, 28, v6
	v_bfe_u32 v5, v3, 3, 4
	v_lshlrev_b32_e32 v3, v7, v3
	v_sub_u32_e32 v6, 29, v6
	v_and_b32_e32 v3, 7, v3
	v_cmp_eq_u32_e32 vcc, 0, v5
	v_cndmask_b32_e32 v5, v5, v6, vcc
	v_cndmask_b32_e32 v3, v4, v3, vcc
	v_mov_b32_e32 v4, 0x3b800000
	v_lshlrev_b32_e32 v3, 20, v3
	v_and_b32_e32 v2, 0x80000000, v2
	v_lshl_add_u32 v4, v5, 23, v4
	v_or3_b32 v2, v2, v4, v3
	v_cvt_f64_f32_e32 v[2:3], v2
.LBB6_434:
	s_or_b64 exec, exec, s[20:21]
.LBB6_435:
	s_mov_b64 s[0:1], -1
.LBB6_436:
	s_mov_b64 s[20:21], 0
.LBB6_437:
	s_and_b64 vcc, exec, s[20:21]
	s_cbranch_vccz .LBB6_470
; %bb.438:
	s_cmp_gt_i32 s26, 22
	s_cbranch_scc0 .LBB6_450
; %bb.439:
	s_cmp_lt_i32 s26, 24
	s_cbranch_scc1 .LBB6_451
; %bb.440:
	s_cmp_gt_i32 s26, 24
	s_cbranch_scc0 .LBB6_452
; %bb.441:
	global_load_ubyte v4, v[0:1], off
	s_movk_i32 s0, 0x7f
	s_waitcnt vmcnt(0)
	v_cmp_lt_i16_e32 vcc, s0, v4
	s_mov_b64 s[0:1], 0
	s_and_saveexec_b64 s[20:21], vcc
	s_xor_b64 s[20:21], exec, s[20:21]
	s_cbranch_execz .LBB6_445
; %bb.442:
	s_movk_i32 s0, 0x80
	v_cmp_eq_u16_e32 vcc, s0, v4
	s_mov_b64 s[0:1], -1
	s_and_saveexec_b64 s[24:25], vcc
; %bb.443:
	s_xor_b64 s[0:1], exec, -1
; %bb.444:
	s_or_b64 exec, exec, s[24:25]
	s_and_b64 s[0:1], s[0:1], exec
.LBB6_445:
	s_or_saveexec_b64 s[20:21], s[20:21]
	v_bfrev_b32_e32 v2, 4
	v_mov_b32_e32 v3, 0x7ff80000
	s_xor_b64 exec, exec, s[20:21]
; %bb.446:
	v_cmp_ne_u16_e32 vcc, 0, v4
	v_mov_b32_e32 v2, 0
	s_andn2_b64 s[0:1], s[0:1], exec
	s_and_b64 s[24:25], vcc, exec
	v_mov_b32_e32 v3, 0
	s_or_b64 s[0:1], s[0:1], s[24:25]
; %bb.447:
	s_or_b64 exec, exec, s[20:21]
	s_and_saveexec_b64 s[20:21], s[0:1]
	s_cbranch_execz .LBB6_449
; %bb.448:
	v_and_b32_e32 v3, 0xffff, v4
	v_lshlrev_b32_e32 v2, 24, v4
	v_and_b32_e32 v4, 3, v3
	v_ffbh_u32_e32 v6, v4
	v_min_u32_e32 v6, 32, v6
	v_subrev_u32_e32 v7, 29, v6
	v_bfe_u32 v5, v3, 2, 5
	v_lshlrev_b32_e32 v3, v7, v3
	v_sub_u32_e32 v6, 30, v6
	v_and_b32_e32 v3, 3, v3
	v_cmp_eq_u32_e32 vcc, 0, v5
	v_cndmask_b32_e32 v5, v5, v6, vcc
	v_cndmask_b32_e32 v3, v4, v3, vcc
	v_mov_b32_e32 v4, 0x37800000
	v_lshlrev_b32_e32 v3, 21, v3
	v_and_b32_e32 v2, 0x80000000, v2
	v_lshl_add_u32 v4, v5, 23, v4
	v_or3_b32 v2, v2, v4, v3
	v_cvt_f64_f32_e32 v[2:3], v2
.LBB6_449:
	s_or_b64 exec, exec, s[20:21]
	s_mov_b64 s[0:1], 0
	s_branch .LBB6_453
.LBB6_450:
	s_mov_b64 s[20:21], -1
                                        ; implicit-def: $vgpr2_vgpr3
	s_branch .LBB6_459
.LBB6_451:
	s_mov_b64 s[0:1], -1
                                        ; implicit-def: $vgpr2_vgpr3
	s_branch .LBB6_456
.LBB6_452:
	s_mov_b64 s[0:1], -1
                                        ; implicit-def: $vgpr2_vgpr3
.LBB6_453:
	s_and_b64 vcc, exec, s[0:1]
	s_cbranch_vccz .LBB6_455
; %bb.454:
	global_load_ubyte v2, v[0:1], off
	s_mov_b32 s0, 0x7f800000
	s_waitcnt vmcnt(0)
	v_lshlrev_b32_e32 v2, 24, v2
	v_and_b32_e32 v3, 0x7f000000, v2
	v_ffbh_u32_e32 v4, v3
	v_min_u32_e32 v4, 32, v4
	v_sub_u32_e64 v4, v4, 4 clamp
	v_lshlrev_b32_e32 v6, v4, v3
	v_lshlrev_b32_e32 v4, 23, v4
	v_lshrrev_b32_e32 v6, 4, v6
	v_add_u32_e32 v5, 0x1000000, v3
	v_sub_u32_e32 v4, v6, v4
	v_ashrrev_i32_e32 v5, 8, v5
	v_add_u32_e32 v4, 0x3c000000, v4
	v_and_or_b32 v4, v5, s0, v4
	v_cmp_ne_u32_e32 vcc, 0, v3
	v_cndmask_b32_e32 v3, 0, v4, vcc
	s_brev_b32 s0, 1
	v_and_or_b32 v2, v2, s0, v3
	v_cvt_f64_f32_e32 v[2:3], v2
.LBB6_455:
	s_mov_b64 s[0:1], 0
.LBB6_456:
	s_andn2_b64 vcc, exec, s[0:1]
	s_cbranch_vccnz .LBB6_458
; %bb.457:
	global_load_ubyte v2, v[0:1], off
	s_movk_i32 s0, 0x7f00
	s_brev_b32 s1, 16
	s_waitcnt vmcnt(0)
	v_lshlrev_b16_e32 v3, 8, v2
	v_lshlrev_b32_e32 v2, 25, v2
	v_lshrrev_b32_e32 v4, 4, v2
	v_and_or_b32 v5, v3, s0, 0.5
	v_or_b32_e32 v4, 0x70000000, v4
	v_add_f32_e32 v5, -0.5, v5
	v_mul_f32_e32 v4, 0x7800000, v4
	v_cmp_gt_u32_e32 vcc, s1, v2
	v_bfe_i32 v3, v3, 0, 16
	v_cndmask_b32_e32 v2, v4, v5, vcc
	s_brev_b32 s0, 1
	v_and_or_b32 v2, v3, s0, v2
	v_cvt_f64_f32_e32 v[2:3], v2
.LBB6_458:
	s_mov_b64 s[20:21], 0
	s_mov_b64 s[0:1], -1
.LBB6_459:
	s_andn2_b64 vcc, exec, s[20:21]
	s_cbranch_vccnz .LBB6_470
; %bb.460:
	s_cmp_gt_i32 s26, 14
	s_cbranch_scc0 .LBB6_463
; %bb.461:
	s_cmp_eq_u32 s26, 15
	s_cbranch_scc0 .LBB6_464
; %bb.462:
	global_load_ushort v2, v[0:1], off
	s_mov_b64 s[0:1], -1
	s_mov_b64 s[18:19], 0
	s_waitcnt vmcnt(0)
	v_lshlrev_b32_e32 v2, 16, v2
	v_cvt_f64_f32_e32 v[2:3], v2
	s_branch .LBB6_465
.LBB6_463:
	s_mov_b64 s[20:21], -1
                                        ; implicit-def: $vgpr2_vgpr3
	s_branch .LBB6_466
.LBB6_464:
	s_mov_b64 s[18:19], -1
                                        ; implicit-def: $vgpr2_vgpr3
.LBB6_465:
	s_mov_b64 s[20:21], 0
.LBB6_466:
	s_and_b64 vcc, exec, s[20:21]
	s_cbranch_vccz .LBB6_470
; %bb.467:
	s_cmp_eq_u32 s26, 11
	s_cbranch_scc0 .LBB6_469
; %bb.468:
	global_load_ubyte v3, v[0:1], off
	v_mov_b32_e32 v4, 0x3ff00000
	v_mov_b32_e32 v2, 0
	s_mov_b64 s[0:1], -1
	s_mov_b64 s[18:19], 0
	s_waitcnt vmcnt(0)
	v_cmp_ne_u16_e32 vcc, 0, v3
	v_cndmask_b32_e32 v3, 0, v4, vcc
	s_branch .LBB6_470
.LBB6_469:
	s_mov_b64 s[18:19], -1
                                        ; implicit-def: $vgpr2_vgpr3
.LBB6_470:
	s_branch .LBB6_269
.LBB6_471:
	s_cmp_lt_i32 s26, 5
	s_cbranch_scc1 .LBB6_476
; %bb.472:
	s_cmp_lt_i32 s26, 8
	s_cbranch_scc1 .LBB6_477
; %bb.473:
	;; [unrolled: 3-line block ×3, first 2 shown]
	s_cmp_gt_i32 s26, 9
	s_cbranch_scc0 .LBB6_479
; %bb.475:
	global_load_dwordx2 v[2:3], v[0:1], off
	s_mov_b64 s[0:1], 0
	s_branch .LBB6_480
.LBB6_476:
	s_mov_b64 s[0:1], -1
                                        ; implicit-def: $vgpr2_vgpr3
	s_branch .LBB6_498
.LBB6_477:
	s_mov_b64 s[0:1], -1
                                        ; implicit-def: $vgpr2_vgpr3
	s_branch .LBB6_486
.LBB6_478:
	s_mov_b64 s[0:1], -1
                                        ; implicit-def: $vgpr2_vgpr3
	s_branch .LBB6_483
.LBB6_479:
	s_mov_b64 s[0:1], -1
                                        ; implicit-def: $vgpr2_vgpr3
.LBB6_480:
	s_andn2_b64 vcc, exec, s[0:1]
	s_cbranch_vccnz .LBB6_482
; %bb.481:
	global_load_dword v2, v[0:1], off
	s_waitcnt vmcnt(0)
	v_cvt_f64_f32_e32 v[2:3], v2
.LBB6_482:
	s_mov_b64 s[0:1], 0
.LBB6_483:
	s_andn2_b64 vcc, exec, s[0:1]
	s_cbranch_vccnz .LBB6_485
; %bb.484:
	global_load_dword v2, v[0:1], off
	s_waitcnt vmcnt(0)
	v_cvt_f32_f16_e32 v2, v2
	v_cvt_f64_f32_e32 v[2:3], v2
.LBB6_485:
	s_mov_b64 s[0:1], 0
.LBB6_486:
	s_andn2_b64 vcc, exec, s[0:1]
	s_cbranch_vccnz .LBB6_497
; %bb.487:
	s_cmp_lt_i32 s26, 6
	s_cbranch_scc1 .LBB6_490
; %bb.488:
	s_cmp_gt_i32 s26, 6
	s_cbranch_scc0 .LBB6_491
; %bb.489:
	global_load_dwordx2 v[2:3], v[0:1], off
	s_mov_b64 s[0:1], 0
	s_branch .LBB6_492
.LBB6_490:
	s_mov_b64 s[0:1], -1
                                        ; implicit-def: $vgpr2_vgpr3
	s_branch .LBB6_495
.LBB6_491:
	s_mov_b64 s[0:1], -1
                                        ; implicit-def: $vgpr2_vgpr3
.LBB6_492:
	s_andn2_b64 vcc, exec, s[0:1]
	s_cbranch_vccnz .LBB6_494
; %bb.493:
	global_load_dword v2, v[0:1], off
	s_waitcnt vmcnt(0)
	v_cvt_f64_f32_e32 v[2:3], v2
.LBB6_494:
	s_mov_b64 s[0:1], 0
.LBB6_495:
	s_andn2_b64 vcc, exec, s[0:1]
	s_cbranch_vccnz .LBB6_497
; %bb.496:
	global_load_ushort v2, v[0:1], off
	s_waitcnt vmcnt(0)
	v_cvt_f32_f16_e32 v2, v2
	v_cvt_f64_f32_e32 v[2:3], v2
.LBB6_497:
	s_mov_b64 s[0:1], 0
.LBB6_498:
	s_andn2_b64 vcc, exec, s[0:1]
	s_cbranch_vccnz .LBB6_518
; %bb.499:
	s_cmp_lt_i32 s26, 2
	s_cbranch_scc1 .LBB6_503
; %bb.500:
	s_cmp_lt_i32 s26, 3
	s_cbranch_scc1 .LBB6_504
; %bb.501:
	s_cmp_gt_i32 s26, 3
	s_cbranch_scc0 .LBB6_505
; %bb.502:
	global_load_dwordx2 v[2:3], v[0:1], off
	s_mov_b64 s[0:1], 0
	s_waitcnt vmcnt(0)
	v_cvt_f64_i32_e32 v[3:4], v3
	v_cvt_f64_u32_e32 v[5:6], v2
	v_ldexp_f64 v[3:4], v[3:4], 32
	v_add_f64 v[2:3], v[3:4], v[5:6]
	s_branch .LBB6_506
.LBB6_503:
	s_mov_b64 s[0:1], -1
                                        ; implicit-def: $vgpr2_vgpr3
	s_branch .LBB6_512
.LBB6_504:
	s_mov_b64 s[0:1], -1
                                        ; implicit-def: $vgpr2_vgpr3
	s_branch .LBB6_509
.LBB6_505:
	s_mov_b64 s[0:1], -1
                                        ; implicit-def: $vgpr2_vgpr3
.LBB6_506:
	s_andn2_b64 vcc, exec, s[0:1]
	s_cbranch_vccnz .LBB6_508
; %bb.507:
	global_load_dword v2, v[0:1], off
	s_waitcnt vmcnt(0)
	v_cvt_f64_i32_e32 v[2:3], v2
.LBB6_508:
	s_mov_b64 s[0:1], 0
.LBB6_509:
	s_andn2_b64 vcc, exec, s[0:1]
	s_cbranch_vccnz .LBB6_511
; %bb.510:
	global_load_sshort v2, v[0:1], off
	s_waitcnt vmcnt(0)
	v_cvt_f64_i32_e32 v[2:3], v2
.LBB6_511:
	s_mov_b64 s[0:1], 0
.LBB6_512:
	s_andn2_b64 vcc, exec, s[0:1]
	s_cbranch_vccnz .LBB6_518
; %bb.513:
	s_cmp_gt_i32 s26, 0
	s_cbranch_scc0 .LBB6_515
; %bb.514:
	global_load_sbyte v2, v[0:1], off
	s_mov_b64 s[0:1], 0
	s_waitcnt vmcnt(0)
	v_cvt_f64_i32_e32 v[2:3], v2
	s_branch .LBB6_516
.LBB6_515:
	s_mov_b64 s[0:1], -1
                                        ; implicit-def: $vgpr2_vgpr3
.LBB6_516:
	s_andn2_b64 vcc, exec, s[0:1]
	s_cbranch_vccnz .LBB6_518
; %bb.517:
	global_load_ubyte v0, v[0:1], off
	s_waitcnt vmcnt(0)
	v_cvt_f64_u32_e32 v[2:3], v0
.LBB6_518:
	s_branch .LBB6_270
.LBB6_519:
	s_mov_b64 s[24:25], 0
                                        ; implicit-def: $vgpr24
	s_mov_b64 s[0:1], s[6:7]
.LBB6_520:
	s_andn2_b64 s[20:21], s[6:7], exec
	s_and_b64 s[0:1], s[0:1], exec
	s_or_b64 s[20:21], s[20:21], s[0:1]
	s_andn2_b64 s[0:1], s[14:15], exec
	s_and_b64 s[18:19], s[18:19], exec
	s_or_b64 s[18:19], s[0:1], s[18:19]
	s_orn2_b64 s[0:1], s[24:25], exec
.LBB6_521:
	s_or_b64 exec, exec, s[22:23]
	s_mov_b64 s[24:25], 0
	s_mov_b64 s[26:27], 0
	s_mov_b64 s[28:29], 0
                                        ; implicit-def: $vgpr0_vgpr1
                                        ; implicit-def: $vgpr2_vgpr3
	s_and_saveexec_b64 s[22:23], s[0:1]
	s_cbranch_execz .LBB6_870
; %bb.522:
	v_cmp_gt_i32_e32 vcc, s38, v24
	s_mov_b64 s[34:35], -1
	s_mov_b64 s[0:1], s[18:19]
	s_mov_b64 s[28:29], s[20:21]
	s_and_saveexec_b64 s[24:25], vcc
	s_cbranch_execz .LBB6_784
; %bb.523:
	v_mul_lo_u32 v0, v24, s3
	v_mov_b32_e32 v1, s11
	s_and_b32 s34, 0xffff, s42
	s_cmp_lt_i32 s34, 11
	s_waitcnt vmcnt(0)
	v_ashrrev_i32_e32 v2, 31, v0
	v_add_co_u32_e32 v0, vcc, s10, v0
	v_addc_co_u32_e32 v1, vcc, v1, v2, vcc
	s_cbranch_scc1 .LBB6_530
; %bb.524:
	s_cmp_gt_i32 s34, 25
	s_cbranch_scc0 .LBB6_531
; %bb.525:
	s_cmp_gt_i32 s34, 28
	s_cbranch_scc0 .LBB6_532
	;; [unrolled: 3-line block ×4, first 2 shown]
; %bb.528:
	s_cmp_eq_u32 s34, 46
	s_mov_b64 s[28:29], 0
	s_cbranch_scc0 .LBB6_539
; %bb.529:
	global_load_dword v2, v[0:1], off
	s_mov_b64 s[0:1], -1
	s_waitcnt vmcnt(0)
	v_lshlrev_b32_e32 v2, 16, v2
	v_cvt_f64_f32_e32 v[2:3], v2
	s_branch .LBB6_540
.LBB6_530:
	s_mov_b64 s[28:29], -1
	s_mov_b64 s[0:1], 0
                                        ; implicit-def: $vgpr2_vgpr3
	s_mov_b64 s[26:27], s[18:19]
	s_branch .LBB6_605
.LBB6_531:
	s_mov_b64 s[28:29], -1
	s_mov_b64 s[0:1], 0
	s_mov_b64 s[26:27], s[18:19]
                                        ; implicit-def: $vgpr2_vgpr3
	s_branch .LBB6_571
.LBB6_532:
	s_mov_b64 s[28:29], -1
	s_mov_b64 s[0:1], 0
	s_mov_b64 s[26:27], s[18:19]
                                        ; implicit-def: $vgpr2_vgpr3
	s_branch .LBB6_550
.LBB6_533:
	s_mov_b64 s[28:29], -1
	s_mov_b64 s[0:1], 0
	s_mov_b64 s[26:27], s[18:19]
                                        ; implicit-def: $vgpr2_vgpr3
	s_branch .LBB6_545
.LBB6_534:
	s_andn2_saveexec_b64 s[26:27], s[26:27]
	s_cbranch_execz .LBB6_319
.LBB6_535:
	s_mov_b32 s30, 0x46000000
	v_add_f32_e64 v3, |v2|, s30
	v_and_b32_e32 v3, 0xff, v3
	v_cmp_ne_u32_e32 vcc, 0, v3
	s_andn2_b64 s[24:25], s[24:25], exec
	s_and_b64 s[30:31], vcc, exec
	s_or_b64 s[24:25], s[24:25], s[30:31]
	s_or_b64 exec, exec, s[26:27]
	v_mov_b32_e32 v6, 0
	s_and_saveexec_b64 s[26:27], s[24:25]
	s_cbranch_execnz .LBB6_320
	s_branch .LBB6_321
.LBB6_536:
	s_mov_b64 s[28:29], -1
	s_mov_b64 s[0:1], 0
	s_mov_b64 s[26:27], s[18:19]
                                        ; implicit-def: $vgpr2_vgpr3
	s_branch .LBB6_540
.LBB6_537:
	s_andn2_saveexec_b64 s[26:27], s[26:27]
	s_cbranch_execz .LBB6_332
.LBB6_538:
	s_mov_b32 s30, 0x42800000
	v_add_f32_e64 v3, |v2|, s30
	v_and_b32_e32 v3, 0xff, v3
	v_cmp_ne_u32_e32 vcc, 0, v3
	s_andn2_b64 s[24:25], s[24:25], exec
	s_and_b64 s[30:31], vcc, exec
	s_or_b64 s[24:25], s[24:25], s[30:31]
	s_or_b64 exec, exec, s[26:27]
	v_mov_b32_e32 v6, 0
	s_and_saveexec_b64 s[26:27], s[24:25]
	s_cbranch_execnz .LBB6_333
	s_branch .LBB6_334
.LBB6_539:
	s_mov_b64 s[26:27], -1
                                        ; implicit-def: $vgpr2_vgpr3
	s_mov_b64 s[0:1], 0
.LBB6_540:
	s_and_b64 vcc, exec, s[28:29]
	s_cbranch_vccz .LBB6_544
; %bb.541:
	s_cmp_eq_u32 s34, 44
	s_cbranch_scc0 .LBB6_543
; %bb.542:
	global_load_ubyte v4, v[0:1], off
	s_movk_i32 s26, 0xff
	v_bfrev_b32_e32 v5, 4
	v_mov_b32_e32 v6, 0x7ff80000
	v_bfrev_b32_e32 v7, 28
	s_mov_b64 s[0:1], -1
	s_waitcnt vmcnt(0)
	v_lshlrev_b32_e32 v2, 23, v4
	v_cvt_f64_f32_e32 v[2:3], v2
	v_cmp_ne_u32_e32 vcc, s26, v4
	s_mov_b64 s[26:27], 0
	v_cndmask_b32_e32 v2, v5, v2, vcc
	v_cndmask_b32_e32 v3, v6, v3, vcc
	v_cmp_ne_u32_e32 vcc, 0, v4
	v_cndmask_b32_e32 v3, v7, v3, vcc
	v_cndmask_b32_e32 v2, 0, v2, vcc
	s_branch .LBB6_544
.LBB6_543:
	s_mov_b64 s[26:27], -1
                                        ; implicit-def: $vgpr2_vgpr3
.LBB6_544:
	s_mov_b64 s[28:29], 0
.LBB6_545:
	s_and_b64 vcc, exec, s[28:29]
	s_cbranch_vccz .LBB6_549
; %bb.546:
	s_cmp_eq_u32 s34, 29
	s_cbranch_scc0 .LBB6_548
; %bb.547:
	global_load_dwordx2 v[2:3], v[0:1], off
	s_mov_b64 s[0:1], -1
	s_mov_b64 s[26:27], 0
	s_mov_b64 s[28:29], 0
	s_waitcnt vmcnt(0)
	v_cvt_f64_u32_e32 v[3:4], v3
	v_cvt_f64_u32_e32 v[5:6], v2
	v_ldexp_f64 v[3:4], v[3:4], 32
	v_add_f64 v[2:3], v[3:4], v[5:6]
	s_branch .LBB6_550
.LBB6_548:
	s_mov_b64 s[26:27], -1
                                        ; implicit-def: $vgpr2_vgpr3
.LBB6_549:
	s_mov_b64 s[28:29], 0
.LBB6_550:
	s_and_b64 vcc, exec, s[28:29]
	s_cbranch_vccz .LBB6_570
; %bb.551:
	s_cmp_lt_i32 s34, 27
	s_cbranch_scc1 .LBB6_554
; %bb.552:
	s_cmp_gt_i32 s34, 27
	s_cbranch_scc0 .LBB6_555
; %bb.553:
	global_load_dword v2, v[0:1], off
	s_mov_b64 s[0:1], 0
	s_waitcnt vmcnt(0)
	v_cvt_f64_u32_e32 v[2:3], v2
	s_branch .LBB6_556
.LBB6_554:
	s_mov_b64 s[0:1], -1
                                        ; implicit-def: $vgpr2_vgpr3
	s_branch .LBB6_559
.LBB6_555:
	s_mov_b64 s[0:1], -1
                                        ; implicit-def: $vgpr2_vgpr3
.LBB6_556:
	s_andn2_b64 vcc, exec, s[0:1]
	s_cbranch_vccnz .LBB6_558
; %bb.557:
	global_load_ushort v2, v[0:1], off
	s_waitcnt vmcnt(0)
	v_cvt_f64_u32_e32 v[2:3], v2
.LBB6_558:
	s_mov_b64 s[0:1], 0
.LBB6_559:
	s_andn2_b64 vcc, exec, s[0:1]
	s_cbranch_vccnz .LBB6_569
; %bb.560:
	global_load_ubyte v4, v[0:1], off
	s_movk_i32 s0, 0x7f
	s_waitcnt vmcnt(0)
	v_cmp_lt_i16_e32 vcc, s0, v4
	s_mov_b64 s[0:1], 0
	s_and_saveexec_b64 s[28:29], vcc
	s_xor_b64 s[28:29], exec, s[28:29]
	s_cbranch_execz .LBB6_564
; %bb.561:
	s_movk_i32 s0, 0x80
	v_cmp_eq_u16_e32 vcc, s0, v4
	s_mov_b64 s[0:1], -1
	s_and_saveexec_b64 s[30:31], vcc
; %bb.562:
	s_xor_b64 s[0:1], exec, -1
; %bb.563:
	s_or_b64 exec, exec, s[30:31]
	s_and_b64 s[0:1], s[0:1], exec
.LBB6_564:
	s_or_saveexec_b64 s[28:29], s[28:29]
	v_bfrev_b32_e32 v2, 4
	v_mov_b32_e32 v3, 0x7ff80000
	s_xor_b64 exec, exec, s[28:29]
; %bb.565:
	v_cmp_ne_u16_e32 vcc, 0, v4
	v_mov_b32_e32 v2, 0
	s_andn2_b64 s[0:1], s[0:1], exec
	s_and_b64 s[30:31], vcc, exec
	v_mov_b32_e32 v3, 0
	s_or_b64 s[0:1], s[0:1], s[30:31]
; %bb.566:
	s_or_b64 exec, exec, s[28:29]
	s_and_saveexec_b64 s[28:29], s[0:1]
	s_cbranch_execz .LBB6_568
; %bb.567:
	v_and_b32_e32 v3, 0xffff, v4
	v_lshlrev_b32_e32 v2, 24, v4
	v_and_b32_e32 v4, 7, v3
	v_ffbh_u32_e32 v6, v4
	v_min_u32_e32 v6, 32, v6
	v_subrev_u32_e32 v7, 28, v6
	v_bfe_u32 v5, v3, 3, 4
	v_lshlrev_b32_e32 v3, v7, v3
	v_sub_u32_e32 v6, 29, v6
	v_and_b32_e32 v3, 7, v3
	v_cmp_eq_u32_e32 vcc, 0, v5
	v_cndmask_b32_e32 v5, v5, v6, vcc
	v_cndmask_b32_e32 v3, v4, v3, vcc
	v_mov_b32_e32 v4, 0x3b800000
	v_lshlrev_b32_e32 v3, 20, v3
	v_and_b32_e32 v2, 0x80000000, v2
	v_lshl_add_u32 v4, v5, 23, v4
	v_or3_b32 v2, v2, v4, v3
	v_cvt_f64_f32_e32 v[2:3], v2
.LBB6_568:
	s_or_b64 exec, exec, s[28:29]
.LBB6_569:
	s_mov_b64 s[0:1], -1
.LBB6_570:
	s_mov_b64 s[28:29], 0
.LBB6_571:
	s_and_b64 vcc, exec, s[28:29]
	s_cbranch_vccz .LBB6_604
; %bb.572:
	s_cmp_gt_i32 s34, 22
	s_cbranch_scc0 .LBB6_584
; %bb.573:
	s_cmp_lt_i32 s34, 24
	s_cbranch_scc1 .LBB6_585
; %bb.574:
	s_cmp_gt_i32 s34, 24
	s_cbranch_scc0 .LBB6_586
; %bb.575:
	global_load_ubyte v4, v[0:1], off
	s_movk_i32 s0, 0x7f
	s_waitcnt vmcnt(0)
	v_cmp_lt_i16_e32 vcc, s0, v4
	s_mov_b64 s[0:1], 0
	s_and_saveexec_b64 s[28:29], vcc
	s_xor_b64 s[28:29], exec, s[28:29]
	s_cbranch_execz .LBB6_579
; %bb.576:
	s_movk_i32 s0, 0x80
	v_cmp_eq_u16_e32 vcc, s0, v4
	s_mov_b64 s[0:1], -1
	s_and_saveexec_b64 s[30:31], vcc
; %bb.577:
	s_xor_b64 s[0:1], exec, -1
; %bb.578:
	s_or_b64 exec, exec, s[30:31]
	s_and_b64 s[0:1], s[0:1], exec
.LBB6_579:
	s_or_saveexec_b64 s[28:29], s[28:29]
	v_bfrev_b32_e32 v2, 4
	v_mov_b32_e32 v3, 0x7ff80000
	s_xor_b64 exec, exec, s[28:29]
; %bb.580:
	v_cmp_ne_u16_e32 vcc, 0, v4
	v_mov_b32_e32 v2, 0
	s_andn2_b64 s[0:1], s[0:1], exec
	s_and_b64 s[30:31], vcc, exec
	v_mov_b32_e32 v3, 0
	s_or_b64 s[0:1], s[0:1], s[30:31]
; %bb.581:
	s_or_b64 exec, exec, s[28:29]
	s_and_saveexec_b64 s[28:29], s[0:1]
	s_cbranch_execz .LBB6_583
; %bb.582:
	v_and_b32_e32 v3, 0xffff, v4
	v_lshlrev_b32_e32 v2, 24, v4
	v_and_b32_e32 v4, 3, v3
	v_ffbh_u32_e32 v6, v4
	v_min_u32_e32 v6, 32, v6
	v_subrev_u32_e32 v7, 29, v6
	v_bfe_u32 v5, v3, 2, 5
	v_lshlrev_b32_e32 v3, v7, v3
	v_sub_u32_e32 v6, 30, v6
	v_and_b32_e32 v3, 3, v3
	v_cmp_eq_u32_e32 vcc, 0, v5
	v_cndmask_b32_e32 v5, v5, v6, vcc
	v_cndmask_b32_e32 v3, v4, v3, vcc
	v_mov_b32_e32 v4, 0x37800000
	v_lshlrev_b32_e32 v3, 21, v3
	v_and_b32_e32 v2, 0x80000000, v2
	v_lshl_add_u32 v4, v5, 23, v4
	v_or3_b32 v2, v2, v4, v3
	v_cvt_f64_f32_e32 v[2:3], v2
.LBB6_583:
	s_or_b64 exec, exec, s[28:29]
	s_mov_b64 s[0:1], 0
	s_branch .LBB6_587
.LBB6_584:
	s_mov_b64 s[28:29], -1
                                        ; implicit-def: $vgpr2_vgpr3
	s_branch .LBB6_593
.LBB6_585:
	s_mov_b64 s[0:1], -1
                                        ; implicit-def: $vgpr2_vgpr3
	s_branch .LBB6_590
.LBB6_586:
	s_mov_b64 s[0:1], -1
                                        ; implicit-def: $vgpr2_vgpr3
.LBB6_587:
	s_and_b64 vcc, exec, s[0:1]
	s_cbranch_vccz .LBB6_589
; %bb.588:
	global_load_ubyte v2, v[0:1], off
	s_mov_b32 s0, 0x7f800000
	s_waitcnt vmcnt(0)
	v_lshlrev_b32_e32 v2, 24, v2
	v_and_b32_e32 v3, 0x7f000000, v2
	v_ffbh_u32_e32 v4, v3
	v_min_u32_e32 v4, 32, v4
	v_sub_u32_e64 v4, v4, 4 clamp
	v_lshlrev_b32_e32 v6, v4, v3
	v_lshlrev_b32_e32 v4, 23, v4
	v_lshrrev_b32_e32 v6, 4, v6
	v_add_u32_e32 v5, 0x1000000, v3
	v_sub_u32_e32 v4, v6, v4
	v_ashrrev_i32_e32 v5, 8, v5
	v_add_u32_e32 v4, 0x3c000000, v4
	v_and_or_b32 v4, v5, s0, v4
	v_cmp_ne_u32_e32 vcc, 0, v3
	v_cndmask_b32_e32 v3, 0, v4, vcc
	s_brev_b32 s0, 1
	v_and_or_b32 v2, v2, s0, v3
	v_cvt_f64_f32_e32 v[2:3], v2
.LBB6_589:
	s_mov_b64 s[0:1], 0
.LBB6_590:
	s_andn2_b64 vcc, exec, s[0:1]
	s_cbranch_vccnz .LBB6_592
; %bb.591:
	global_load_ubyte v2, v[0:1], off
	s_movk_i32 s0, 0x7f00
	s_brev_b32 s1, 16
	s_waitcnt vmcnt(0)
	v_lshlrev_b16_e32 v3, 8, v2
	v_lshlrev_b32_e32 v2, 25, v2
	v_lshrrev_b32_e32 v4, 4, v2
	v_and_or_b32 v5, v3, s0, 0.5
	v_or_b32_e32 v4, 0x70000000, v4
	v_add_f32_e32 v5, -0.5, v5
	v_mul_f32_e32 v4, 0x7800000, v4
	v_cmp_gt_u32_e32 vcc, s1, v2
	v_bfe_i32 v3, v3, 0, 16
	v_cndmask_b32_e32 v2, v4, v5, vcc
	s_brev_b32 s0, 1
	v_and_or_b32 v2, v3, s0, v2
	v_cvt_f64_f32_e32 v[2:3], v2
.LBB6_592:
	s_mov_b64 s[28:29], 0
	s_mov_b64 s[0:1], -1
.LBB6_593:
	s_andn2_b64 vcc, exec, s[28:29]
	s_cbranch_vccnz .LBB6_604
; %bb.594:
	s_cmp_gt_i32 s34, 14
	s_cbranch_scc0 .LBB6_597
; %bb.595:
	s_cmp_eq_u32 s34, 15
	s_cbranch_scc0 .LBB6_598
; %bb.596:
	global_load_ushort v2, v[0:1], off
	s_mov_b64 s[0:1], -1
	s_mov_b64 s[26:27], 0
	s_waitcnt vmcnt(0)
	v_lshlrev_b32_e32 v2, 16, v2
	v_cvt_f64_f32_e32 v[2:3], v2
	s_branch .LBB6_599
.LBB6_597:
	s_mov_b64 s[28:29], -1
                                        ; implicit-def: $vgpr2_vgpr3
	s_branch .LBB6_600
.LBB6_598:
	s_mov_b64 s[26:27], -1
                                        ; implicit-def: $vgpr2_vgpr3
.LBB6_599:
	s_mov_b64 s[28:29], 0
.LBB6_600:
	s_and_b64 vcc, exec, s[28:29]
	s_cbranch_vccz .LBB6_604
; %bb.601:
	s_cmp_eq_u32 s34, 11
	s_cbranch_scc0 .LBB6_603
; %bb.602:
	global_load_ubyte v3, v[0:1], off
	v_mov_b32_e32 v4, 0x3ff00000
	v_mov_b32_e32 v2, 0
	s_mov_b64 s[0:1], -1
	s_mov_b64 s[26:27], 0
	s_waitcnt vmcnt(0)
	v_cmp_ne_u16_e32 vcc, 0, v3
	v_cndmask_b32_e32 v3, 0, v4, vcc
	s_branch .LBB6_604
.LBB6_603:
	s_mov_b64 s[26:27], -1
                                        ; implicit-def: $vgpr2_vgpr3
.LBB6_604:
	s_mov_b64 s[28:29], 0
.LBB6_605:
	s_and_b64 vcc, exec, s[28:29]
	s_cbranch_vccz .LBB6_654
; %bb.606:
	s_cmp_lt_i32 s34, 5
	s_cbranch_scc1 .LBB6_611
; %bb.607:
	s_cmp_lt_i32 s34, 8
	s_cbranch_scc1 .LBB6_612
	;; [unrolled: 3-line block ×3, first 2 shown]
; %bb.609:
	s_cmp_gt_i32 s34, 9
	s_cbranch_scc0 .LBB6_614
; %bb.610:
	global_load_dwordx2 v[2:3], v[0:1], off
	s_mov_b64 s[0:1], 0
	s_branch .LBB6_615
.LBB6_611:
	s_mov_b64 s[0:1], -1
                                        ; implicit-def: $vgpr2_vgpr3
	s_branch .LBB6_633
.LBB6_612:
	s_mov_b64 s[0:1], -1
                                        ; implicit-def: $vgpr2_vgpr3
	s_branch .LBB6_621
.LBB6_613:
	s_mov_b64 s[0:1], -1
                                        ; implicit-def: $vgpr2_vgpr3
	s_branch .LBB6_618
.LBB6_614:
	s_mov_b64 s[0:1], -1
                                        ; implicit-def: $vgpr2_vgpr3
.LBB6_615:
	s_andn2_b64 vcc, exec, s[0:1]
	s_cbranch_vccnz .LBB6_617
; %bb.616:
	global_load_dword v2, v[0:1], off
	s_waitcnt vmcnt(0)
	v_cvt_f64_f32_e32 v[2:3], v2
.LBB6_617:
	s_mov_b64 s[0:1], 0
.LBB6_618:
	s_andn2_b64 vcc, exec, s[0:1]
	s_cbranch_vccnz .LBB6_620
; %bb.619:
	global_load_dword v2, v[0:1], off
	s_waitcnt vmcnt(0)
	v_cvt_f32_f16_e32 v2, v2
	v_cvt_f64_f32_e32 v[2:3], v2
.LBB6_620:
	s_mov_b64 s[0:1], 0
.LBB6_621:
	s_andn2_b64 vcc, exec, s[0:1]
	s_cbranch_vccnz .LBB6_632
; %bb.622:
	s_cmp_lt_i32 s34, 6
	s_cbranch_scc1 .LBB6_625
; %bb.623:
	s_cmp_gt_i32 s34, 6
	s_cbranch_scc0 .LBB6_626
; %bb.624:
	global_load_dwordx2 v[2:3], v[0:1], off
	s_mov_b64 s[0:1], 0
	s_branch .LBB6_627
.LBB6_625:
	s_mov_b64 s[0:1], -1
                                        ; implicit-def: $vgpr2_vgpr3
	s_branch .LBB6_630
.LBB6_626:
	s_mov_b64 s[0:1], -1
                                        ; implicit-def: $vgpr2_vgpr3
.LBB6_627:
	s_andn2_b64 vcc, exec, s[0:1]
	s_cbranch_vccnz .LBB6_629
; %bb.628:
	global_load_dword v2, v[0:1], off
	s_waitcnt vmcnt(0)
	v_cvt_f64_f32_e32 v[2:3], v2
.LBB6_629:
	s_mov_b64 s[0:1], 0
.LBB6_630:
	s_andn2_b64 vcc, exec, s[0:1]
	s_cbranch_vccnz .LBB6_632
; %bb.631:
	global_load_ushort v2, v[0:1], off
	s_waitcnt vmcnt(0)
	v_cvt_f32_f16_e32 v2, v2
	v_cvt_f64_f32_e32 v[2:3], v2
.LBB6_632:
	s_mov_b64 s[0:1], 0
.LBB6_633:
	s_andn2_b64 vcc, exec, s[0:1]
	s_cbranch_vccnz .LBB6_653
; %bb.634:
	s_cmp_lt_i32 s34, 2
	s_cbranch_scc1 .LBB6_638
; %bb.635:
	s_cmp_lt_i32 s34, 3
	s_cbranch_scc1 .LBB6_639
; %bb.636:
	s_cmp_gt_i32 s34, 3
	s_cbranch_scc0 .LBB6_640
; %bb.637:
	global_load_dwordx2 v[2:3], v[0:1], off
	s_mov_b64 s[0:1], 0
	s_waitcnt vmcnt(0)
	v_cvt_f64_i32_e32 v[3:4], v3
	v_cvt_f64_u32_e32 v[5:6], v2
	v_ldexp_f64 v[3:4], v[3:4], 32
	v_add_f64 v[2:3], v[3:4], v[5:6]
	s_branch .LBB6_641
.LBB6_638:
	s_mov_b64 s[0:1], -1
                                        ; implicit-def: $vgpr2_vgpr3
	s_branch .LBB6_647
.LBB6_639:
	s_mov_b64 s[0:1], -1
                                        ; implicit-def: $vgpr2_vgpr3
	s_branch .LBB6_644
.LBB6_640:
	s_mov_b64 s[0:1], -1
                                        ; implicit-def: $vgpr2_vgpr3
.LBB6_641:
	s_andn2_b64 vcc, exec, s[0:1]
	s_cbranch_vccnz .LBB6_643
; %bb.642:
	global_load_dword v2, v[0:1], off
	s_waitcnt vmcnt(0)
	v_cvt_f64_i32_e32 v[2:3], v2
.LBB6_643:
	s_mov_b64 s[0:1], 0
.LBB6_644:
	s_andn2_b64 vcc, exec, s[0:1]
	s_cbranch_vccnz .LBB6_646
; %bb.645:
	global_load_sshort v2, v[0:1], off
	s_waitcnt vmcnt(0)
	v_cvt_f64_i32_e32 v[2:3], v2
.LBB6_646:
	s_mov_b64 s[0:1], 0
.LBB6_647:
	s_andn2_b64 vcc, exec, s[0:1]
	s_cbranch_vccnz .LBB6_653
; %bb.648:
	s_cmp_gt_i32 s34, 0
	s_cbranch_scc0 .LBB6_650
; %bb.649:
	global_load_sbyte v2, v[0:1], off
	s_mov_b64 s[0:1], 0
	s_waitcnt vmcnt(0)
	v_cvt_f64_i32_e32 v[2:3], v2
	s_branch .LBB6_651
.LBB6_650:
	s_mov_b64 s[0:1], -1
                                        ; implicit-def: $vgpr2_vgpr3
.LBB6_651:
	s_andn2_b64 vcc, exec, s[0:1]
	s_cbranch_vccnz .LBB6_653
; %bb.652:
	global_load_ubyte v0, v[0:1], off
	s_waitcnt vmcnt(0)
	v_cvt_f64_u32_e32 v[2:3], v0
.LBB6_653:
	s_mov_b64 s[0:1], -1
.LBB6_654:
	s_andn2_b64 vcc, exec, s[0:1]
	s_cbranch_vccnz .LBB6_666
; %bb.655:
	s_mov_b32 s0, 0
	s_mov_b32 s1, 0x41d00000
	s_waitcnt vmcnt(0)
	v_cmp_nlt_f64_e64 s[0:1], |v[2:3]|, s[0:1]
                                        ; implicit-def: $vgpr6
                                        ; implicit-def: $vgpr0_vgpr1
                                        ; implicit-def: $vgpr4_vgpr5
	s_and_saveexec_b64 s[28:29], s[0:1]
	s_xor_b64 s[28:29], exec, s[28:29]
	s_cbranch_execz .LBB6_657
; %bb.656:
	v_trig_preop_f64 v[0:1], |v[2:3]|, 0
	s_mov_b32 s0, 0
	s_mov_b32 s1, 0x7b000000
	s_movk_i32 s30, 0xff80
	v_ldexp_f64 v[6:7], |v[2:3]|, s30
	v_cmp_ge_f64_e64 vcc, |v[2:3]|, s[0:1]
	v_trig_preop_f64 v[4:5], |v[2:3]|, 1
	v_and_b32_e32 v8, 0x7fffffff, v3
	v_trig_preop_f64 v[14:15], |v[2:3]|, 2
	s_mov_b32 s0, 0
	s_mov_b32 s1, 0x7ff00000
	v_mov_b32_e32 v26, 0x40100000
	v_mov_b32_e32 v25, 0
	v_cndmask_b32_e32 v7, v8, v7, vcc
	v_cndmask_b32_e32 v6, v2, v6, vcc
	s_mov_b32 s30, 0x33145c07
	v_mul_f64 v[8:9], v[0:1], v[6:7]
	s_mov_b32 s31, 0x3c91a626
	v_mul_f64 v[10:11], v[4:5], v[6:7]
	v_mul_f64 v[20:21], v[14:15], v[6:7]
	v_fma_f64 v[0:1], v[0:1], v[6:7], -v[8:9]
	v_fma_f64 v[4:5], v[4:5], v[6:7], -v[10:11]
	;; [unrolled: 1-line block ×3, first 2 shown]
	v_add_f64 v[12:13], v[10:11], v[0:1]
	v_add_f64 v[16:17], v[12:13], -v[10:11]
	v_add_f64 v[22:23], v[8:9], v[12:13]
	v_add_f64 v[18:19], v[12:13], -v[16:17]
	v_add_f64 v[0:1], v[0:1], -v[16:17]
	v_add_f64 v[16:17], v[20:21], v[4:5]
	v_add_f64 v[8:9], v[22:23], -v[8:9]
	v_add_f64 v[10:11], v[10:11], -v[18:19]
	v_ldexp_f64 v[18:19], v[22:23], -2
	v_add_f64 v[27:28], v[16:17], -v[20:21]
	v_add_f64 v[8:9], v[12:13], -v[8:9]
	v_add_f64 v[0:1], v[0:1], v[10:11]
	v_fract_f64_e32 v[10:11], v[18:19]
	v_cmp_neq_f64_e64 vcc, |v[18:19]|, s[0:1]
	v_add_f64 v[4:5], v[4:5], -v[27:28]
	v_add_f64 v[12:13], v[16:17], v[0:1]
	v_ldexp_f64 v[10:11], v[10:11], 2
	v_add_f64 v[18:19], v[8:9], v[12:13]
	v_cndmask_b32_e32 v11, 0, v11, vcc
	v_cndmask_b32_e32 v10, 0, v10, vcc
	v_add_f64 v[29:30], v[12:13], -v[16:17]
	v_add_f64 v[22:23], v[18:19], v[10:11]
	v_add_f64 v[8:9], v[18:19], -v[8:9]
	v_add_f64 v[31:32], v[12:13], -v[29:30]
	;; [unrolled: 1-line block ×3, first 2 shown]
	v_cmp_gt_f64_e32 vcc, 0, v[22:23]
	v_add_f64 v[22:23], v[16:17], -v[27:28]
	v_add_f64 v[8:9], v[12:13], -v[8:9]
	;; [unrolled: 1-line block ×3, first 2 shown]
	v_cndmask_b32_e32 v26, 0, v26, vcc
	v_add_f64 v[10:11], v[10:11], v[25:26]
	v_add_f64 v[22:23], v[20:21], -v[22:23]
	v_add_f64 v[0:1], v[0:1], v[16:17]
	v_add_f64 v[33:34], v[18:19], v[10:11]
	;; [unrolled: 1-line block ×3, first 2 shown]
	v_cvt_i32_f64_e32 v28, v[33:34]
	v_add_f64 v[0:1], v[4:5], v[0:1]
	v_cvt_f64_i32_e32 v[26:27], v28
	v_add_f64 v[10:11], v[10:11], -v[26:27]
	v_add_f64 v[0:1], v[6:7], v[0:1]
	v_add_f64 v[4:5], v[18:19], v[10:11]
	;; [unrolled: 1-line block ×3, first 2 shown]
	v_mov_b32_e32 v9, 0x3ff00000
	v_add_f64 v[6:7], v[4:5], -v[10:11]
	v_cmp_le_f64_e32 vcc, 0.5, v[4:5]
	v_add_f64 v[7:8], v[18:19], -v[6:7]
	v_cndmask_b32_e32 v26, 0, v9, vcc
	v_add_f64 v[4:5], v[4:5], -v[25:26]
	v_addc_co_u32_e64 v6, s[0:1], 0, v28, vcc
	s_mov_b32 s0, 0x54442d18
	s_mov_b32 s1, 0x3ff921fb
	v_add_f64 v[0:1], v[0:1], v[7:8]
	v_add_f64 v[7:8], v[4:5], v[0:1]
	v_mul_f64 v[9:10], v[7:8], s[0:1]
	v_add_f64 v[4:5], v[7:8], -v[4:5]
	v_fma_f64 v[11:12], v[7:8], s[0:1], -v[9:10]
	v_add_f64 v[0:1], v[0:1], -v[4:5]
	v_fma_f64 v[4:5], v[7:8], s[30:31], v[11:12]
	v_fma_f64 v[4:5], v[0:1], s[0:1], v[4:5]
	v_add_f64 v[0:1], v[9:10], v[4:5]
	v_add_f64 v[7:8], v[0:1], -v[9:10]
	v_add_f64 v[4:5], v[4:5], -v[7:8]
.LBB6_657:
	s_andn2_saveexec_b64 s[0:1], s[28:29]
	s_cbranch_execz .LBB6_659
; %bb.658:
	s_mov_b32 s28, 0x6dc9c883
	s_mov_b32 s29, 0x3fe45f30
	v_mul_f64 v[0:1], |v[2:3]|, s[28:29]
	s_mov_b32 s28, 0x54442d18
	s_mov_b32 s29, 0xbff921fb
	;; [unrolled: 1-line block ×4, first 2 shown]
	v_rndne_f64_e32 v[6:7], v[0:1]
	v_fma_f64 v[0:1], v[6:7], s[28:29], |v[2:3]|
	v_mul_f64 v[4:5], v[6:7], s[30:31]
	s_mov_b32 s28, 0x252049c0
	s_mov_b32 s29, 0xb97b839a
	v_fma_f64 v[12:13], v[6:7], s[30:31], v[0:1]
	v_add_f64 v[8:9], v[0:1], v[4:5]
	s_mov_b32 s31, 0x3c91a626
	v_add_f64 v[10:11], v[0:1], -v[8:9]
	v_add_f64 v[8:9], v[8:9], -v[12:13]
	v_add_f64 v[0:1], v[10:11], v[4:5]
	v_fma_f64 v[4:5], v[6:7], s[30:31], v[4:5]
	v_add_f64 v[0:1], v[8:9], v[0:1]
	v_add_f64 v[0:1], v[0:1], -v[4:5]
	v_fma_f64 v[4:5], v[6:7], s[28:29], v[0:1]
	v_cvt_i32_f64_e32 v6, v[6:7]
	v_add_f64 v[0:1], v[12:13], v[4:5]
	v_add_f64 v[8:9], v[0:1], -v[12:13]
	v_add_f64 v[4:5], v[4:5], -v[8:9]
.LBB6_659:
	s_or_b64 exec, exec, s[0:1]
	v_mul_f64 v[7:8], v[0:1], v[0:1]
	s_mov_b32 s0, 0xf9a43bb8
	v_mov_b32_e32 v10, 0xb42fdfa7
	v_mov_b32_e32 v11, 0xbe5ae600
	s_mov_b32 s1, 0x3de5e0b2
	s_mov_b32 s28, 0x796cde01
	v_mov_b32_e32 v9, 0x9037ab78
	s_mov_b32 s29, 0x3ec71de3
	v_fma_f64 v[11:12], v[7:8], s[0:1], v[10:11]
	s_mov_b32 s0, 0x46cc5e42
	v_mov_b32_e32 v10, 0x3e21eeb6
	s_mov_b32 s1, 0xbda907db
	v_fma_f64 v[9:10], v[7:8], s[0:1], v[9:10]
	v_mul_f64 v[13:14], v[7:8], 0.5
	s_mov_b32 s0, 0xa17f65f6
	s_mov_b32 s30, 0x19e83e5c
	v_fma_f64 v[11:12], v[7:8], v[11:12], s[28:29]
	s_mov_b32 s1, 0xbe927e4f
	s_mov_b32 s31, 0xbf2a01a0
	;; [unrolled: 1-line block ×3, first 2 shown]
	v_fma_f64 v[9:10], v[7:8], v[9:10], s[0:1]
	v_add_f64 v[15:16], -v[13:14], 1.0
	s_mov_b32 s0, 0x11110bb3
	s_mov_b32 s29, 0x3efa01a0
	v_fma_f64 v[11:12], v[7:8], v[11:12], s[30:31]
	s_mov_b32 s1, 0x3f811111
	v_mul_f64 v[17:18], v[4:5], 0.5
	v_mul_f64 v[19:20], v[0:1], -v[7:8]
	v_fma_f64 v[9:10], v[7:8], v[9:10], s[28:29]
	v_add_f64 v[21:22], -v[15:16], 1.0
	s_and_b32 s36, s33, 0xff
	s_cmp_lt_i32 s36, 11
	v_fma_f64 v[11:12], v[7:8], v[11:12], s[0:1]
	s_mov_b32 s0, 0x16c16967
	s_mov_b32 s1, 0xbf56c16c
	v_fma_f64 v[9:10], v[7:8], v[9:10], s[0:1]
	v_add_f64 v[13:14], v[21:22], -v[13:14]
	s_mov_b32 s1, 0x3fa55555
	s_mov_b32 s0, 0x55555555
	v_fma_f64 v[11:12], v[19:20], v[11:12], v[17:18]
	v_mul_f64 v[17:18], v[7:8], v[7:8]
	v_fma_f64 v[9:10], v[7:8], v[9:10], s[0:1]
	v_fma_f64 v[13:14], v[0:1], -v[4:5], v[13:14]
	s_mov_b32 s1, 0xbfc55555
	v_fma_f64 v[4:5], v[7:8], v[11:12], -v[4:5]
	v_fma_f64 v[7:8], v[17:18], v[9:10], v[13:14]
	v_and_b32_e32 v9, 1, v6
	v_cmp_eq_u32_e32 vcc, 0, v9
	v_fma_f64 v[4:5], v[19:20], s[0:1], v[4:5]
	s_movk_i32 s0, 0x1f8
	v_cmp_class_f64_e64 s[0:1], v[2:3], s0
	v_mov_b32_e32 v10, s9
	v_add_f64 v[7:8], v[15:16], v[7:8]
	v_add_f64 v[0:1], v[0:1], -v[4:5]
	v_lshlrev_b32_e32 v4, 30, v6
	v_mul_lo_u32 v6, v24, s2
	v_xor_b32_e32 v2, v4, v3
	v_and_b32_e32 v2, 0x80000000, v2
	v_mov_b32_e32 v5, 0x7ff80000
	v_ashrrev_i32_e32 v3, 31, v6
	v_cndmask_b32_e32 v1, v8, v1, vcc
	v_cndmask_b32_e32 v0, v7, v0, vcc
	v_xor_b32_e32 v1, v1, v2
	v_add_co_u32_e32 v4, vcc, s8, v6
	v_cndmask_b32_e64 v0, 0, v0, s[0:1]
	v_cndmask_b32_e64 v1, v5, v1, s[0:1]
	v_addc_co_u32_e32 v5, vcc, v10, v3, vcc
	s_cbranch_scc1 .LBB6_667
; %bb.660:
	s_and_b32 s37, 0xffff, s36
	s_cmp_gt_i32 s37, 25
	s_cbranch_scc0 .LBB6_668
; %bb.661:
	s_cmp_gt_i32 s37, 28
	s_cbranch_scc0 .LBB6_669
; %bb.662:
	;; [unrolled: 3-line block ×4, first 2 shown]
	s_mov_b64 s[30:31], 0
	s_mov_b64 s[0:1], -1
	s_cmp_eq_u32 s37, 46
	s_mov_b64 s[28:29], 0
	s_cbranch_scc0 .LBB6_672
; %bb.665:
	v_cvt_f32_f64_e32 v2, v[0:1]
	s_movk_i32 s0, 0x7fff
	v_mov_b32_e32 v3, 0x7fc0
	s_mov_b64 s[28:29], -1
	v_bfe_u32 v6, v2, 16, 1
	v_cmp_o_f32_e32 vcc, v2, v2
	v_add3_u32 v2, v2, v6, s0
	v_cndmask_b32_sdwa v2, v3, v2, vcc dst_sel:DWORD dst_unused:UNUSED_PAD src0_sel:DWORD src1_sel:WORD_1
	global_store_dword v[4:5], v2, off
	s_mov_b64 s[0:1], 0
	s_branch .LBB6_672
.LBB6_666:
	s_mov_b64 s[30:31], 0
                                        ; implicit-def: $vgpr24
	s_mov_b64 s[0:1], s[20:21]
	s_branch .LBB6_783
.LBB6_667:
	s_mov_b64 s[30:31], -1
	s_mov_b64 s[28:29], 0
	s_mov_b64 s[0:1], s[20:21]
	s_branch .LBB6_741
.LBB6_668:
	s_mov_b64 s[30:31], -1
	s_mov_b64 s[28:29], 0
	s_mov_b64 s[0:1], s[20:21]
	s_branch .LBB6_699
.LBB6_669:
	s_mov_b64 s[30:31], -1
	s_mov_b64 s[28:29], 0
	s_mov_b64 s[0:1], s[20:21]
	s_branch .LBB6_682
.LBB6_670:
	s_mov_b64 s[30:31], -1
	s_mov_b64 s[28:29], 0
	s_mov_b64 s[0:1], s[20:21]
	s_branch .LBB6_678
.LBB6_671:
	s_mov_b64 s[30:31], -1
	s_mov_b64 s[28:29], 0
	s_mov_b64 s[0:1], s[20:21]
.LBB6_672:
	s_and_b64 vcc, exec, s[30:31]
	s_cbranch_vccz .LBB6_677
; %bb.673:
	s_cmp_eq_u32 s37, 44
	s_mov_b64 s[0:1], -1
	s_cbranch_scc0 .LBB6_677
; %bb.674:
	v_cvt_f32_f64_e32 v2, v[0:1]
	s_movk_i32 s0, 0xff
	v_mov_b32_e32 v6, 0xff
	v_bfe_u32 v3, v2, 23, 8
	v_cmp_ne_u32_e32 vcc, s0, v3
	s_and_saveexec_b64 s[28:29], vcc
; %bb.675:
	s_mov_b32 s0, 0x3fffff
	v_lshrrev_b32_e32 v6, 23, v2
	v_and_b32_e32 v7, 0x400000, v2
	v_and_or_b32 v2, v2, s0, v3
	v_cmp_ne_u32_e32 vcc, 0, v7
	v_cmp_ne_u32_e64 s[0:1], 0, v2
	s_and_b64 s[0:1], vcc, s[0:1]
	v_cndmask_b32_e64 v2, 0, 1, s[0:1]
	v_add_u32_e32 v6, v6, v2
; %bb.676:
	s_or_b64 exec, exec, s[28:29]
	s_mov_b64 s[28:29], -1
	s_mov_b64 s[0:1], 0
	global_store_byte v[4:5], v6, off
.LBB6_677:
	s_mov_b64 s[30:31], 0
.LBB6_678:
	s_and_b64 vcc, exec, s[30:31]
	s_cbranch_vccz .LBB6_681
; %bb.679:
	s_cmp_eq_u32 s37, 29
	s_mov_b64 s[0:1], -1
	s_cbranch_scc0 .LBB6_681
; %bb.680:
	v_trunc_f64_e32 v[2:3], v[0:1]
	s_movk_i32 s0, 0xffe0
	s_mov_b64 s[28:29], -1
	s_mov_b64 s[30:31], 0
	v_ldexp_f64 v[6:7], v[2:3], s0
	s_mov_b32 s0, 0
	s_mov_b32 s1, 0xc1f00000
	v_floor_f64_e32 v[6:7], v[6:7]
	v_fma_f64 v[2:3], v[6:7], s[0:1], v[2:3]
	v_cvt_u32_f64_e32 v7, v[6:7]
	s_mov_b64 s[0:1], 0
	v_cvt_u32_f64_e32 v6, v[2:3]
	global_store_dwordx2 v[4:5], v[6:7], off
	s_branch .LBB6_682
.LBB6_681:
	s_mov_b64 s[30:31], 0
.LBB6_682:
	s_and_b64 vcc, exec, s[30:31]
	s_cbranch_vccz .LBB6_698
; %bb.683:
	s_cmp_lt_i32 s37, 27
	s_mov_b64 s[28:29], -1
	s_cbranch_scc1 .LBB6_689
; %bb.684:
	v_cvt_u32_f64_e32 v2, v[0:1]
	s_cmp_gt_i32 s37, 27
	s_cbranch_scc0 .LBB6_686
; %bb.685:
	s_mov_b64 s[28:29], 0
	global_store_dword v[4:5], v2, off
.LBB6_686:
	s_andn2_b64 vcc, exec, s[28:29]
	s_cbranch_vccnz .LBB6_688
; %bb.687:
	global_store_short v[4:5], v2, off
.LBB6_688:
	s_mov_b64 s[28:29], 0
.LBB6_689:
	s_andn2_b64 vcc, exec, s[28:29]
	s_cbranch_vccnz .LBB6_697
; %bb.690:
	v_cvt_f32_f64_e32 v2, v[0:1]
	s_mov_b32 s28, 0x43800000
	v_mov_b32_e32 v6, 0x80
	v_and_b32_e32 v3, 0x7fffffff, v2
	v_cmp_gt_u32_e32 vcc, s28, v3
	s_and_saveexec_b64 s[28:29], vcc
	s_cbranch_execz .LBB6_696
; %bb.691:
	s_mov_b32 s30, 0x3bffffff
	v_cmp_lt_u32_e32 vcc, s30, v3
	s_mov_b64 s[30:31], 0
                                        ; implicit-def: $vgpr3
	s_and_saveexec_b64 s[34:35], vcc
	s_xor_b64 s[34:35], exec, s[34:35]
	s_cbranch_execz .LBB6_797
; %bb.692:
	v_bfe_u32 v3, v2, 20, 1
	s_mov_b32 s39, 0x487ffff
	v_add3_u32 v3, v2, v3, s39
	s_mov_b64 s[30:31], exec
	v_lshrrev_b32_e32 v3, 20, v3
	s_andn2_saveexec_b64 s[34:35], s[34:35]
	s_cbranch_execnz .LBB6_798
.LBB6_693:
	s_or_b64 exec, exec, s[34:35]
	v_mov_b32_e32 v6, 0
	s_and_saveexec_b64 s[34:35], s[30:31]
.LBB6_694:
	v_lshrrev_b32_e32 v2, 24, v2
	s_movk_i32 s30, 0x80
	v_and_or_b32 v6, v2, s30, v3
.LBB6_695:
	s_or_b64 exec, exec, s[34:35]
.LBB6_696:
	s_or_b64 exec, exec, s[28:29]
	global_store_byte v[4:5], v6, off
.LBB6_697:
	s_mov_b64 s[28:29], -1
.LBB6_698:
	s_mov_b64 s[30:31], 0
.LBB6_699:
	s_and_b64 vcc, exec, s[30:31]
	s_cbranch_vccz .LBB6_740
; %bb.700:
	s_cmp_gt_i32 s37, 22
	s_mov_b64 s[30:31], -1
	s_cbranch_scc0 .LBB6_732
; %bb.701:
	s_cmp_lt_i32 s37, 24
	s_mov_b64 s[28:29], -1
	s_cbranch_scc1 .LBB6_721
; %bb.702:
	s_cmp_gt_i32 s37, 24
	s_cbranch_scc0 .LBB6_710
; %bb.703:
	v_cvt_f32_f64_e32 v2, v[0:1]
	s_mov_b32 s28, 0x47800000
	v_mov_b32_e32 v6, 0x80
	v_and_b32_e32 v3, 0x7fffffff, v2
	v_cmp_gt_u32_e32 vcc, s28, v3
	s_and_saveexec_b64 s[28:29], vcc
	s_cbranch_execz .LBB6_709
; %bb.704:
	s_mov_b32 s30, 0x37ffffff
	v_cmp_lt_u32_e32 vcc, s30, v3
	s_mov_b64 s[30:31], 0
                                        ; implicit-def: $vgpr3
	s_and_saveexec_b64 s[34:35], vcc
	s_xor_b64 s[34:35], exec, s[34:35]
	s_cbranch_execz .LBB6_800
; %bb.705:
	v_bfe_u32 v3, v2, 21, 1
	s_mov_b32 s39, 0x88fffff
	v_add3_u32 v3, v2, v3, s39
	s_mov_b64 s[30:31], exec
	v_lshrrev_b32_e32 v3, 21, v3
	s_andn2_saveexec_b64 s[34:35], s[34:35]
	s_cbranch_execnz .LBB6_801
.LBB6_706:
	s_or_b64 exec, exec, s[34:35]
	v_mov_b32_e32 v6, 0
	s_and_saveexec_b64 s[34:35], s[30:31]
.LBB6_707:
	v_lshrrev_b32_e32 v2, 24, v2
	s_movk_i32 s30, 0x80
	v_and_or_b32 v6, v2, s30, v3
.LBB6_708:
	s_or_b64 exec, exec, s[34:35]
.LBB6_709:
	s_or_b64 exec, exec, s[28:29]
	s_mov_b64 s[28:29], 0
	global_store_byte v[4:5], v6, off
.LBB6_710:
	s_and_b64 vcc, exec, s[28:29]
	s_cbranch_vccz .LBB6_720
; %bb.711:
	v_cvt_f32_f64_e32 v2, v[0:1]
	s_mov_b32 s28, 0x43f00000
                                        ; implicit-def: $vgpr3
	v_and_b32_e32 v6, 0x7fffffff, v2
	v_cmp_gt_u32_e32 vcc, s28, v6
	s_and_saveexec_b64 s[28:29], vcc
	s_xor_b64 s[28:29], exec, s[28:29]
	s_cbranch_execz .LBB6_717
; %bb.712:
	s_mov_b32 s30, 0x3c7fffff
	v_cmp_lt_u32_e32 vcc, s30, v6
                                        ; implicit-def: $vgpr3
	s_and_saveexec_b64 s[30:31], vcc
	s_xor_b64 s[30:31], exec, s[30:31]
; %bb.713:
	v_bfe_u32 v3, v2, 20, 1
	s_mov_b32 s34, 0x407ffff
	v_add3_u32 v3, v2, v3, s34
	v_lshrrev_b32_e32 v6, 20, v3
	v_and_b32_e32 v3, 0xff00000, v3
	s_mov_b32 s34, 0x7f00000
	v_mov_b32_e32 v7, 0x7e
	v_cmp_ne_u32_e32 vcc, s34, v3
	v_cndmask_b32_e32 v3, v7, v6, vcc
; %bb.714:
	s_andn2_saveexec_b64 s[30:31], s[30:31]
; %bb.715:
	s_mov_b32 s34, 0x46800000
	v_add_f32_e64 v3, |v2|, s34
; %bb.716:
	s_or_b64 exec, exec, s[30:31]
                                        ; implicit-def: $vgpr6
.LBB6_717:
	s_andn2_saveexec_b64 s[28:29], s[28:29]
; %bb.718:
	s_mov_b32 s30, 0x7f800000
	v_mov_b32_e32 v3, 0x7e
	v_mov_b32_e32 v7, 0x7f
	v_cmp_lt_u32_e32 vcc, s30, v6
	v_cndmask_b32_e32 v3, v3, v7, vcc
; %bb.719:
	s_or_b64 exec, exec, s[28:29]
	v_lshrrev_b32_e32 v2, 24, v2
	s_movk_i32 s28, 0x80
	v_and_or_b32 v2, v2, s28, v3
	global_store_byte v[4:5], v2, off
.LBB6_720:
	s_mov_b64 s[28:29], 0
.LBB6_721:
	s_andn2_b64 vcc, exec, s[28:29]
	s_cbranch_vccnz .LBB6_731
; %bb.722:
	v_cvt_f32_f64_e32 v2, v[0:1]
	s_mov_b32 s28, 0x47800000
                                        ; implicit-def: $vgpr3
	v_and_b32_e32 v6, 0x7fffffff, v2
	v_cmp_gt_u32_e32 vcc, s28, v6
	s_and_saveexec_b64 s[28:29], vcc
	s_xor_b64 s[28:29], exec, s[28:29]
	s_cbranch_execz .LBB6_728
; %bb.723:
	s_mov_b32 s30, 0x387fffff
	v_cmp_lt_u32_e32 vcc, s30, v6
                                        ; implicit-def: $vgpr3
	s_and_saveexec_b64 s[30:31], vcc
	s_xor_b64 s[30:31], exec, s[30:31]
; %bb.724:
	v_bfe_u32 v3, v2, 21, 1
	s_mov_b32 s34, 0x80fffff
	v_add3_u32 v3, v2, v3, s34
	v_lshrrev_b32_e32 v3, 21, v3
; %bb.725:
	s_andn2_saveexec_b64 s[30:31], s[30:31]
; %bb.726:
	s_mov_b32 s34, 0x43000000
	v_add_f32_e64 v3, |v2|, s34
; %bb.727:
	s_or_b64 exec, exec, s[30:31]
                                        ; implicit-def: $vgpr6
.LBB6_728:
	s_andn2_saveexec_b64 s[28:29], s[28:29]
; %bb.729:
	s_mov_b32 s30, 0x7f800000
	v_mov_b32_e32 v3, 0x7c
	v_mov_b32_e32 v7, 0x7f
	v_cmp_lt_u32_e32 vcc, s30, v6
	v_cndmask_b32_e32 v3, v3, v7, vcc
; %bb.730:
	s_or_b64 exec, exec, s[28:29]
	v_lshrrev_b32_e32 v2, 24, v2
	s_movk_i32 s28, 0x80
	v_and_or_b32 v2, v2, s28, v3
	global_store_byte v[4:5], v2, off
.LBB6_731:
	s_mov_b64 s[30:31], 0
	s_mov_b64 s[28:29], -1
.LBB6_732:
	s_andn2_b64 vcc, exec, s[30:31]
	s_cbranch_vccnz .LBB6_740
; %bb.733:
	s_cmp_gt_i32 s37, 14
	s_mov_b64 s[30:31], -1
	s_cbranch_scc0 .LBB6_737
; %bb.734:
	s_cmp_eq_u32 s37, 15
	s_mov_b64 s[0:1], -1
	s_cbranch_scc0 .LBB6_736
; %bb.735:
	v_cvt_f32_f64_e32 v2, v[0:1]
	s_movk_i32 s0, 0x7fff
	v_mov_b32_e32 v3, 0x7fc0
	s_mov_b64 s[28:29], -1
	v_bfe_u32 v6, v2, 16, 1
	v_cmp_o_f32_e32 vcc, v2, v2
	v_add3_u32 v2, v2, v6, s0
	v_cndmask_b32_sdwa v2, v3, v2, vcc dst_sel:DWORD dst_unused:UNUSED_PAD src0_sel:DWORD src1_sel:WORD_1
	global_store_short v[4:5], v2, off
	s_mov_b64 s[0:1], 0
.LBB6_736:
	s_mov_b64 s[30:31], 0
.LBB6_737:
	s_and_b64 vcc, exec, s[30:31]
	s_cbranch_vccz .LBB6_740
; %bb.738:
	s_cmp_eq_u32 s37, 11
	s_mov_b64 s[0:1], -1
	s_cbranch_scc0 .LBB6_740
; %bb.739:
	v_cmp_neq_f64_e32 vcc, 0, v[0:1]
	s_mov_b64 s[0:1], 0
	s_mov_b64 s[28:29], -1
	v_cndmask_b32_e64 v2, 0, 1, vcc
	global_store_byte v[4:5], v2, off
.LBB6_740:
	s_mov_b64 s[30:31], 0
.LBB6_741:
	s_and_b64 vcc, exec, s[30:31]
	s_cbranch_vccz .LBB6_780
; %bb.742:
	s_and_b32 s30, 0xffff, s36
	s_cmp_lt_i32 s30, 5
	s_mov_b64 s[28:29], -1
	s_cbranch_scc1 .LBB6_763
; %bb.743:
	s_cmp_lt_i32 s30, 8
	s_cbranch_scc1 .LBB6_753
; %bb.744:
	s_cmp_lt_i32 s30, 9
	s_cbranch_scc1 .LBB6_750
; %bb.745:
	s_cmp_gt_i32 s30, 9
	s_cbranch_scc0 .LBB6_747
; %bb.746:
	v_mov_b32_e32 v2, 0
	v_mov_b32_e32 v3, v2
	s_mov_b64 s[28:29], 0
	global_store_dwordx4 v[4:5], v[0:3], off
.LBB6_747:
	s_andn2_b64 vcc, exec, s[28:29]
	s_cbranch_vccnz .LBB6_749
; %bb.748:
	v_cvt_f32_f64_e32 v2, v[0:1]
	v_mov_b32_e32 v3, 0
	global_store_dwordx2 v[4:5], v[2:3], off
.LBB6_749:
	s_mov_b64 s[28:29], 0
.LBB6_750:
	s_andn2_b64 vcc, exec, s[28:29]
	s_cbranch_vccnz .LBB6_752
; %bb.751:
	s_movk_i32 s28, 0x1ff
	v_and_or_b32 v2, v1, s28, v0
	v_cmp_ne_u32_e32 vcc, 0, v2
	v_cndmask_b32_e64 v2, 0, 1, vcc
	v_lshrrev_b32_e32 v3, 8, v1
	s_movk_i32 s28, 0xffe
	v_bfe_u32 v6, v1, 20, 11
	v_and_or_b32 v2, v3, s28, v2
	v_sub_u32_e32 v7, 0x3f1, v6
	v_or_b32_e32 v3, 0x1000, v2
	v_med3_i32 v7, v7, 0, 13
	v_lshrrev_b32_e32 v8, v7, v3
	v_lshlrev_b32_e32 v7, v7, v8
	v_cmp_ne_u32_e32 vcc, v7, v3
	v_cndmask_b32_e64 v3, 0, 1, vcc
	v_add_u32_e32 v6, 0xfffffc10, v6
	v_or_b32_e32 v3, v8, v3
	v_lshl_or_b32 v7, v6, 12, v2
	v_cmp_gt_i32_e32 vcc, 1, v6
	v_cndmask_b32_e32 v3, v7, v3, vcc
	v_and_b32_e32 v7, 7, v3
	v_cmp_lt_i32_e32 vcc, 5, v7
	v_cndmask_b32_e64 v8, 0, 1, vcc
	v_cmp_eq_u32_e32 vcc, 3, v7
	v_cndmask_b32_e64 v7, 0, 1, vcc
	v_or_b32_e32 v7, v7, v8
	v_lshrrev_b32_e32 v3, 2, v3
	v_add_u32_e32 v3, v3, v7
	v_mov_b32_e32 v7, 0x7c00
	v_cmp_gt_i32_e32 vcc, 31, v6
	v_cndmask_b32_e32 v3, v7, v3, vcc
	v_mov_b32_e32 v8, 0x7e00
	v_cmp_ne_u32_e32 vcc, 0, v2
	s_movk_i32 s28, 0x40f
	v_cndmask_b32_e32 v2, v7, v8, vcc
	v_cmp_eq_u32_e32 vcc, s28, v6
	v_cndmask_b32_e32 v2, v3, v2, vcc
	v_lshrrev_b32_e32 v3, 16, v1
	s_mov_b32 s28, 0x8000
	v_and_or_b32 v2, v3, s28, v2
	v_and_b32_e32 v2, 0xffff, v2
	global_store_dword v[4:5], v2, off
.LBB6_752:
	s_mov_b64 s[28:29], 0
.LBB6_753:
	s_andn2_b64 vcc, exec, s[28:29]
	s_cbranch_vccnz .LBB6_762
; %bb.754:
	s_cmp_lt_i32 s30, 6
	s_mov_b64 s[28:29], -1
	s_cbranch_scc1 .LBB6_760
; %bb.755:
	s_cmp_gt_i32 s30, 6
	s_cbranch_scc0 .LBB6_757
; %bb.756:
	s_mov_b64 s[28:29], 0
	global_store_dwordx2 v[4:5], v[0:1], off
.LBB6_757:
	s_andn2_b64 vcc, exec, s[28:29]
	s_cbranch_vccnz .LBB6_759
; %bb.758:
	v_cvt_f32_f64_e32 v2, v[0:1]
	global_store_dword v[4:5], v2, off
.LBB6_759:
	s_mov_b64 s[28:29], 0
.LBB6_760:
	s_andn2_b64 vcc, exec, s[28:29]
	s_cbranch_vccnz .LBB6_762
; %bb.761:
	s_movk_i32 s28, 0x1ff
	v_and_or_b32 v2, v1, s28, v0
	v_cmp_ne_u32_e32 vcc, 0, v2
	v_cndmask_b32_e64 v2, 0, 1, vcc
	v_lshrrev_b32_e32 v3, 8, v1
	s_movk_i32 s28, 0xffe
	v_bfe_u32 v6, v1, 20, 11
	v_and_or_b32 v2, v3, s28, v2
	v_sub_u32_e32 v7, 0x3f1, v6
	v_or_b32_e32 v3, 0x1000, v2
	v_med3_i32 v7, v7, 0, 13
	v_lshrrev_b32_e32 v8, v7, v3
	v_lshlrev_b32_e32 v7, v7, v8
	v_cmp_ne_u32_e32 vcc, v7, v3
	v_cndmask_b32_e64 v3, 0, 1, vcc
	v_add_u32_e32 v6, 0xfffffc10, v6
	v_or_b32_e32 v3, v8, v3
	v_lshl_or_b32 v7, v6, 12, v2
	v_cmp_gt_i32_e32 vcc, 1, v6
	v_cndmask_b32_e32 v3, v7, v3, vcc
	v_and_b32_e32 v7, 7, v3
	v_cmp_lt_i32_e32 vcc, 5, v7
	v_cndmask_b32_e64 v8, 0, 1, vcc
	v_cmp_eq_u32_e32 vcc, 3, v7
	v_cndmask_b32_e64 v7, 0, 1, vcc
	v_or_b32_e32 v7, v7, v8
	v_lshrrev_b32_e32 v3, 2, v3
	v_add_u32_e32 v3, v3, v7
	v_mov_b32_e32 v7, 0x7c00
	v_cmp_gt_i32_e32 vcc, 31, v6
	v_cndmask_b32_e32 v3, v7, v3, vcc
	v_mov_b32_e32 v8, 0x7e00
	v_cmp_ne_u32_e32 vcc, 0, v2
	s_movk_i32 s28, 0x40f
	v_cndmask_b32_e32 v2, v7, v8, vcc
	v_cmp_eq_u32_e32 vcc, s28, v6
	v_cndmask_b32_e32 v2, v3, v2, vcc
	v_lshrrev_b32_e32 v3, 16, v1
	s_mov_b32 s28, 0x8000
	v_and_or_b32 v2, v3, s28, v2
	global_store_short v[4:5], v2, off
.LBB6_762:
	s_mov_b64 s[28:29], 0
.LBB6_763:
	s_andn2_b64 vcc, exec, s[28:29]
	s_cbranch_vccnz .LBB6_779
; %bb.764:
	s_cmp_lt_i32 s30, 2
	s_mov_b64 s[28:29], -1
	s_cbranch_scc1 .LBB6_774
; %bb.765:
	s_cmp_lt_i32 s30, 3
	s_cbranch_scc1 .LBB6_771
; %bb.766:
	s_cmp_gt_i32 s30, 3
	s_cbranch_scc0 .LBB6_768
; %bb.767:
	v_trunc_f64_e32 v[2:3], v[0:1]
	s_movk_i32 s28, 0xffe0
	v_ldexp_f64 v[6:7], v[2:3], s28
	s_mov_b32 s28, 0
	s_mov_b32 s29, 0xc1f00000
	v_floor_f64_e32 v[6:7], v[6:7]
	v_fma_f64 v[2:3], v[6:7], s[28:29], v[2:3]
	v_cvt_i32_f64_e32 v7, v[6:7]
	s_mov_b64 s[28:29], 0
	v_cvt_u32_f64_e32 v6, v[2:3]
	global_store_dwordx2 v[4:5], v[6:7], off
.LBB6_768:
	s_andn2_b64 vcc, exec, s[28:29]
	s_cbranch_vccnz .LBB6_770
; %bb.769:
	v_cvt_i32_f64_e32 v2, v[0:1]
	global_store_dword v[4:5], v2, off
.LBB6_770:
	s_mov_b64 s[28:29], 0
.LBB6_771:
	s_andn2_b64 vcc, exec, s[28:29]
	s_cbranch_vccnz .LBB6_773
; %bb.772:
	v_cvt_i32_f64_e32 v2, v[0:1]
	global_store_short v[4:5], v2, off
.LBB6_773:
	s_mov_b64 s[28:29], 0
.LBB6_774:
	s_andn2_b64 vcc, exec, s[28:29]
	s_cbranch_vccnz .LBB6_779
; %bb.775:
	s_cmp_gt_i32 s30, 0
	s_mov_b64 s[28:29], -1
	s_cbranch_scc0 .LBB6_777
; %bb.776:
	v_cvt_i32_f64_e32 v2, v[0:1]
	s_mov_b64 s[28:29], 0
	global_store_byte v[4:5], v2, off
.LBB6_777:
	s_andn2_b64 vcc, exec, s[28:29]
	s_cbranch_vccnz .LBB6_779
; %bb.778:
	v_trunc_f64_e32 v[0:1], v[0:1]
	s_movk_i32 s28, 0xffe0
	v_ldexp_f64 v[2:3], v[0:1], s28
	s_mov_b32 s28, 0
	s_mov_b32 s29, 0xc1f00000
	v_floor_f64_e32 v[2:3], v[2:3]
	v_fma_f64 v[0:1], v[2:3], s[28:29], v[0:1]
	v_cvt_u32_f64_e32 v0, v[0:1]
	global_store_byte v[4:5], v0, off
.LBB6_779:
	s_mov_b64 s[28:29], -1
.LBB6_780:
	s_andn2_b64 vcc, exec, s[28:29]
	s_cbranch_vccnz .LBB6_782
; %bb.781:
	v_add_u32_e32 v24, 0x80, v24
	s_mov_b64 s[30:31], -1
	s_branch .LBB6_783
.LBB6_782:
	s_mov_b64 s[30:31], 0
                                        ; implicit-def: $vgpr24
.LBB6_783:
	s_andn2_b64 s[28:29], s[20:21], exec
	s_and_b64 s[0:1], s[0:1], exec
	s_or_b64 s[28:29], s[28:29], s[0:1]
	s_andn2_b64 s[0:1], s[18:19], exec
	s_and_b64 s[26:27], s[26:27], exec
	s_or_b64 s[0:1], s[0:1], s[26:27]
	s_orn2_b64 s[34:35], s[30:31], exec
.LBB6_784:
	s_or_b64 exec, exec, s[24:25]
	s_mov_b64 s[30:31], 0
	s_mov_b64 s[26:27], 0
	;; [unrolled: 1-line block ×3, first 2 shown]
                                        ; implicit-def: $vgpr0_vgpr1
                                        ; implicit-def: $vgpr2_vgpr3
	s_and_saveexec_b64 s[24:25], s[34:35]
	s_cbranch_execz .LBB6_869
; %bb.785:
	v_cmp_gt_i32_e32 vcc, s38, v24
	s_mov_b64 s[34:35], 0
	s_mov_b64 s[38:39], s[0:1]
	;; [unrolled: 1-line block ×3, first 2 shown]
                                        ; implicit-def: $vgpr0_vgpr1
                                        ; implicit-def: $vgpr2_vgpr3
	s_and_saveexec_b64 s[26:27], vcc
	s_cbranch_execz .LBB6_868
; %bb.786:
	v_mul_lo_u32 v0, v24, s3
	v_mov_b32_e32 v1, s11
	s_and_b32 s43, 0xffff, s42
	s_cmp_lt_i32 s43, 11
	s_waitcnt vmcnt(0)
	v_ashrrev_i32_e32 v2, 31, v0
	v_add_co_u32_e32 v0, vcc, s10, v0
	v_addc_co_u32_e32 v1, vcc, v1, v2, vcc
	s_cbranch_scc1 .LBB6_793
; %bb.787:
	s_cmp_gt_i32 s43, 25
	s_cbranch_scc0 .LBB6_794
; %bb.788:
	s_cmp_gt_i32 s43, 28
	s_cbranch_scc0 .LBB6_795
	;; [unrolled: 3-line block ×4, first 2 shown]
; %bb.791:
	s_cmp_eq_u32 s43, 46
	s_mov_b64 s[38:39], 0
	s_cbranch_scc0 .LBB6_802
; %bb.792:
	global_load_dword v2, v[0:1], off
	s_mov_b64 s[36:37], -1
	s_waitcnt vmcnt(0)
	v_lshlrev_b32_e32 v2, 16, v2
	v_cvt_f64_f32_e32 v[2:3], v2
	s_branch .LBB6_804
.LBB6_793:
	s_mov_b64 s[38:39], -1
                                        ; implicit-def: $vgpr2_vgpr3
	s_mov_b64 s[30:31], s[0:1]
	s_branch .LBB6_867
.LBB6_794:
	s_mov_b64 s[38:39], -1
	s_mov_b64 s[30:31], s[0:1]
                                        ; implicit-def: $vgpr2_vgpr3
	s_branch .LBB6_835
.LBB6_795:
	s_mov_b64 s[38:39], -1
	s_mov_b64 s[30:31], s[0:1]
                                        ; implicit-def: $vgpr2_vgpr3
	s_branch .LBB6_814
.LBB6_796:
	s_mov_b64 s[38:39], -1
	s_mov_b64 s[30:31], s[0:1]
                                        ; implicit-def: $vgpr2_vgpr3
	s_branch .LBB6_809
.LBB6_797:
	s_andn2_saveexec_b64 s[34:35], s[34:35]
	s_cbranch_execz .LBB6_693
.LBB6_798:
	s_mov_b32 s39, 0x46000000
	v_add_f32_e64 v3, |v2|, s39
	v_and_b32_e32 v3, 0xff, v3
	v_cmp_ne_u32_e32 vcc, 0, v3
	s_andn2_b64 s[30:31], s[30:31], exec
	s_and_b64 s[40:41], vcc, exec
	s_or_b64 s[30:31], s[30:31], s[40:41]
	s_or_b64 exec, exec, s[34:35]
	v_mov_b32_e32 v6, 0
	s_and_saveexec_b64 s[34:35], s[30:31]
	s_cbranch_execnz .LBB6_694
	s_branch .LBB6_695
.LBB6_799:
	s_mov_b64 s[38:39], -1
	s_mov_b64 s[30:31], s[0:1]
	s_branch .LBB6_803
.LBB6_800:
	s_andn2_saveexec_b64 s[34:35], s[34:35]
	s_cbranch_execz .LBB6_706
.LBB6_801:
	s_mov_b32 s39, 0x42800000
	v_add_f32_e64 v3, |v2|, s39
	v_and_b32_e32 v3, 0xff, v3
	v_cmp_ne_u32_e32 vcc, 0, v3
	s_andn2_b64 s[30:31], s[30:31], exec
	s_and_b64 s[40:41], vcc, exec
	s_or_b64 s[30:31], s[30:31], s[40:41]
	s_or_b64 exec, exec, s[34:35]
	v_mov_b32_e32 v6, 0
	s_and_saveexec_b64 s[34:35], s[30:31]
	s_cbranch_execnz .LBB6_707
	s_branch .LBB6_708
.LBB6_802:
	s_mov_b64 s[30:31], -1
.LBB6_803:
                                        ; implicit-def: $vgpr2_vgpr3
.LBB6_804:
	s_and_b64 vcc, exec, s[38:39]
	s_cbranch_vccz .LBB6_808
; %bb.805:
	s_cmp_eq_u32 s43, 44
	s_cbranch_scc0 .LBB6_807
; %bb.806:
	global_load_ubyte v4, v[0:1], off
	s_movk_i32 s36, 0xff
	v_bfrev_b32_e32 v5, 4
	v_mov_b32_e32 v6, 0x7ff80000
	v_bfrev_b32_e32 v7, 28
	s_mov_b64 s[30:31], 0
	s_waitcnt vmcnt(0)
	v_lshlrev_b32_e32 v2, 23, v4
	v_cvt_f64_f32_e32 v[2:3], v2
	v_cmp_ne_u32_e32 vcc, s36, v4
	s_mov_b64 s[36:37], -1
	v_cndmask_b32_e32 v2, v5, v2, vcc
	v_cndmask_b32_e32 v3, v6, v3, vcc
	v_cmp_ne_u32_e32 vcc, 0, v4
	v_cndmask_b32_e32 v3, v7, v3, vcc
	v_cndmask_b32_e32 v2, 0, v2, vcc
	s_branch .LBB6_808
.LBB6_807:
	s_mov_b64 s[30:31], -1
                                        ; implicit-def: $vgpr2_vgpr3
.LBB6_808:
	s_mov_b64 s[38:39], 0
.LBB6_809:
	s_and_b64 vcc, exec, s[38:39]
	s_cbranch_vccz .LBB6_813
; %bb.810:
	s_cmp_eq_u32 s43, 29
	s_cbranch_scc0 .LBB6_812
; %bb.811:
	global_load_dwordx2 v[2:3], v[0:1], off
	s_mov_b64 s[30:31], 0
	s_mov_b64 s[36:37], -1
	s_mov_b64 s[38:39], 0
	s_waitcnt vmcnt(0)
	v_cvt_f64_u32_e32 v[3:4], v3
	v_cvt_f64_u32_e32 v[5:6], v2
	v_ldexp_f64 v[3:4], v[3:4], 32
	v_add_f64 v[2:3], v[3:4], v[5:6]
	s_branch .LBB6_814
.LBB6_812:
	s_mov_b64 s[30:31], -1
                                        ; implicit-def: $vgpr2_vgpr3
.LBB6_813:
	s_mov_b64 s[38:39], 0
.LBB6_814:
	s_and_b64 vcc, exec, s[38:39]
	s_cbranch_vccz .LBB6_834
; %bb.815:
	s_cmp_lt_i32 s43, 27
	s_cbranch_scc1 .LBB6_818
; %bb.816:
	s_cmp_gt_i32 s43, 27
	s_cbranch_scc0 .LBB6_819
; %bb.817:
	global_load_dword v2, v[0:1], off
	s_mov_b64 s[36:37], 0
	s_waitcnt vmcnt(0)
	v_cvt_f64_u32_e32 v[2:3], v2
	s_branch .LBB6_820
.LBB6_818:
	s_mov_b64 s[36:37], -1
                                        ; implicit-def: $vgpr2_vgpr3
	s_branch .LBB6_823
.LBB6_819:
	s_mov_b64 s[36:37], -1
                                        ; implicit-def: $vgpr2_vgpr3
.LBB6_820:
	s_andn2_b64 vcc, exec, s[36:37]
	s_cbranch_vccnz .LBB6_822
; %bb.821:
	global_load_ushort v2, v[0:1], off
	s_waitcnt vmcnt(0)
	v_cvt_f64_u32_e32 v[2:3], v2
.LBB6_822:
	s_mov_b64 s[36:37], 0
.LBB6_823:
	s_andn2_b64 vcc, exec, s[36:37]
	s_cbranch_vccnz .LBB6_833
; %bb.824:
	global_load_ubyte v4, v[0:1], off
	s_movk_i32 s36, 0x7f
	s_waitcnt vmcnt(0)
	v_cmp_lt_i16_e32 vcc, s36, v4
	s_mov_b64 s[36:37], 0
	s_and_saveexec_b64 s[38:39], vcc
	s_xor_b64 s[38:39], exec, s[38:39]
	s_cbranch_execz .LBB6_828
; %bb.825:
	s_movk_i32 s36, 0x80
	v_cmp_eq_u16_e32 vcc, s36, v4
	s_mov_b64 s[36:37], -1
	s_and_saveexec_b64 s[40:41], vcc
; %bb.826:
	s_xor_b64 s[36:37], exec, -1
; %bb.827:
	s_or_b64 exec, exec, s[40:41]
	s_and_b64 s[36:37], s[36:37], exec
.LBB6_828:
	s_or_saveexec_b64 s[38:39], s[38:39]
	v_bfrev_b32_e32 v2, 4
	v_mov_b32_e32 v3, 0x7ff80000
	s_xor_b64 exec, exec, s[38:39]
; %bb.829:
	v_cmp_ne_u16_e32 vcc, 0, v4
	v_mov_b32_e32 v2, 0
	s_andn2_b64 s[36:37], s[36:37], exec
	s_and_b64 s[40:41], vcc, exec
	v_mov_b32_e32 v3, 0
	s_or_b64 s[36:37], s[36:37], s[40:41]
; %bb.830:
	s_or_b64 exec, exec, s[38:39]
	s_and_saveexec_b64 s[38:39], s[36:37]
	s_cbranch_execz .LBB6_832
; %bb.831:
	v_and_b32_e32 v3, 0xffff, v4
	v_lshlrev_b32_e32 v2, 24, v4
	v_and_b32_e32 v4, 7, v3
	v_ffbh_u32_e32 v6, v4
	v_min_u32_e32 v6, 32, v6
	v_subrev_u32_e32 v7, 28, v6
	v_bfe_u32 v5, v3, 3, 4
	v_lshlrev_b32_e32 v3, v7, v3
	v_sub_u32_e32 v6, 29, v6
	v_and_b32_e32 v3, 7, v3
	v_cmp_eq_u32_e32 vcc, 0, v5
	v_cndmask_b32_e32 v5, v5, v6, vcc
	v_cndmask_b32_e32 v3, v4, v3, vcc
	v_mov_b32_e32 v4, 0x3b800000
	v_lshlrev_b32_e32 v3, 20, v3
	v_and_b32_e32 v2, 0x80000000, v2
	v_lshl_add_u32 v4, v5, 23, v4
	v_or3_b32 v2, v2, v4, v3
	v_cvt_f64_f32_e32 v[2:3], v2
.LBB6_832:
	s_or_b64 exec, exec, s[38:39]
.LBB6_833:
	s_mov_b64 s[36:37], -1
.LBB6_834:
	s_mov_b64 s[38:39], 0
.LBB6_835:
	s_and_b64 vcc, exec, s[38:39]
	s_cbranch_vccz .LBB6_866
; %bb.836:
	s_cmp_gt_i32 s43, 22
	s_cbranch_scc0 .LBB6_848
; %bb.837:
	s_cmp_lt_i32 s43, 24
	s_cbranch_scc1 .LBB6_849
; %bb.838:
	s_cmp_gt_i32 s43, 24
	s_cbranch_scc0 .LBB6_850
; %bb.839:
	global_load_ubyte v4, v[0:1], off
	s_movk_i32 s34, 0x7f
	s_waitcnt vmcnt(0)
	v_cmp_lt_i16_e32 vcc, s34, v4
	s_mov_b64 s[34:35], 0
	s_and_saveexec_b64 s[36:37], vcc
	s_xor_b64 s[36:37], exec, s[36:37]
	s_cbranch_execz .LBB6_843
; %bb.840:
	s_movk_i32 s34, 0x80
	v_cmp_eq_u16_e32 vcc, s34, v4
	s_mov_b64 s[34:35], -1
	s_and_saveexec_b64 s[38:39], vcc
; %bb.841:
	s_xor_b64 s[34:35], exec, -1
; %bb.842:
	s_or_b64 exec, exec, s[38:39]
	s_and_b64 s[34:35], s[34:35], exec
.LBB6_843:
	s_or_saveexec_b64 s[36:37], s[36:37]
	v_bfrev_b32_e32 v2, 4
	v_mov_b32_e32 v3, 0x7ff80000
	s_xor_b64 exec, exec, s[36:37]
; %bb.844:
	v_cmp_ne_u16_e32 vcc, 0, v4
	v_mov_b32_e32 v2, 0
	s_andn2_b64 s[34:35], s[34:35], exec
	s_and_b64 s[38:39], vcc, exec
	v_mov_b32_e32 v3, 0
	s_or_b64 s[34:35], s[34:35], s[38:39]
; %bb.845:
	s_or_b64 exec, exec, s[36:37]
	s_and_saveexec_b64 s[36:37], s[34:35]
	s_cbranch_execz .LBB6_847
; %bb.846:
	v_and_b32_e32 v3, 0xffff, v4
	v_lshlrev_b32_e32 v2, 24, v4
	v_and_b32_e32 v4, 3, v3
	v_ffbh_u32_e32 v6, v4
	v_min_u32_e32 v6, 32, v6
	v_subrev_u32_e32 v7, 29, v6
	v_bfe_u32 v5, v3, 2, 5
	v_lshlrev_b32_e32 v3, v7, v3
	v_sub_u32_e32 v6, 30, v6
	v_and_b32_e32 v3, 3, v3
	v_cmp_eq_u32_e32 vcc, 0, v5
	v_cndmask_b32_e32 v5, v5, v6, vcc
	v_cndmask_b32_e32 v3, v4, v3, vcc
	v_mov_b32_e32 v4, 0x37800000
	v_lshlrev_b32_e32 v3, 21, v3
	v_and_b32_e32 v2, 0x80000000, v2
	v_lshl_add_u32 v4, v5, 23, v4
	v_or3_b32 v2, v2, v4, v3
	v_cvt_f64_f32_e32 v[2:3], v2
.LBB6_847:
	s_or_b64 exec, exec, s[36:37]
	s_mov_b64 s[34:35], 0
	s_branch .LBB6_851
.LBB6_848:
	s_mov_b64 s[34:35], -1
                                        ; implicit-def: $vgpr2_vgpr3
	s_branch .LBB6_857
.LBB6_849:
	s_mov_b64 s[34:35], -1
                                        ; implicit-def: $vgpr2_vgpr3
	s_branch .LBB6_854
.LBB6_850:
	s_mov_b64 s[34:35], -1
                                        ; implicit-def: $vgpr2_vgpr3
.LBB6_851:
	s_and_b64 vcc, exec, s[34:35]
	s_cbranch_vccz .LBB6_853
; %bb.852:
	global_load_ubyte v2, v[0:1], off
	s_mov_b32 s34, 0x7f800000
	s_waitcnt vmcnt(0)
	v_lshlrev_b32_e32 v2, 24, v2
	v_and_b32_e32 v3, 0x7f000000, v2
	v_ffbh_u32_e32 v4, v3
	v_min_u32_e32 v4, 32, v4
	v_sub_u32_e64 v4, v4, 4 clamp
	v_lshlrev_b32_e32 v6, v4, v3
	v_lshlrev_b32_e32 v4, 23, v4
	v_lshrrev_b32_e32 v6, 4, v6
	v_add_u32_e32 v5, 0x1000000, v3
	v_sub_u32_e32 v4, v6, v4
	v_ashrrev_i32_e32 v5, 8, v5
	v_add_u32_e32 v4, 0x3c000000, v4
	v_and_or_b32 v4, v5, s34, v4
	v_cmp_ne_u32_e32 vcc, 0, v3
	v_cndmask_b32_e32 v3, 0, v4, vcc
	s_brev_b32 s34, 1
	v_and_or_b32 v2, v2, s34, v3
	v_cvt_f64_f32_e32 v[2:3], v2
.LBB6_853:
	s_mov_b64 s[34:35], 0
.LBB6_854:
	s_andn2_b64 vcc, exec, s[34:35]
	s_cbranch_vccnz .LBB6_856
; %bb.855:
	global_load_ubyte v2, v[0:1], off
	s_movk_i32 s34, 0x7f00
	s_brev_b32 s35, 16
	s_waitcnt vmcnt(0)
	v_lshlrev_b16_e32 v3, 8, v2
	v_lshlrev_b32_e32 v2, 25, v2
	v_lshrrev_b32_e32 v4, 4, v2
	v_and_or_b32 v5, v3, s34, 0.5
	v_or_b32_e32 v4, 0x70000000, v4
	v_add_f32_e32 v5, -0.5, v5
	v_mul_f32_e32 v4, 0x7800000, v4
	v_cmp_gt_u32_e32 vcc, s35, v2
	v_bfe_i32 v3, v3, 0, 16
	v_cndmask_b32_e32 v2, v4, v5, vcc
	s_brev_b32 s34, 1
	v_and_or_b32 v2, v3, s34, v2
	v_cvt_f64_f32_e32 v[2:3], v2
.LBB6_856:
	s_mov_b64 s[34:35], 0
	s_mov_b64 s[36:37], -1
.LBB6_857:
	s_andn2_b64 vcc, exec, s[34:35]
	s_mov_b64 s[34:35], 0
	s_cbranch_vccnz .LBB6_866
; %bb.858:
	s_cmp_gt_i32 s43, 14
	s_cbranch_scc0 .LBB6_861
; %bb.859:
	s_cmp_eq_u32 s43, 15
	s_cbranch_scc0 .LBB6_862
; %bb.860:
	global_load_ushort v2, v[0:1], off
	s_mov_b64 s[30:31], 0
	s_mov_b64 s[36:37], -1
	s_waitcnt vmcnt(0)
	v_lshlrev_b32_e32 v2, 16, v2
	v_cvt_f64_f32_e32 v[2:3], v2
	s_branch .LBB6_863
.LBB6_861:
	s_mov_b64 s[38:39], -1
                                        ; implicit-def: $vgpr2_vgpr3
	s_branch .LBB6_864
.LBB6_862:
	s_mov_b64 s[30:31], -1
                                        ; implicit-def: $vgpr2_vgpr3
.LBB6_863:
	s_mov_b64 s[38:39], 0
.LBB6_864:
	s_and_b64 vcc, exec, s[38:39]
	s_cbranch_vccz .LBB6_866
; %bb.865:
	s_cmp_lg_u32 s43, 11
	s_cselect_b64 s[38:39], -1, 0
	s_andn2_b64 s[30:31], s[30:31], exec
	s_and_b64 s[38:39], s[38:39], exec
	s_mov_b64 s[34:35], -1
	s_or_b64 s[30:31], s[30:31], s[38:39]
.LBB6_866:
	s_mov_b64 s[38:39], 0
.LBB6_867:
	s_and_b64 s[40:41], s[38:39], exec
	s_andn2_b64 s[38:39], s[0:1], exec
	s_and_b64 s[30:31], s[30:31], exec
	s_and_b64 s[36:37], s[36:37], exec
	;; [unrolled: 1-line block ×3, first 2 shown]
	s_or_b64 s[38:39], s[38:39], s[30:31]
.LBB6_868:
	s_or_b64 exec, exec, s[26:27]
	s_and_b64 s[30:31], s[34:35], exec
	s_andn2_b64 s[0:1], s[0:1], exec
	s_and_b64 s[34:35], s[38:39], exec
	s_and_b64 s[36:37], s[36:37], exec
	;; [unrolled: 1-line block ×3, first 2 shown]
	s_or_b64 s[0:1], s[0:1], s[34:35]
.LBB6_869:
	s_or_b64 exec, exec, s[24:25]
	s_andn2_b64 s[20:21], s[20:21], exec
	s_and_b64 s[24:25], s[28:29], exec
	s_andn2_b64 s[18:19], s[18:19], exec
	s_and_b64 s[0:1], s[0:1], exec
	s_or_b64 s[20:21], s[20:21], s[24:25]
	s_and_b64 s[28:29], s[36:37], exec
	s_and_b64 s[26:27], s[26:27], exec
	;; [unrolled: 1-line block ×3, first 2 shown]
	s_or_b64 s[18:19], s[18:19], s[0:1]
.LBB6_870:
	s_or_b64 exec, exec, s[22:23]
	s_andn2_b64 s[0:1], s[6:7], exec
	s_and_b64 s[6:7], s[20:21], exec
	s_andn2_b64 s[14:15], s[14:15], exec
	s_and_b64 s[18:19], s[18:19], exec
	s_or_b64 s[6:7], s[0:1], s[6:7]
	s_and_b64 s[0:1], s[28:29], exec
	s_and_b64 s[22:23], s[26:27], exec
	;; [unrolled: 1-line block ×3, first 2 shown]
	s_or_b64 s[14:15], s[14:15], s[18:19]
	s_or_b64 exec, exec, s[16:17]
	s_mov_b64 s[16:17], 0
	s_and_saveexec_b64 s[18:19], s[14:15]
	s_cbranch_execz .LBB6_266
.LBB6_871:
	s_mov_b64 s[16:17], exec
	s_andn2_b64 s[20:21], s[20:21], exec
	s_trap 2
	s_or_b64 exec, exec, s[18:19]
	s_and_saveexec_b64 s[14:15], s[20:21]
	s_xor_b64 s[14:15], exec, s[14:15]
	s_cbranch_execnz .LBB6_267
.LBB6_872:
	s_or_b64 exec, exec, s[14:15]
	s_and_saveexec_b64 s[14:15], s[22:23]
	s_cbranch_execz .LBB6_918
.LBB6_873:
	s_sext_i32_i16 s18, s42
	s_cmp_lt_i32 s18, 5
	s_cbranch_scc1 .LBB6_878
; %bb.874:
	s_cmp_lt_i32 s18, 8
	s_cbranch_scc1 .LBB6_879
; %bb.875:
	;; [unrolled: 3-line block ×3, first 2 shown]
	s_cmp_gt_i32 s18, 9
	s_cbranch_scc0 .LBB6_881
; %bb.877:
	global_load_dwordx2 v[2:3], v[0:1], off
	s_mov_b64 s[18:19], 0
	s_branch .LBB6_882
.LBB6_878:
                                        ; implicit-def: $vgpr2_vgpr3
	s_branch .LBB6_899
.LBB6_879:
                                        ; implicit-def: $vgpr2_vgpr3
	s_branch .LBB6_888
.LBB6_880:
	s_mov_b64 s[18:19], -1
                                        ; implicit-def: $vgpr2_vgpr3
	s_branch .LBB6_885
.LBB6_881:
	s_mov_b64 s[18:19], -1
                                        ; implicit-def: $vgpr2_vgpr3
.LBB6_882:
	s_andn2_b64 vcc, exec, s[18:19]
	s_cbranch_vccnz .LBB6_884
; %bb.883:
	global_load_dword v2, v[0:1], off
	s_waitcnt vmcnt(0)
	v_cvt_f64_f32_e32 v[2:3], v2
.LBB6_884:
	s_mov_b64 s[18:19], 0
.LBB6_885:
	s_andn2_b64 vcc, exec, s[18:19]
	s_cbranch_vccnz .LBB6_887
; %bb.886:
	global_load_dword v2, v[0:1], off
	s_waitcnt vmcnt(0)
	v_cvt_f32_f16_e32 v2, v2
	v_cvt_f64_f32_e32 v[2:3], v2
.LBB6_887:
	s_cbranch_execnz .LBB6_898
.LBB6_888:
	s_sext_i32_i16 s18, s42
	s_cmp_lt_i32 s18, 6
	s_cbranch_scc1 .LBB6_891
; %bb.889:
	s_cmp_gt_i32 s18, 6
	s_cbranch_scc0 .LBB6_892
; %bb.890:
	global_load_dwordx2 v[2:3], v[0:1], off
	s_mov_b64 s[18:19], 0
	s_branch .LBB6_893
.LBB6_891:
	s_mov_b64 s[18:19], -1
                                        ; implicit-def: $vgpr2_vgpr3
	s_branch .LBB6_896
.LBB6_892:
	s_mov_b64 s[18:19], -1
                                        ; implicit-def: $vgpr2_vgpr3
.LBB6_893:
	s_andn2_b64 vcc, exec, s[18:19]
	s_cbranch_vccnz .LBB6_895
; %bb.894:
	global_load_dword v2, v[0:1], off
	s_waitcnt vmcnt(0)
	v_cvt_f64_f32_e32 v[2:3], v2
.LBB6_895:
	s_mov_b64 s[18:19], 0
.LBB6_896:
	s_andn2_b64 vcc, exec, s[18:19]
	s_cbranch_vccnz .LBB6_898
; %bb.897:
	global_load_ushort v2, v[0:1], off
	s_waitcnt vmcnt(0)
	v_cvt_f32_f16_e32 v2, v2
	v_cvt_f64_f32_e32 v[2:3], v2
.LBB6_898:
	s_cbranch_execnz .LBB6_917
.LBB6_899:
	s_sext_i32_i16 s18, s42
	s_cmp_lt_i32 s18, 2
	s_cbranch_scc1 .LBB6_903
; %bb.900:
	s_cmp_lt_i32 s18, 3
	s_cbranch_scc1 .LBB6_904
; %bb.901:
	s_cmp_gt_i32 s18, 3
	s_cbranch_scc0 .LBB6_905
; %bb.902:
	global_load_dwordx2 v[2:3], v[0:1], off
	s_mov_b64 s[18:19], 0
	s_waitcnt vmcnt(0)
	v_cvt_f64_i32_e32 v[3:4], v3
	v_cvt_f64_u32_e32 v[5:6], v2
	v_ldexp_f64 v[3:4], v[3:4], 32
	v_add_f64 v[2:3], v[3:4], v[5:6]
	s_branch .LBB6_906
.LBB6_903:
                                        ; implicit-def: $vgpr2_vgpr3
	s_branch .LBB6_912
.LBB6_904:
	s_mov_b64 s[18:19], -1
                                        ; implicit-def: $vgpr2_vgpr3
	s_branch .LBB6_909
.LBB6_905:
	s_mov_b64 s[18:19], -1
                                        ; implicit-def: $vgpr2_vgpr3
.LBB6_906:
	s_andn2_b64 vcc, exec, s[18:19]
	s_cbranch_vccnz .LBB6_908
; %bb.907:
	global_load_dword v2, v[0:1], off
	s_waitcnt vmcnt(0)
	v_cvt_f64_i32_e32 v[2:3], v2
.LBB6_908:
	s_mov_b64 s[18:19], 0
.LBB6_909:
	s_andn2_b64 vcc, exec, s[18:19]
	s_cbranch_vccnz .LBB6_911
; %bb.910:
	global_load_sshort v2, v[0:1], off
	s_waitcnt vmcnt(0)
	v_cvt_f64_i32_e32 v[2:3], v2
.LBB6_911:
	s_cbranch_execnz .LBB6_917
.LBB6_912:
	s_sext_i32_i16 s18, s42
	s_cmp_gt_i32 s18, 0
	s_cbranch_scc0 .LBB6_914
; %bb.913:
	global_load_sbyte v2, v[0:1], off
	s_mov_b64 s[18:19], 0
	s_waitcnt vmcnt(0)
	v_cvt_f64_i32_e32 v[2:3], v2
	s_branch .LBB6_915
.LBB6_914:
	s_mov_b64 s[18:19], -1
                                        ; implicit-def: $vgpr2_vgpr3
.LBB6_915:
	s_andn2_b64 vcc, exec, s[18:19]
	s_cbranch_vccnz .LBB6_917
; %bb.916:
	global_load_ubyte v0, v[0:1], off
	s_waitcnt vmcnt(0)
	v_cvt_f64_u32_e32 v[2:3], v0
.LBB6_917:
	s_or_b64 s[0:1], s[0:1], exec
.LBB6_918:
	s_or_b64 exec, exec, s[14:15]
	s_mov_b64 s[20:21], 0
	s_mov_b64 s[18:19], 0
                                        ; implicit-def: $sgpr26
                                        ; implicit-def: $vgpr4_vgpr5
                                        ; implicit-def: $vgpr0_vgpr1
	s_and_saveexec_b64 s[14:15], s[0:1]
	s_cbranch_execz .LBB6_930
; %bb.919:
	s_mov_b32 s0, 0
	s_mov_b32 s1, 0x41d00000
	s_waitcnt vmcnt(0)
	v_cmp_nlt_f64_e64 s[0:1], |v[2:3]|, s[0:1]
                                        ; implicit-def: $vgpr6
                                        ; implicit-def: $vgpr0_vgpr1
                                        ; implicit-def: $vgpr4_vgpr5
	s_and_saveexec_b64 s[18:19], s[0:1]
	s_xor_b64 s[18:19], exec, s[18:19]
	s_cbranch_execz .LBB6_921
; %bb.920:
	v_trig_preop_f64 v[0:1], |v[2:3]|, 0
	s_mov_b32 s0, 0
	s_mov_b32 s1, 0x7b000000
	s_movk_i32 s20, 0xff80
	v_ldexp_f64 v[6:7], |v[2:3]|, s20
	v_cmp_ge_f64_e64 vcc, |v[2:3]|, s[0:1]
	v_trig_preop_f64 v[4:5], |v[2:3]|, 1
	v_and_b32_e32 v8, 0x7fffffff, v3
	v_trig_preop_f64 v[14:15], |v[2:3]|, 2
	s_mov_b32 s0, 0
	s_mov_b32 s1, 0x7ff00000
	v_mov_b32_e32 v26, 0x40100000
	v_mov_b32_e32 v25, 0
	v_cndmask_b32_e32 v7, v8, v7, vcc
	v_cndmask_b32_e32 v6, v2, v6, vcc
	s_mov_b32 s20, 0x33145c07
	v_mul_f64 v[8:9], v[0:1], v[6:7]
	s_mov_b32 s21, 0x3c91a626
	v_mul_f64 v[10:11], v[4:5], v[6:7]
	v_mul_f64 v[20:21], v[14:15], v[6:7]
	v_fma_f64 v[0:1], v[0:1], v[6:7], -v[8:9]
	v_fma_f64 v[4:5], v[4:5], v[6:7], -v[10:11]
	;; [unrolled: 1-line block ×3, first 2 shown]
	v_add_f64 v[12:13], v[10:11], v[0:1]
	v_add_f64 v[16:17], v[12:13], -v[10:11]
	v_add_f64 v[22:23], v[8:9], v[12:13]
	v_add_f64 v[18:19], v[12:13], -v[16:17]
	v_add_f64 v[0:1], v[0:1], -v[16:17]
	v_add_f64 v[16:17], v[20:21], v[4:5]
	v_add_f64 v[8:9], v[22:23], -v[8:9]
	v_add_f64 v[10:11], v[10:11], -v[18:19]
	v_ldexp_f64 v[18:19], v[22:23], -2
	v_add_f64 v[27:28], v[16:17], -v[20:21]
	v_add_f64 v[8:9], v[12:13], -v[8:9]
	v_add_f64 v[0:1], v[0:1], v[10:11]
	v_fract_f64_e32 v[10:11], v[18:19]
	v_cmp_neq_f64_e64 vcc, |v[18:19]|, s[0:1]
	v_add_f64 v[4:5], v[4:5], -v[27:28]
	v_add_f64 v[12:13], v[16:17], v[0:1]
	v_ldexp_f64 v[10:11], v[10:11], 2
	v_add_f64 v[18:19], v[8:9], v[12:13]
	v_cndmask_b32_e32 v11, 0, v11, vcc
	v_cndmask_b32_e32 v10, 0, v10, vcc
	v_add_f64 v[29:30], v[12:13], -v[16:17]
	v_add_f64 v[22:23], v[18:19], v[10:11]
	v_add_f64 v[8:9], v[18:19], -v[8:9]
	v_add_f64 v[31:32], v[12:13], -v[29:30]
	v_add_f64 v[0:1], v[0:1], -v[29:30]
	v_cmp_gt_f64_e32 vcc, 0, v[22:23]
	v_add_f64 v[22:23], v[16:17], -v[27:28]
	v_add_f64 v[8:9], v[12:13], -v[8:9]
	;; [unrolled: 1-line block ×3, first 2 shown]
	v_cndmask_b32_e32 v26, 0, v26, vcc
	v_add_f64 v[10:11], v[10:11], v[25:26]
	v_add_f64 v[22:23], v[20:21], -v[22:23]
	v_add_f64 v[0:1], v[0:1], v[16:17]
	v_add_f64 v[33:34], v[18:19], v[10:11]
	;; [unrolled: 1-line block ×3, first 2 shown]
	v_cvt_i32_f64_e32 v28, v[33:34]
	v_add_f64 v[0:1], v[4:5], v[0:1]
	v_cvt_f64_i32_e32 v[26:27], v28
	v_add_f64 v[10:11], v[10:11], -v[26:27]
	v_add_f64 v[0:1], v[6:7], v[0:1]
	v_add_f64 v[4:5], v[18:19], v[10:11]
	v_add_f64 v[0:1], v[8:9], v[0:1]
	v_mov_b32_e32 v9, 0x3ff00000
	v_add_f64 v[6:7], v[4:5], -v[10:11]
	v_cmp_le_f64_e32 vcc, 0.5, v[4:5]
	v_add_f64 v[7:8], v[18:19], -v[6:7]
	v_cndmask_b32_e32 v26, 0, v9, vcc
	v_add_f64 v[4:5], v[4:5], -v[25:26]
	v_addc_co_u32_e64 v6, s[0:1], 0, v28, vcc
	s_mov_b32 s0, 0x54442d18
	s_mov_b32 s1, 0x3ff921fb
	v_add_f64 v[0:1], v[0:1], v[7:8]
	v_add_f64 v[7:8], v[4:5], v[0:1]
	v_mul_f64 v[9:10], v[7:8], s[0:1]
	v_add_f64 v[4:5], v[7:8], -v[4:5]
	v_fma_f64 v[11:12], v[7:8], s[0:1], -v[9:10]
	v_add_f64 v[0:1], v[0:1], -v[4:5]
	v_fma_f64 v[4:5], v[7:8], s[20:21], v[11:12]
	v_fma_f64 v[4:5], v[0:1], s[0:1], v[4:5]
	v_add_f64 v[0:1], v[9:10], v[4:5]
	v_add_f64 v[7:8], v[0:1], -v[9:10]
	v_add_f64 v[4:5], v[4:5], -v[7:8]
.LBB6_921:
	s_andn2_saveexec_b64 s[0:1], s[18:19]
	s_cbranch_execz .LBB6_923
; %bb.922:
	s_mov_b32 s18, 0x6dc9c883
	s_mov_b32 s19, 0x3fe45f30
	v_mul_f64 v[0:1], |v[2:3]|, s[18:19]
	s_mov_b32 s18, 0x54442d18
	s_mov_b32 s19, 0xbff921fb
	;; [unrolled: 1-line block ×4, first 2 shown]
	v_rndne_f64_e32 v[6:7], v[0:1]
	v_fma_f64 v[0:1], v[6:7], s[18:19], |v[2:3]|
	v_mul_f64 v[4:5], v[6:7], s[20:21]
	s_mov_b32 s18, 0x252049c0
	s_mov_b32 s19, 0xb97b839a
	v_fma_f64 v[12:13], v[6:7], s[20:21], v[0:1]
	v_add_f64 v[8:9], v[0:1], v[4:5]
	s_mov_b32 s21, 0x3c91a626
	v_add_f64 v[10:11], v[0:1], -v[8:9]
	v_add_f64 v[8:9], v[8:9], -v[12:13]
	v_add_f64 v[0:1], v[10:11], v[4:5]
	v_fma_f64 v[4:5], v[6:7], s[20:21], v[4:5]
	v_add_f64 v[0:1], v[8:9], v[0:1]
	v_add_f64 v[0:1], v[0:1], -v[4:5]
	v_fma_f64 v[4:5], v[6:7], s[18:19], v[0:1]
	v_cvt_i32_f64_e32 v6, v[6:7]
	v_add_f64 v[0:1], v[12:13], v[4:5]
	v_add_f64 v[8:9], v[0:1], -v[12:13]
	v_add_f64 v[4:5], v[4:5], -v[8:9]
.LBB6_923:
	s_or_b64 exec, exec, s[0:1]
	v_mul_f64 v[7:8], v[0:1], v[0:1]
	s_mov_b32 s0, 0xf9a43bb8
	v_mov_b32_e32 v10, 0xb42fdfa7
	v_mov_b32_e32 v11, 0xbe5ae600
	s_mov_b32 s1, 0x3de5e0b2
	s_mov_b32 s18, 0x796cde01
	v_mov_b32_e32 v9, 0x9037ab78
	s_mov_b32 s19, 0x3ec71de3
	v_fma_f64 v[11:12], v[7:8], s[0:1], v[10:11]
	s_mov_b32 s0, 0x46cc5e42
	v_mov_b32_e32 v10, 0x3e21eeb6
	s_mov_b32 s1, 0xbda907db
	v_fma_f64 v[9:10], v[7:8], s[0:1], v[9:10]
	v_mul_f64 v[13:14], v[7:8], 0.5
	s_mov_b32 s0, 0xa17f65f6
	s_mov_b32 s20, 0x19e83e5c
	v_fma_f64 v[11:12], v[7:8], v[11:12], s[18:19]
	s_mov_b32 s1, 0xbe927e4f
	s_mov_b32 s21, 0xbf2a01a0
	;; [unrolled: 1-line block ×3, first 2 shown]
	v_fma_f64 v[9:10], v[7:8], v[9:10], s[0:1]
	v_add_f64 v[15:16], -v[13:14], 1.0
	s_mov_b32 s0, 0x11110bb3
	s_mov_b32 s19, 0x3efa01a0
	v_fma_f64 v[11:12], v[7:8], v[11:12], s[20:21]
	s_mov_b32 s1, 0x3f811111
	v_mul_f64 v[17:18], v[4:5], 0.5
	v_mul_f64 v[19:20], v[0:1], -v[7:8]
	v_fma_f64 v[9:10], v[7:8], v[9:10], s[18:19]
	v_add_f64 v[21:22], -v[15:16], 1.0
	s_and_b32 s26, s33, 0xff
	s_cmp_lt_i32 s26, 11
	v_fma_f64 v[11:12], v[7:8], v[11:12], s[0:1]
	s_mov_b32 s0, 0x16c16967
	s_mov_b32 s1, 0xbf56c16c
	v_fma_f64 v[9:10], v[7:8], v[9:10], s[0:1]
	v_add_f64 v[13:14], v[21:22], -v[13:14]
	s_mov_b32 s1, 0x3fa55555
	s_mov_b32 s0, 0x55555555
	v_fma_f64 v[11:12], v[19:20], v[11:12], v[17:18]
	v_mul_f64 v[17:18], v[7:8], v[7:8]
	v_fma_f64 v[9:10], v[7:8], v[9:10], s[0:1]
	v_fma_f64 v[13:14], v[0:1], -v[4:5], v[13:14]
	s_mov_b32 s1, 0xbfc55555
	v_fma_f64 v[4:5], v[7:8], v[11:12], -v[4:5]
	v_fma_f64 v[7:8], v[17:18], v[9:10], v[13:14]
	v_and_b32_e32 v9, 1, v6
	v_cmp_eq_u32_e32 vcc, 0, v9
	v_fma_f64 v[4:5], v[19:20], s[0:1], v[4:5]
	s_movk_i32 s0, 0x1f8
	v_cmp_class_f64_e64 s[0:1], v[2:3], s0
	v_mov_b32_e32 v10, s9
	v_add_f64 v[7:8], v[15:16], v[7:8]
	v_add_f64 v[0:1], v[0:1], -v[4:5]
	v_lshlrev_b32_e32 v4, 30, v6
	v_mul_lo_u32 v6, v24, s2
	v_xor_b32_e32 v2, v4, v3
	v_and_b32_e32 v2, 0x80000000, v2
	v_mov_b32_e32 v5, 0x7ff80000
	v_ashrrev_i32_e32 v3, 31, v6
	v_cndmask_b32_e32 v1, v8, v1, vcc
	v_cndmask_b32_e32 v0, v7, v0, vcc
	v_xor_b32_e32 v1, v1, v2
	v_add_co_u32_e32 v4, vcc, s8, v6
	v_cndmask_b32_e64 v0, 0, v0, s[0:1]
	v_cndmask_b32_e64 v1, v5, v1, s[0:1]
	v_addc_co_u32_e32 v5, vcc, v10, v3, vcc
	s_cbranch_scc1 .LBB6_933
; %bb.924:
	s_and_b32 s27, 0xffff, s26
	s_mov_b64 s[20:21], -1
	s_cmp_gt_i32 s27, 25
	s_mov_b64 s[0:1], s[6:7]
	s_cbranch_scc0 .LBB6_961
; %bb.925:
	s_mov_b64 s[18:19], -1
	s_cmp_gt_i32 s27, 28
	s_mov_b64 s[0:1], s[6:7]
	s_cbranch_scc0 .LBB6_945
; %bb.926:
	s_cmp_gt_i32 s27, 43
	s_mov_b64 s[0:1], s[6:7]
	s_cbranch_scc0 .LBB6_941
; %bb.927:
	;; [unrolled: 4-line block ×3, first 2 shown]
	s_cmp_eq_u32 s27, 46
	s_mov_b64 s[0:1], -1
	s_cbranch_scc0 .LBB6_934
; %bb.929:
	v_cvt_f32_f64_e32 v2, v[0:1]
	s_movk_i32 s0, 0x7fff
	v_mov_b32_e32 v3, 0x7fc0
	s_mov_b64 s[18:19], 0
	v_bfe_u32 v6, v2, 16, 1
	v_cmp_o_f32_e32 vcc, v2, v2
	v_add3_u32 v2, v2, v6, s0
	v_cndmask_b32_sdwa v2, v3, v2, vcc dst_sel:DWORD dst_unused:UNUSED_PAD src0_sel:DWORD src1_sel:WORD_1
	global_store_dword v[4:5], v2, off
	s_mov_b64 s[0:1], 0
	s_branch .LBB6_935
.LBB6_930:
	s_or_b64 exec, exec, s[14:15]
	s_and_saveexec_b64 s[0:1], s[6:7]
	s_cbranch_execnz .LBB6_1003
.LBB6_931:
	s_or_b64 exec, exec, s[0:1]
	s_and_saveexec_b64 s[0:1], s[20:21]
	s_xor_b64 s[0:1], exec, s[0:1]
	s_cbranch_execz .LBB6_1004
.LBB6_932:
	v_cmp_neq_f64_e32 vcc, 0, v[0:1]
	s_waitcnt vmcnt(0)
	v_cndmask_b32_e64 v2, 0, 1, vcc
	global_store_byte v[4:5], v2, off
	s_or_b64 exec, exec, s[0:1]
	s_and_saveexec_b64 s[0:1], s[18:19]
	s_xor_b64 s[0:1], exec, s[0:1]
	s_cbranch_execz .LBB6_1042
	s_branch .LBB6_1005
.LBB6_933:
	s_mov_b64 s[20:21], 0
	s_mov_b64 s[18:19], -1
	s_mov_b64 s[0:1], s[6:7]
	s_branch .LBB6_1002
.LBB6_934:
	s_mov_b64 s[18:19], 0
.LBB6_935:
	s_and_b64 vcc, exec, s[18:19]
	s_cbranch_vccz .LBB6_940
; %bb.936:
	s_cmp_eq_u32 s27, 44
	s_mov_b64 s[0:1], -1
	s_cbranch_scc0 .LBB6_940
; %bb.937:
	v_cvt_f32_f64_e32 v2, v[0:1]
	s_movk_i32 s0, 0xff
	v_mov_b32_e32 v6, 0xff
	v_bfe_u32 v3, v2, 23, 8
	v_cmp_ne_u32_e32 vcc, s0, v3
	s_and_saveexec_b64 s[18:19], vcc
; %bb.938:
	s_mov_b32 s0, 0x3fffff
	v_lshrrev_b32_e32 v6, 23, v2
	v_and_b32_e32 v7, 0x400000, v2
	v_and_or_b32 v2, v2, s0, v3
	v_cmp_ne_u32_e32 vcc, 0, v7
	v_cmp_ne_u32_e64 s[0:1], 0, v2
	s_and_b64 s[0:1], vcc, s[0:1]
	v_cndmask_b32_e64 v2, 0, 1, s[0:1]
	v_add_u32_e32 v6, v6, v2
; %bb.939:
	s_or_b64 exec, exec, s[18:19]
	s_mov_b64 s[0:1], 0
	global_store_byte v[4:5], v6, off
.LBB6_940:
	s_mov_b64 s[18:19], 0
.LBB6_941:
	s_and_b64 vcc, exec, s[18:19]
	s_cbranch_vccz .LBB6_944
; %bb.942:
	s_cmp_eq_u32 s27, 29
	s_mov_b64 s[0:1], -1
	s_cbranch_scc0 .LBB6_944
; %bb.943:
	v_trunc_f64_e32 v[2:3], v[0:1]
	s_movk_i32 s0, 0xffe0
	s_mov_b64 s[18:19], 0
	v_ldexp_f64 v[6:7], v[2:3], s0
	s_mov_b32 s0, 0
	s_mov_b32 s1, 0xc1f00000
	v_floor_f64_e32 v[6:7], v[6:7]
	v_fma_f64 v[2:3], v[6:7], s[0:1], v[2:3]
	v_cvt_u32_f64_e32 v7, v[6:7]
	s_mov_b64 s[0:1], 0
	v_cvt_u32_f64_e32 v6, v[2:3]
	global_store_dwordx2 v[4:5], v[6:7], off
	s_branch .LBB6_945
.LBB6_944:
	s_mov_b64 s[18:19], 0
.LBB6_945:
	s_and_b64 vcc, exec, s[18:19]
	s_cbranch_vccz .LBB6_960
; %bb.946:
	s_cmp_lt_i32 s27, 27
	s_mov_b64 s[18:19], -1
	s_cbranch_scc1 .LBB6_952
; %bb.947:
	v_cvt_u32_f64_e32 v2, v[0:1]
	s_cmp_gt_i32 s27, 27
	s_cbranch_scc0 .LBB6_949
; %bb.948:
	s_mov_b64 s[18:19], 0
	global_store_dword v[4:5], v2, off
.LBB6_949:
	s_andn2_b64 vcc, exec, s[18:19]
	s_cbranch_vccnz .LBB6_951
; %bb.950:
	global_store_short v[4:5], v2, off
.LBB6_951:
	s_mov_b64 s[18:19], 0
.LBB6_952:
	s_andn2_b64 vcc, exec, s[18:19]
	s_cbranch_vccnz .LBB6_960
; %bb.953:
	v_cvt_f32_f64_e32 v2, v[0:1]
	s_mov_b32 s18, 0x43800000
	v_mov_b32_e32 v6, 0x80
	v_and_b32_e32 v3, 0x7fffffff, v2
	v_cmp_gt_u32_e32 vcc, s18, v3
	s_and_saveexec_b64 s[18:19], vcc
	s_cbranch_execz .LBB6_959
; %bb.954:
	s_mov_b32 s20, 0x3bffffff
	v_cmp_lt_u32_e32 vcc, s20, v3
	s_mov_b64 s[20:21], 0
                                        ; implicit-def: $vgpr3
	s_and_saveexec_b64 s[22:23], vcc
	s_xor_b64 s[22:23], exec, s[22:23]
	s_cbranch_execz .LBB6_1057
; %bb.955:
	v_bfe_u32 v3, v2, 20, 1
	s_mov_b32 s24, 0x487ffff
	v_add3_u32 v3, v2, v3, s24
	s_mov_b64 s[20:21], exec
	v_lshrrev_b32_e32 v3, 20, v3
	s_andn2_saveexec_b64 s[22:23], s[22:23]
	s_cbranch_execnz .LBB6_1058
.LBB6_956:
	s_or_b64 exec, exec, s[22:23]
	v_mov_b32_e32 v6, 0
	s_and_saveexec_b64 s[22:23], s[20:21]
.LBB6_957:
	v_lshrrev_b32_e32 v2, 24, v2
	s_movk_i32 s20, 0x80
	v_and_or_b32 v6, v2, s20, v3
.LBB6_958:
	s_or_b64 exec, exec, s[22:23]
.LBB6_959:
	s_or_b64 exec, exec, s[18:19]
	global_store_byte v[4:5], v6, off
.LBB6_960:
	s_mov_b64 s[20:21], 0
.LBB6_961:
	s_mov_b64 s[18:19], 0
	s_and_b64 vcc, exec, s[20:21]
	s_cbranch_vccz .LBB6_1001
; %bb.962:
	s_cmp_gt_i32 s27, 22
	s_mov_b64 s[20:21], -1
	s_cbranch_scc0 .LBB6_994
; %bb.963:
	s_cmp_lt_i32 s27, 24
	s_cbranch_scc1 .LBB6_983
; %bb.964:
	s_cmp_gt_i32 s27, 24
	s_cbranch_scc0 .LBB6_972
; %bb.965:
	v_cvt_f32_f64_e32 v2, v[0:1]
	s_mov_b32 s20, 0x47800000
	v_mov_b32_e32 v6, 0x80
	v_and_b32_e32 v3, 0x7fffffff, v2
	v_cmp_gt_u32_e32 vcc, s20, v3
	s_and_saveexec_b64 s[20:21], vcc
	s_cbranch_execz .LBB6_971
; %bb.966:
	s_mov_b32 s22, 0x37ffffff
	v_cmp_lt_u32_e32 vcc, s22, v3
	s_mov_b64 s[22:23], 0
                                        ; implicit-def: $vgpr3
	s_and_saveexec_b64 s[24:25], vcc
	s_xor_b64 s[24:25], exec, s[24:25]
	s_cbranch_execz .LBB6_1186
; %bb.967:
	v_bfe_u32 v3, v2, 21, 1
	s_mov_b32 s28, 0x88fffff
	v_add3_u32 v3, v2, v3, s28
	s_mov_b64 s[22:23], exec
	v_lshrrev_b32_e32 v3, 21, v3
	s_andn2_saveexec_b64 s[24:25], s[24:25]
	s_cbranch_execnz .LBB6_1187
.LBB6_968:
	s_or_b64 exec, exec, s[24:25]
	v_mov_b32_e32 v6, 0
	s_and_saveexec_b64 s[24:25], s[22:23]
.LBB6_969:
	v_lshrrev_b32_e32 v2, 24, v2
	s_movk_i32 s22, 0x80
	v_and_or_b32 v6, v2, s22, v3
.LBB6_970:
	s_or_b64 exec, exec, s[24:25]
.LBB6_971:
	s_or_b64 exec, exec, s[20:21]
	s_mov_b64 s[20:21], 0
	global_store_byte v[4:5], v6, off
.LBB6_972:
	s_and_b64 vcc, exec, s[20:21]
	s_cbranch_vccz .LBB6_982
; %bb.973:
	v_cvt_f32_f64_e32 v2, v[0:1]
	s_mov_b32 s20, 0x43f00000
                                        ; implicit-def: $vgpr3
	v_and_b32_e32 v6, 0x7fffffff, v2
	v_cmp_gt_u32_e32 vcc, s20, v6
	s_and_saveexec_b64 s[20:21], vcc
	s_xor_b64 s[20:21], exec, s[20:21]
	s_cbranch_execz .LBB6_979
; %bb.974:
	s_mov_b32 s22, 0x3c7fffff
	v_cmp_lt_u32_e32 vcc, s22, v6
                                        ; implicit-def: $vgpr3
	s_and_saveexec_b64 s[22:23], vcc
	s_xor_b64 s[22:23], exec, s[22:23]
; %bb.975:
	v_bfe_u32 v3, v2, 20, 1
	s_mov_b32 s24, 0x407ffff
	v_add3_u32 v3, v2, v3, s24
	v_lshrrev_b32_e32 v6, 20, v3
	v_and_b32_e32 v3, 0xff00000, v3
	s_mov_b32 s24, 0x7f00000
	v_mov_b32_e32 v7, 0x7e
	v_cmp_ne_u32_e32 vcc, s24, v3
	v_cndmask_b32_e32 v3, v7, v6, vcc
; %bb.976:
	s_andn2_saveexec_b64 s[22:23], s[22:23]
; %bb.977:
	s_mov_b32 s24, 0x46800000
	v_add_f32_e64 v3, |v2|, s24
; %bb.978:
	s_or_b64 exec, exec, s[22:23]
                                        ; implicit-def: $vgpr6
.LBB6_979:
	s_andn2_saveexec_b64 s[20:21], s[20:21]
; %bb.980:
	s_mov_b32 s22, 0x7f800000
	v_mov_b32_e32 v3, 0x7e
	v_mov_b32_e32 v7, 0x7f
	v_cmp_lt_u32_e32 vcc, s22, v6
	v_cndmask_b32_e32 v3, v3, v7, vcc
; %bb.981:
	s_or_b64 exec, exec, s[20:21]
	v_lshrrev_b32_e32 v2, 24, v2
	s_movk_i32 s20, 0x80
	v_and_or_b32 v2, v2, s20, v3
	global_store_byte v[4:5], v2, off
.LBB6_982:
	s_mov_b64 s[20:21], 0
.LBB6_983:
	s_andn2_b64 vcc, exec, s[20:21]
	s_cbranch_vccnz .LBB6_993
; %bb.984:
	v_cvt_f32_f64_e32 v2, v[0:1]
	s_mov_b32 s20, 0x47800000
                                        ; implicit-def: $vgpr3
	v_and_b32_e32 v6, 0x7fffffff, v2
	v_cmp_gt_u32_e32 vcc, s20, v6
	s_and_saveexec_b64 s[20:21], vcc
	s_xor_b64 s[20:21], exec, s[20:21]
	s_cbranch_execz .LBB6_990
; %bb.985:
	s_mov_b32 s22, 0x387fffff
	v_cmp_lt_u32_e32 vcc, s22, v6
                                        ; implicit-def: $vgpr3
	s_and_saveexec_b64 s[22:23], vcc
	s_xor_b64 s[22:23], exec, s[22:23]
; %bb.986:
	v_bfe_u32 v3, v2, 21, 1
	s_mov_b32 s24, 0x80fffff
	v_add3_u32 v3, v2, v3, s24
	v_lshrrev_b32_e32 v3, 21, v3
; %bb.987:
	s_andn2_saveexec_b64 s[22:23], s[22:23]
; %bb.988:
	s_mov_b32 s24, 0x43000000
	v_add_f32_e64 v3, |v2|, s24
; %bb.989:
	s_or_b64 exec, exec, s[22:23]
                                        ; implicit-def: $vgpr6
.LBB6_990:
	s_andn2_saveexec_b64 s[20:21], s[20:21]
; %bb.991:
	s_mov_b32 s22, 0x7f800000
	v_mov_b32_e32 v3, 0x7c
	v_mov_b32_e32 v7, 0x7f
	v_cmp_lt_u32_e32 vcc, s22, v6
	v_cndmask_b32_e32 v3, v3, v7, vcc
; %bb.992:
	s_or_b64 exec, exec, s[20:21]
	v_lshrrev_b32_e32 v2, 24, v2
	s_movk_i32 s20, 0x80
	v_and_or_b32 v2, v2, s20, v3
	global_store_byte v[4:5], v2, off
.LBB6_993:
	s_mov_b64 s[20:21], 0
.LBB6_994:
	s_andn2_b64 vcc, exec, s[20:21]
	s_mov_b64 s[20:21], 0
	s_cbranch_vccnz .LBB6_1002
; %bb.995:
	s_cmp_gt_i32 s27, 14
	s_mov_b64 s[22:23], -1
	s_cbranch_scc0 .LBB6_999
; %bb.996:
	s_cmp_eq_u32 s27, 15
	s_mov_b64 s[0:1], -1
	s_cbranch_scc0 .LBB6_998
; %bb.997:
	v_cvt_f32_f64_e32 v2, v[0:1]
	s_movk_i32 s0, 0x7fff
	v_mov_b32_e32 v3, 0x7fc0
	v_bfe_u32 v6, v2, 16, 1
	v_cmp_o_f32_e32 vcc, v2, v2
	v_add3_u32 v2, v2, v6, s0
	v_cndmask_b32_sdwa v2, v3, v2, vcc dst_sel:DWORD dst_unused:UNUSED_PAD src0_sel:DWORD src1_sel:WORD_1
	global_store_short v[4:5], v2, off
	s_mov_b64 s[0:1], 0
.LBB6_998:
	s_mov_b64 s[22:23], 0
.LBB6_999:
	s_and_b64 vcc, exec, s[22:23]
	s_cbranch_vccz .LBB6_1002
; %bb.1000:
	s_cmp_lg_u32 s27, 11
	s_cselect_b64 s[22:23], -1, 0
	s_andn2_b64 s[0:1], s[0:1], exec
	s_and_b64 s[22:23], s[22:23], exec
	s_mov_b64 s[20:21], -1
	s_or_b64 s[0:1], s[0:1], s[22:23]
	s_branch .LBB6_1002
.LBB6_1001:
	s_mov_b64 s[20:21], 0
.LBB6_1002:
	s_andn2_b64 s[6:7], s[6:7], exec
	s_and_b64 s[0:1], s[0:1], exec
	s_and_b64 s[18:19], s[18:19], exec
	;; [unrolled: 1-line block ×3, first 2 shown]
	s_or_b64 s[6:7], s[6:7], s[0:1]
	s_or_b64 exec, exec, s[14:15]
	s_and_saveexec_b64 s[0:1], s[6:7]
	s_cbranch_execz .LBB6_931
.LBB6_1003:
	s_or_b64 s[16:17], s[16:17], exec
	s_andn2_b64 s[20:21], s[20:21], exec
	s_trap 2
	s_or_b64 exec, exec, s[0:1]
	s_and_saveexec_b64 s[0:1], s[20:21]
	s_xor_b64 s[0:1], exec, s[0:1]
	s_cbranch_execnz .LBB6_932
.LBB6_1004:
	s_or_b64 exec, exec, s[0:1]
	s_and_saveexec_b64 s[0:1], s[18:19]
	s_xor_b64 s[0:1], exec, s[0:1]
	s_cbranch_execz .LBB6_1042
.LBB6_1005:
	s_sext_i32_i16 s14, s26
	s_cmp_lt_i32 s14, 5
	s_mov_b64 s[6:7], -1
	s_cbranch_scc1 .LBB6_1026
; %bb.1006:
	s_cmp_lt_i32 s14, 8
	s_cbranch_scc1 .LBB6_1016
; %bb.1007:
	s_cmp_lt_i32 s14, 9
	s_cbranch_scc1 .LBB6_1013
; %bb.1008:
	s_cmp_gt_i32 s14, 9
	s_cbranch_scc0 .LBB6_1010
; %bb.1009:
	s_waitcnt vmcnt(0)
	v_mov_b32_e32 v2, 0
	v_mov_b32_e32 v3, v2
	s_mov_b64 s[6:7], 0
	global_store_dwordx4 v[4:5], v[0:3], off
.LBB6_1010:
	s_andn2_b64 vcc, exec, s[6:7]
	s_cbranch_vccnz .LBB6_1012
; %bb.1011:
	s_waitcnt vmcnt(0)
	v_cvt_f32_f64_e32 v2, v[0:1]
	v_mov_b32_e32 v3, 0
	global_store_dwordx2 v[4:5], v[2:3], off
.LBB6_1012:
	s_mov_b64 s[6:7], 0
.LBB6_1013:
	s_andn2_b64 vcc, exec, s[6:7]
	s_cbranch_vccnz .LBB6_1015
; %bb.1014:
	s_movk_i32 s6, 0x1ff
	s_waitcnt vmcnt(0)
	v_and_or_b32 v2, v1, s6, v0
	v_cmp_ne_u32_e32 vcc, 0, v2
	v_cndmask_b32_e64 v2, 0, 1, vcc
	v_lshrrev_b32_e32 v3, 8, v1
	s_movk_i32 s6, 0xffe
	v_bfe_u32 v6, v1, 20, 11
	v_and_or_b32 v2, v3, s6, v2
	v_sub_u32_e32 v7, 0x3f1, v6
	v_or_b32_e32 v3, 0x1000, v2
	v_med3_i32 v7, v7, 0, 13
	v_lshrrev_b32_e32 v8, v7, v3
	v_lshlrev_b32_e32 v7, v7, v8
	v_cmp_ne_u32_e32 vcc, v7, v3
	v_cndmask_b32_e64 v3, 0, 1, vcc
	v_add_u32_e32 v6, 0xfffffc10, v6
	v_or_b32_e32 v3, v8, v3
	v_lshl_or_b32 v7, v6, 12, v2
	v_cmp_gt_i32_e32 vcc, 1, v6
	v_cndmask_b32_e32 v3, v7, v3, vcc
	v_and_b32_e32 v7, 7, v3
	v_cmp_lt_i32_e32 vcc, 5, v7
	v_cndmask_b32_e64 v8, 0, 1, vcc
	v_cmp_eq_u32_e32 vcc, 3, v7
	v_cndmask_b32_e64 v7, 0, 1, vcc
	v_or_b32_e32 v7, v7, v8
	v_lshrrev_b32_e32 v3, 2, v3
	v_add_u32_e32 v3, v3, v7
	v_mov_b32_e32 v7, 0x7c00
	v_cmp_gt_i32_e32 vcc, 31, v6
	v_cndmask_b32_e32 v3, v7, v3, vcc
	v_mov_b32_e32 v8, 0x7e00
	v_cmp_ne_u32_e32 vcc, 0, v2
	s_movk_i32 s6, 0x40f
	v_cndmask_b32_e32 v2, v7, v8, vcc
	v_cmp_eq_u32_e32 vcc, s6, v6
	v_cndmask_b32_e32 v2, v3, v2, vcc
	v_lshrrev_b32_e32 v3, 16, v1
	s_mov_b32 s6, 0x8000
	v_and_or_b32 v2, v3, s6, v2
	v_and_b32_e32 v2, 0xffff, v2
	global_store_dword v[4:5], v2, off
.LBB6_1015:
	s_mov_b64 s[6:7], 0
.LBB6_1016:
	s_andn2_b64 vcc, exec, s[6:7]
	s_cbranch_vccnz .LBB6_1025
; %bb.1017:
	s_sext_i32_i16 s14, s26
	s_cmp_lt_i32 s14, 6
	s_mov_b64 s[6:7], -1
	s_cbranch_scc1 .LBB6_1023
; %bb.1018:
	s_cmp_gt_i32 s14, 6
	s_cbranch_scc0 .LBB6_1020
; %bb.1019:
	s_mov_b64 s[6:7], 0
	global_store_dwordx2 v[4:5], v[0:1], off
.LBB6_1020:
	s_andn2_b64 vcc, exec, s[6:7]
	s_cbranch_vccnz .LBB6_1022
; %bb.1021:
	s_waitcnt vmcnt(0)
	v_cvt_f32_f64_e32 v2, v[0:1]
	global_store_dword v[4:5], v2, off
.LBB6_1022:
	s_mov_b64 s[6:7], 0
.LBB6_1023:
	s_andn2_b64 vcc, exec, s[6:7]
	s_cbranch_vccnz .LBB6_1025
; %bb.1024:
	s_movk_i32 s6, 0x1ff
	s_waitcnt vmcnt(0)
	v_and_or_b32 v2, v1, s6, v0
	v_cmp_ne_u32_e32 vcc, 0, v2
	v_cndmask_b32_e64 v2, 0, 1, vcc
	v_lshrrev_b32_e32 v3, 8, v1
	s_movk_i32 s6, 0xffe
	v_bfe_u32 v6, v1, 20, 11
	v_and_or_b32 v2, v3, s6, v2
	v_sub_u32_e32 v7, 0x3f1, v6
	v_or_b32_e32 v3, 0x1000, v2
	v_med3_i32 v7, v7, 0, 13
	v_lshrrev_b32_e32 v8, v7, v3
	v_lshlrev_b32_e32 v7, v7, v8
	v_cmp_ne_u32_e32 vcc, v7, v3
	v_cndmask_b32_e64 v3, 0, 1, vcc
	v_add_u32_e32 v6, 0xfffffc10, v6
	v_or_b32_e32 v3, v8, v3
	v_lshl_or_b32 v7, v6, 12, v2
	v_cmp_gt_i32_e32 vcc, 1, v6
	v_cndmask_b32_e32 v3, v7, v3, vcc
	v_and_b32_e32 v7, 7, v3
	v_cmp_lt_i32_e32 vcc, 5, v7
	v_cndmask_b32_e64 v8, 0, 1, vcc
	v_cmp_eq_u32_e32 vcc, 3, v7
	v_cndmask_b32_e64 v7, 0, 1, vcc
	v_or_b32_e32 v7, v7, v8
	v_lshrrev_b32_e32 v3, 2, v3
	v_add_u32_e32 v3, v3, v7
	v_mov_b32_e32 v7, 0x7c00
	v_cmp_gt_i32_e32 vcc, 31, v6
	v_cndmask_b32_e32 v3, v7, v3, vcc
	v_mov_b32_e32 v8, 0x7e00
	v_cmp_ne_u32_e32 vcc, 0, v2
	s_movk_i32 s6, 0x40f
	v_cndmask_b32_e32 v2, v7, v8, vcc
	v_cmp_eq_u32_e32 vcc, s6, v6
	v_cndmask_b32_e32 v2, v3, v2, vcc
	v_lshrrev_b32_e32 v3, 16, v1
	s_mov_b32 s6, 0x8000
	v_and_or_b32 v2, v3, s6, v2
	global_store_short v[4:5], v2, off
.LBB6_1025:
	s_mov_b64 s[6:7], 0
.LBB6_1026:
	s_andn2_b64 vcc, exec, s[6:7]
	s_cbranch_vccnz .LBB6_1042
; %bb.1027:
	s_sext_i32_i16 s14, s26
	s_cmp_lt_i32 s14, 2
	s_mov_b64 s[6:7], -1
	s_cbranch_scc1 .LBB6_1037
; %bb.1028:
	s_cmp_lt_i32 s14, 3
	s_cbranch_scc1 .LBB6_1034
; %bb.1029:
	s_cmp_gt_i32 s14, 3
	s_cbranch_scc0 .LBB6_1031
; %bb.1030:
	s_waitcnt vmcnt(0)
	v_trunc_f64_e32 v[2:3], v[0:1]
	s_movk_i32 s6, 0xffe0
	v_ldexp_f64 v[6:7], v[2:3], s6
	s_mov_b32 s6, 0
	s_mov_b32 s7, 0xc1f00000
	v_floor_f64_e32 v[6:7], v[6:7]
	v_fma_f64 v[2:3], v[6:7], s[6:7], v[2:3]
	v_cvt_i32_f64_e32 v7, v[6:7]
	s_mov_b64 s[6:7], 0
	v_cvt_u32_f64_e32 v6, v[2:3]
	global_store_dwordx2 v[4:5], v[6:7], off
.LBB6_1031:
	s_andn2_b64 vcc, exec, s[6:7]
	s_cbranch_vccnz .LBB6_1033
; %bb.1032:
	s_waitcnt vmcnt(0)
	v_cvt_i32_f64_e32 v2, v[0:1]
	global_store_dword v[4:5], v2, off
.LBB6_1033:
	s_mov_b64 s[6:7], 0
.LBB6_1034:
	s_andn2_b64 vcc, exec, s[6:7]
	s_cbranch_vccnz .LBB6_1036
; %bb.1035:
	s_waitcnt vmcnt(0)
	v_cvt_i32_f64_e32 v2, v[0:1]
	global_store_short v[4:5], v2, off
.LBB6_1036:
	s_mov_b64 s[6:7], 0
.LBB6_1037:
	s_andn2_b64 vcc, exec, s[6:7]
	s_cbranch_vccnz .LBB6_1042
; %bb.1038:
	s_sext_i32_i16 s6, s26
	s_cmp_gt_i32 s6, 0
	s_mov_b64 s[6:7], -1
	s_cbranch_scc0 .LBB6_1040
; %bb.1039:
	s_waitcnt vmcnt(0)
	v_cvt_i32_f64_e32 v2, v[0:1]
	s_mov_b64 s[6:7], 0
	global_store_byte v[4:5], v2, off
.LBB6_1040:
	s_andn2_b64 vcc, exec, s[6:7]
	s_cbranch_vccnz .LBB6_1042
; %bb.1041:
	v_trunc_f64_e32 v[0:1], v[0:1]
	s_movk_i32 s6, 0xffe0
	s_waitcnt vmcnt(0)
	v_ldexp_f64 v[2:3], v[0:1], s6
	s_mov_b32 s6, 0
	s_mov_b32 s7, 0xc1f00000
	v_floor_f64_e32 v[2:3], v[2:3]
	v_fma_f64 v[0:1], v[2:3], s[6:7], v[0:1]
	v_cvt_u32_f64_e32 v0, v[0:1]
	global_store_byte v[4:5], v0, off
.LBB6_1042:
	s_or_b64 exec, exec, s[0:1]
	s_and_b64 s[6:7], s[16:17], exec
                                        ; implicit-def: $vgpr24
.LBB6_1043:
	s_or_saveexec_b64 s[4:5], s[4:5]
	s_mov_b64 s[0:1], 0
                                        ; implicit-def: $sgpr20
                                        ; implicit-def: $vgpr4_vgpr5
                                        ; implicit-def: $vgpr0_vgpr1
	s_xor_b64 exec, exec, s[4:5]
	s_cbranch_execz .LBB6_2007
; %bb.1044:
	v_mul_lo_u32 v4, s3, v24
	v_mov_b32_e32 v0, s11
	s_and_b32 s22, 0xffff, s42
	s_cmp_lt_i32 s22, 11
	v_ashrrev_i32_e32 v1, 31, v4
	s_waitcnt vmcnt(0)
	v_add_co_u32_e32 v2, vcc, s10, v4
	v_addc_co_u32_e32 v3, vcc, v0, v1, vcc
	s_cbranch_scc1 .LBB6_1051
; %bb.1045:
	s_cmp_gt_i32 s22, 25
	s_cbranch_scc0 .LBB6_1053
; %bb.1046:
	s_cmp_gt_i32 s22, 28
	s_cbranch_scc0 .LBB6_1054
	;; [unrolled: 3-line block ×4, first 2 shown]
; %bb.1049:
	s_cmp_eq_u32 s22, 46
	s_mov_b64 s[14:15], 0
	s_cbranch_scc0 .LBB6_1059
; %bb.1050:
	global_load_dword v0, v[2:3], off
	s_mov_b64 s[16:17], -1
	s_waitcnt vmcnt(0)
	v_lshlrev_b32_e32 v0, 16, v0
	v_cvt_f64_f32_e32 v[0:1], v0
	s_branch .LBB6_1060
.LBB6_1051:
	s_mov_b64 s[16:17], 0
                                        ; implicit-def: $vgpr0_vgpr1
	s_mov_b64 s[14:15], s[6:7]
	s_cbranch_execnz .LBB6_1123
.LBB6_1052:
	s_andn2_b64 vcc, exec, s[16:17]
                                        ; implicit-def: $vgpr2_vgpr3
	s_cbranch_vccz .LBB6_1168
	s_branch .LBB6_2005
.LBB6_1053:
	s_mov_b64 s[16:17], 0
                                        ; implicit-def: $vgpr0_vgpr1
	s_cbranch_execnz .LBB6_1090
	s_branch .LBB6_1119
.LBB6_1054:
	s_mov_b64 s[14:15], -1
	s_mov_b64 s[16:17], 0
                                        ; implicit-def: $vgpr0_vgpr1
	s_branch .LBB6_1069
.LBB6_1055:
	s_mov_b64 s[16:17], 0
                                        ; implicit-def: $vgpr0_vgpr1
	s_cbranch_execnz .LBB6_1065
	s_branch .LBB6_1068
.LBB6_1056:
	s_mov_b64 s[14:15], -1
	s_mov_b64 s[16:17], 0
                                        ; implicit-def: $vgpr0_vgpr1
	s_branch .LBB6_1060
.LBB6_1057:
	s_andn2_saveexec_b64 s[22:23], s[22:23]
	s_cbranch_execz .LBB6_956
.LBB6_1058:
	s_mov_b32 s24, 0x46000000
	v_add_f32_e64 v3, |v2|, s24
	v_and_b32_e32 v3, 0xff, v3
	v_cmp_ne_u32_e32 vcc, 0, v3
	s_andn2_b64 s[20:21], s[20:21], exec
	s_and_b64 s[24:25], vcc, exec
	s_or_b64 s[20:21], s[20:21], s[24:25]
	s_or_b64 exec, exec, s[22:23]
	v_mov_b32_e32 v6, 0
	s_and_saveexec_b64 s[22:23], s[20:21]
	s_cbranch_execnz .LBB6_957
	s_branch .LBB6_958
.LBB6_1059:
	s_mov_b64 s[0:1], -1
                                        ; implicit-def: $vgpr0_vgpr1
	s_mov_b64 s[16:17], 0
.LBB6_1060:
	s_and_b64 vcc, exec, s[14:15]
	s_cbranch_vccz .LBB6_1063
; %bb.1061:
	s_cmp_eq_u32 s22, 44
	s_cbranch_scc0 .LBB6_1064
; %bb.1062:
	global_load_ubyte v5, v[2:3], off
	s_movk_i32 s14, 0xff
	v_bfrev_b32_e32 v6, 4
	v_mov_b32_e32 v7, 0x7ff80000
	v_bfrev_b32_e32 v8, 28
	s_mov_b64 s[0:1], 0
	s_mov_b64 s[16:17], -1
	s_waitcnt vmcnt(0)
	v_lshlrev_b32_e32 v0, 23, v5
	v_cvt_f64_f32_e32 v[0:1], v0
	v_cmp_ne_u32_e32 vcc, s14, v5
	v_cndmask_b32_e32 v0, v6, v0, vcc
	v_cndmask_b32_e32 v1, v7, v1, vcc
	v_cmp_ne_u32_e32 vcc, 0, v5
	v_cndmask_b32_e32 v1, v8, v1, vcc
	v_cndmask_b32_e32 v0, 0, v0, vcc
.LBB6_1063:
	s_branch .LBB6_1068
.LBB6_1064:
	s_mov_b64 s[0:1], -1
                                        ; implicit-def: $vgpr0_vgpr1
	s_branch .LBB6_1068
.LBB6_1065:
	s_cmp_eq_u32 s22, 29
	s_cbranch_scc0 .LBB6_1067
; %bb.1066:
	global_load_dwordx2 v[0:1], v[2:3], off
	s_mov_b64 s[0:1], 0
	s_mov_b64 s[16:17], -1
	s_mov_b64 s[14:15], 0
	s_waitcnt vmcnt(0)
	v_cvt_f64_u32_e32 v[5:6], v1
	v_cvt_f64_u32_e32 v[0:1], v0
	v_ldexp_f64 v[5:6], v[5:6], 32
	v_add_f64 v[0:1], v[5:6], v[0:1]
	s_branch .LBB6_1069
.LBB6_1067:
	s_mov_b64 s[0:1], -1
                                        ; implicit-def: $vgpr0_vgpr1
.LBB6_1068:
	s_mov_b64 s[14:15], 0
.LBB6_1069:
	s_and_b64 vcc, exec, s[14:15]
	s_cbranch_vccz .LBB6_1089
; %bb.1070:
	s_cmp_lt_i32 s22, 27
	s_cbranch_scc1 .LBB6_1073
; %bb.1071:
	s_cmp_gt_i32 s22, 27
	s_cbranch_scc0 .LBB6_1074
; %bb.1072:
	global_load_dword v0, v[2:3], off
	s_mov_b64 s[14:15], 0
	s_waitcnt vmcnt(0)
	v_cvt_f64_u32_e32 v[0:1], v0
	s_branch .LBB6_1075
.LBB6_1073:
	s_mov_b64 s[14:15], -1
                                        ; implicit-def: $vgpr0_vgpr1
	s_branch .LBB6_1078
.LBB6_1074:
	s_mov_b64 s[14:15], -1
                                        ; implicit-def: $vgpr0_vgpr1
.LBB6_1075:
	s_andn2_b64 vcc, exec, s[14:15]
	s_cbranch_vccnz .LBB6_1077
; %bb.1076:
	global_load_ushort v0, v[2:3], off
	s_waitcnt vmcnt(0)
	v_cvt_f64_u32_e32 v[0:1], v0
.LBB6_1077:
	s_mov_b64 s[14:15], 0
.LBB6_1078:
	s_andn2_b64 vcc, exec, s[14:15]
	s_cbranch_vccnz .LBB6_1088
; %bb.1079:
	global_load_ubyte v5, v[2:3], off
	s_movk_i32 s14, 0x7f
	s_waitcnt vmcnt(0)
	v_cmp_lt_i16_e32 vcc, s14, v5
	s_mov_b64 s[14:15], 0
	s_and_saveexec_b64 s[16:17], vcc
	s_xor_b64 s[16:17], exec, s[16:17]
	s_cbranch_execz .LBB6_1083
; %bb.1080:
	s_movk_i32 s14, 0x80
	v_cmp_eq_u16_e32 vcc, s14, v5
	s_mov_b64 s[14:15], -1
	s_and_saveexec_b64 s[18:19], vcc
; %bb.1081:
	s_xor_b64 s[14:15], exec, -1
; %bb.1082:
	s_or_b64 exec, exec, s[18:19]
	s_and_b64 s[14:15], s[14:15], exec
.LBB6_1083:
	s_or_saveexec_b64 s[16:17], s[16:17]
	v_bfrev_b32_e32 v0, 4
	v_mov_b32_e32 v1, 0x7ff80000
	s_xor_b64 exec, exec, s[16:17]
; %bb.1084:
	v_cmp_ne_u16_e32 vcc, 0, v5
	v_mov_b32_e32 v0, 0
	s_andn2_b64 s[14:15], s[14:15], exec
	s_and_b64 s[18:19], vcc, exec
	v_mov_b32_e32 v1, 0
	s_or_b64 s[14:15], s[14:15], s[18:19]
; %bb.1085:
	s_or_b64 exec, exec, s[16:17]
	s_and_saveexec_b64 s[16:17], s[14:15]
	s_cbranch_execz .LBB6_1087
; %bb.1086:
	v_and_b32_e32 v1, 0xffff, v5
	v_lshlrev_b32_e32 v0, 24, v5
	v_and_b32_e32 v5, 7, v1
	v_ffbh_u32_e32 v7, v5
	v_min_u32_e32 v7, 32, v7
	v_subrev_u32_e32 v8, 28, v7
	v_bfe_u32 v6, v1, 3, 4
	v_lshlrev_b32_e32 v1, v8, v1
	v_sub_u32_e32 v7, 29, v7
	v_and_b32_e32 v1, 7, v1
	v_cmp_eq_u32_e32 vcc, 0, v6
	v_cndmask_b32_e32 v6, v6, v7, vcc
	v_cndmask_b32_e32 v1, v5, v1, vcc
	v_mov_b32_e32 v5, 0x3b800000
	v_lshlrev_b32_e32 v1, 20, v1
	v_and_b32_e32 v0, 0x80000000, v0
	v_lshl_add_u32 v5, v6, 23, v5
	v_or3_b32 v0, v0, v5, v1
	v_cvt_f64_f32_e32 v[0:1], v0
.LBB6_1087:
	s_or_b64 exec, exec, s[16:17]
.LBB6_1088:
	s_mov_b64 s[16:17], -1
.LBB6_1089:
	s_branch .LBB6_1119
.LBB6_1090:
	s_cmp_gt_i32 s22, 22
	s_cbranch_scc0 .LBB6_1102
; %bb.1091:
	s_cmp_lt_i32 s22, 24
	s_cbranch_scc1 .LBB6_1103
; %bb.1092:
	s_cmp_gt_i32 s22, 24
	s_cbranch_scc0 .LBB6_1104
; %bb.1093:
	global_load_ubyte v5, v[2:3], off
	s_movk_i32 s12, 0x7f
	s_waitcnt vmcnt(0)
	v_cmp_lt_i16_e32 vcc, s12, v5
	s_mov_b64 s[12:13], 0
	s_and_saveexec_b64 s[14:15], vcc
	s_xor_b64 s[14:15], exec, s[14:15]
	s_cbranch_execz .LBB6_1097
; %bb.1094:
	s_movk_i32 s12, 0x80
	v_cmp_eq_u16_e32 vcc, s12, v5
	s_mov_b64 s[12:13], -1
	s_and_saveexec_b64 s[16:17], vcc
; %bb.1095:
	s_xor_b64 s[12:13], exec, -1
; %bb.1096:
	s_or_b64 exec, exec, s[16:17]
	s_and_b64 s[12:13], s[12:13], exec
.LBB6_1097:
	s_or_saveexec_b64 s[14:15], s[14:15]
	v_bfrev_b32_e32 v0, 4
	v_mov_b32_e32 v1, 0x7ff80000
	s_xor_b64 exec, exec, s[14:15]
; %bb.1098:
	v_cmp_ne_u16_e32 vcc, 0, v5
	v_mov_b32_e32 v0, 0
	s_andn2_b64 s[12:13], s[12:13], exec
	s_and_b64 s[16:17], vcc, exec
	v_mov_b32_e32 v1, 0
	s_or_b64 s[12:13], s[12:13], s[16:17]
; %bb.1099:
	s_or_b64 exec, exec, s[14:15]
	s_and_saveexec_b64 s[14:15], s[12:13]
	s_cbranch_execz .LBB6_1101
; %bb.1100:
	v_and_b32_e32 v1, 0xffff, v5
	v_lshlrev_b32_e32 v0, 24, v5
	v_and_b32_e32 v5, 3, v1
	v_ffbh_u32_e32 v7, v5
	v_min_u32_e32 v7, 32, v7
	v_subrev_u32_e32 v8, 29, v7
	v_bfe_u32 v6, v1, 2, 5
	v_lshlrev_b32_e32 v1, v8, v1
	v_sub_u32_e32 v7, 30, v7
	v_and_b32_e32 v1, 3, v1
	v_cmp_eq_u32_e32 vcc, 0, v6
	v_cndmask_b32_e32 v6, v6, v7, vcc
	v_cndmask_b32_e32 v1, v5, v1, vcc
	v_mov_b32_e32 v5, 0x37800000
	v_lshlrev_b32_e32 v1, 21, v1
	v_and_b32_e32 v0, 0x80000000, v0
	v_lshl_add_u32 v5, v6, 23, v5
	v_or3_b32 v0, v0, v5, v1
	v_cvt_f64_f32_e32 v[0:1], v0
.LBB6_1101:
	s_or_b64 exec, exec, s[14:15]
	s_mov_b64 s[12:13], 0
	s_branch .LBB6_1105
.LBB6_1102:
                                        ; implicit-def: $vgpr0_vgpr1
	s_mov_b64 s[12:13], 0
	s_branch .LBB6_1111
.LBB6_1103:
	s_mov_b64 s[12:13], -1
                                        ; implicit-def: $vgpr0_vgpr1
	s_branch .LBB6_1108
.LBB6_1104:
	s_mov_b64 s[12:13], -1
                                        ; implicit-def: $vgpr0_vgpr1
.LBB6_1105:
	s_and_b64 vcc, exec, s[12:13]
	s_cbranch_vccz .LBB6_1107
; %bb.1106:
	global_load_ubyte v0, v[2:3], off
	s_mov_b32 s12, 0x7f800000
	s_waitcnt vmcnt(0)
	v_lshlrev_b32_e32 v0, 24, v0
	v_and_b32_e32 v1, 0x7f000000, v0
	v_ffbh_u32_e32 v5, v1
	v_min_u32_e32 v5, 32, v5
	v_sub_u32_e64 v5, v5, 4 clamp
	v_lshlrev_b32_e32 v7, v5, v1
	v_lshlrev_b32_e32 v5, 23, v5
	v_lshrrev_b32_e32 v7, 4, v7
	v_add_u32_e32 v6, 0x1000000, v1
	v_sub_u32_e32 v5, v7, v5
	v_ashrrev_i32_e32 v6, 8, v6
	v_add_u32_e32 v5, 0x3c000000, v5
	v_and_or_b32 v5, v6, s12, v5
	v_cmp_ne_u32_e32 vcc, 0, v1
	v_cndmask_b32_e32 v1, 0, v5, vcc
	s_brev_b32 s12, 1
	v_and_or_b32 v0, v0, s12, v1
	v_cvt_f64_f32_e32 v[0:1], v0
.LBB6_1107:
	s_mov_b64 s[12:13], 0
.LBB6_1108:
	s_andn2_b64 vcc, exec, s[12:13]
	s_cbranch_vccnz .LBB6_1110
; %bb.1109:
	global_load_ubyte v0, v[2:3], off
	s_movk_i32 s12, 0x7f00
	s_brev_b32 s13, 16
	s_waitcnt vmcnt(0)
	v_lshlrev_b16_e32 v1, 8, v0
	v_lshlrev_b32_e32 v0, 25, v0
	v_lshrrev_b32_e32 v5, 4, v0
	v_and_or_b32 v6, v1, s12, 0.5
	v_or_b32_e32 v5, 0x70000000, v5
	v_add_f32_e32 v6, -0.5, v6
	v_mul_f32_e32 v5, 0x7800000, v5
	v_cmp_gt_u32_e32 vcc, s13, v0
	v_bfe_i32 v1, v1, 0, 16
	v_cndmask_b32_e32 v0, v5, v6, vcc
	s_brev_b32 s12, 1
	v_and_or_b32 v0, v1, s12, v0
	v_cvt_f64_f32_e32 v[0:1], v0
.LBB6_1110:
	s_mov_b64 s[16:17], -1
	s_mov_b64 s[12:13], 0
	s_cbranch_execnz .LBB6_1119
.LBB6_1111:
	s_cmp_gt_i32 s22, 14
	s_cbranch_scc0 .LBB6_1114
; %bb.1112:
	s_cmp_eq_u32 s22, 15
	s_cbranch_scc0 .LBB6_1115
; %bb.1113:
	global_load_ushort v0, v[2:3], off
	s_mov_b64 s[0:1], 0
	s_mov_b64 s[16:17], -1
	s_waitcnt vmcnt(0)
	v_lshlrev_b32_e32 v0, 16, v0
	v_cvt_f64_f32_e32 v[0:1], v0
	s_branch .LBB6_1116
.LBB6_1114:
	s_mov_b64 s[14:15], -1
                                        ; implicit-def: $vgpr0_vgpr1
	s_branch .LBB6_1117
.LBB6_1115:
	s_mov_b64 s[0:1], -1
                                        ; implicit-def: $vgpr0_vgpr1
.LBB6_1116:
	s_mov_b64 s[14:15], 0
.LBB6_1117:
	s_and_b64 vcc, exec, s[14:15]
	s_cbranch_vccz .LBB6_1119
; %bb.1118:
	s_cmp_lg_u32 s22, 11
	s_mov_b64 s[12:13], -1
	s_cselect_b64 s[0:1], -1, 0
.LBB6_1119:
	s_and_b64 vcc, exec, s[0:1]
	s_mov_b64 s[14:15], s[6:7]
	s_cbranch_vccnz .LBB6_1184
; %bb.1120:
	s_andn2_b64 vcc, exec, s[12:13]
	s_cbranch_vccnz .LBB6_1122
.LBB6_1121:
	global_load_ubyte v1, v[2:3], off
	v_mov_b32_e32 v5, 0x3ff00000
	v_mov_b32_e32 v0, 0
	s_mov_b64 s[16:17], -1
	s_waitcnt vmcnt(0)
	v_cmp_ne_u16_e32 vcc, 0, v1
	v_cndmask_b32_e32 v1, 0, v5, vcc
.LBB6_1122:
	s_branch .LBB6_1052
.LBB6_1123:
	s_cmp_lt_i32 s22, 5
	s_cbranch_scc1 .LBB6_1128
; %bb.1124:
	s_cmp_lt_i32 s22, 8
	s_cbranch_scc1 .LBB6_1129
; %bb.1125:
	;; [unrolled: 3-line block ×3, first 2 shown]
	s_cmp_gt_i32 s22, 9
	s_cbranch_scc0 .LBB6_1131
; %bb.1127:
	global_load_dwordx2 v[0:1], v[2:3], off
	s_mov_b64 s[0:1], 0
	s_branch .LBB6_1132
.LBB6_1128:
                                        ; implicit-def: $vgpr0_vgpr1
	s_branch .LBB6_1149
.LBB6_1129:
                                        ; implicit-def: $vgpr0_vgpr1
	s_branch .LBB6_1138
.LBB6_1130:
	s_mov_b64 s[0:1], -1
                                        ; implicit-def: $vgpr0_vgpr1
	s_branch .LBB6_1135
.LBB6_1131:
	s_mov_b64 s[0:1], -1
                                        ; implicit-def: $vgpr0_vgpr1
.LBB6_1132:
	s_andn2_b64 vcc, exec, s[0:1]
	s_cbranch_vccnz .LBB6_1134
; %bb.1133:
	global_load_dword v0, v[2:3], off
	s_waitcnt vmcnt(0)
	v_cvt_f64_f32_e32 v[0:1], v0
.LBB6_1134:
	s_mov_b64 s[0:1], 0
.LBB6_1135:
	s_andn2_b64 vcc, exec, s[0:1]
	s_cbranch_vccnz .LBB6_1137
; %bb.1136:
	global_load_dword v0, v[2:3], off
	s_waitcnt vmcnt(0)
	v_cvt_f32_f16_e32 v0, v0
	v_cvt_f64_f32_e32 v[0:1], v0
.LBB6_1137:
	s_cbranch_execnz .LBB6_1148
.LBB6_1138:
	s_cmp_lt_i32 s22, 6
	s_cbranch_scc1 .LBB6_1141
; %bb.1139:
	s_cmp_gt_i32 s22, 6
	s_cbranch_scc0 .LBB6_1142
; %bb.1140:
	global_load_dwordx2 v[0:1], v[2:3], off
	s_mov_b64 s[0:1], 0
	s_branch .LBB6_1143
.LBB6_1141:
	s_mov_b64 s[0:1], -1
                                        ; implicit-def: $vgpr0_vgpr1
	s_branch .LBB6_1146
.LBB6_1142:
	s_mov_b64 s[0:1], -1
                                        ; implicit-def: $vgpr0_vgpr1
.LBB6_1143:
	s_andn2_b64 vcc, exec, s[0:1]
	s_cbranch_vccnz .LBB6_1145
; %bb.1144:
	global_load_dword v0, v[2:3], off
	s_waitcnt vmcnt(0)
	v_cvt_f64_f32_e32 v[0:1], v0
.LBB6_1145:
	s_mov_b64 s[0:1], 0
.LBB6_1146:
	s_andn2_b64 vcc, exec, s[0:1]
	s_cbranch_vccnz .LBB6_1148
; %bb.1147:
	global_load_ushort v0, v[2:3], off
	s_waitcnt vmcnt(0)
	v_cvt_f32_f16_e32 v0, v0
	v_cvt_f64_f32_e32 v[0:1], v0
.LBB6_1148:
	s_cbranch_execnz .LBB6_1167
.LBB6_1149:
	s_cmp_lt_i32 s22, 2
	s_cbranch_scc1 .LBB6_1153
; %bb.1150:
	s_cmp_lt_i32 s22, 3
	s_cbranch_scc1 .LBB6_1154
; %bb.1151:
	s_cmp_gt_i32 s22, 3
	s_cbranch_scc0 .LBB6_1155
; %bb.1152:
	global_load_dwordx2 v[0:1], v[2:3], off
	s_mov_b64 s[0:1], 0
	s_waitcnt vmcnt(0)
	v_cvt_f64_i32_e32 v[5:6], v1
	v_cvt_f64_u32_e32 v[0:1], v0
	v_ldexp_f64 v[5:6], v[5:6], 32
	v_add_f64 v[0:1], v[5:6], v[0:1]
	s_branch .LBB6_1156
.LBB6_1153:
                                        ; implicit-def: $vgpr0_vgpr1
	s_branch .LBB6_1162
.LBB6_1154:
	s_mov_b64 s[0:1], -1
                                        ; implicit-def: $vgpr0_vgpr1
	s_branch .LBB6_1159
.LBB6_1155:
	s_mov_b64 s[0:1], -1
                                        ; implicit-def: $vgpr0_vgpr1
.LBB6_1156:
	s_andn2_b64 vcc, exec, s[0:1]
	s_cbranch_vccnz .LBB6_1158
; %bb.1157:
	global_load_dword v0, v[2:3], off
	s_waitcnt vmcnt(0)
	v_cvt_f64_i32_e32 v[0:1], v0
.LBB6_1158:
	s_mov_b64 s[0:1], 0
.LBB6_1159:
	s_andn2_b64 vcc, exec, s[0:1]
	s_cbranch_vccnz .LBB6_1161
; %bb.1160:
	global_load_sshort v0, v[2:3], off
	s_waitcnt vmcnt(0)
	v_cvt_f64_i32_e32 v[0:1], v0
.LBB6_1161:
	s_cbranch_execnz .LBB6_1167
.LBB6_1162:
	s_cmp_gt_i32 s22, 0
	s_cbranch_scc0 .LBB6_1164
; %bb.1163:
	global_load_sbyte v0, v[2:3], off
	s_mov_b64 s[0:1], 0
	s_waitcnt vmcnt(0)
	v_cvt_f64_i32_e32 v[0:1], v0
	s_branch .LBB6_1165
.LBB6_1164:
	s_mov_b64 s[0:1], -1
                                        ; implicit-def: $vgpr0_vgpr1
.LBB6_1165:
	s_andn2_b64 vcc, exec, s[0:1]
	s_cbranch_vccnz .LBB6_1167
; %bb.1166:
	global_load_ubyte v0, v[2:3], off
	s_waitcnt vmcnt(0)
	v_cvt_f64_u32_e32 v[0:1], v0
.LBB6_1167:
                                        ; implicit-def: $vgpr2_vgpr3
.LBB6_1168:
	s_mov_b32 s0, 0
	s_mov_b32 s1, 0x41d00000
	s_waitcnt vmcnt(0)
	v_cmp_nlt_f64_e64 s[0:1], |v[0:1]|, s[0:1]
                                        ; implicit-def: $vgpr25
                                        ; implicit-def: $vgpr2_vgpr3
                                        ; implicit-def: $vgpr10_vgpr11
	s_and_saveexec_b64 s[12:13], s[0:1]
	s_xor_b64 s[12:13], exec, s[12:13]
	s_cbranch_execz .LBB6_1170
; %bb.1169:
	v_trig_preop_f64 v[2:3], |v[0:1]|, 0
	s_mov_b32 s0, 0
	s_mov_b32 s1, 0x7b000000
	s_movk_i32 s16, 0xff80
	v_ldexp_f64 v[7:8], |v[0:1]|, s16
	v_cmp_ge_f64_e64 vcc, |v[0:1]|, s[0:1]
	v_trig_preop_f64 v[5:6], |v[0:1]|, 1
	v_and_b32_e32 v9, 0x7fffffff, v1
	v_trig_preop_f64 v[15:16], |v[0:1]|, 2
	s_mov_b32 s0, 0
	s_mov_b32 s1, 0x7ff00000
	v_mov_b32_e32 v23, 0x40100000
	v_mov_b32_e32 v27, 0
	v_cndmask_b32_e32 v8, v9, v8, vcc
	v_cndmask_b32_e32 v7, v0, v7, vcc
	s_mov_b32 s16, 0x33145c07
	v_mul_f64 v[9:10], v[2:3], v[7:8]
	s_mov_b32 s17, 0x3c91a626
	v_mul_f64 v[11:12], v[5:6], v[7:8]
	v_mul_f64 v[21:22], v[15:16], v[7:8]
	v_fma_f64 v[2:3], v[2:3], v[7:8], -v[9:10]
	v_fma_f64 v[5:6], v[5:6], v[7:8], -v[11:12]
	v_fma_f64 v[7:8], v[15:16], v[7:8], -v[21:22]
	v_add_f64 v[13:14], v[11:12], v[2:3]
	v_add_f64 v[17:18], v[13:14], -v[11:12]
	v_add_f64 v[25:26], v[9:10], v[13:14]
	v_add_f64 v[19:20], v[13:14], -v[17:18]
	v_add_f64 v[2:3], v[2:3], -v[17:18]
	v_add_f64 v[17:18], v[21:22], v[5:6]
	v_add_f64 v[9:10], v[25:26], -v[9:10]
	v_add_f64 v[11:12], v[11:12], -v[19:20]
	v_ldexp_f64 v[19:20], v[25:26], -2
	v_add_f64 v[29:30], v[17:18], -v[21:22]
	v_add_f64 v[9:10], v[13:14], -v[9:10]
	v_add_f64 v[2:3], v[2:3], v[11:12]
	v_fract_f64_e32 v[11:12], v[19:20]
	v_cmp_neq_f64_e64 vcc, |v[19:20]|, s[0:1]
	v_add_f64 v[5:6], v[5:6], -v[29:30]
	v_add_f64 v[13:14], v[17:18], v[2:3]
	v_ldexp_f64 v[11:12], v[11:12], 2
	v_add_f64 v[19:20], v[9:10], v[13:14]
	v_cndmask_b32_e32 v12, 0, v12, vcc
	v_cndmask_b32_e32 v11, 0, v11, vcc
	v_add_f64 v[31:32], v[13:14], -v[17:18]
	v_add_f64 v[25:26], v[19:20], v[11:12]
	v_add_f64 v[9:10], v[19:20], -v[9:10]
	v_add_f64 v[33:34], v[13:14], -v[31:32]
	;; [unrolled: 1-line block ×3, first 2 shown]
	v_cmp_gt_f64_e32 vcc, 0, v[25:26]
	v_add_f64 v[25:26], v[17:18], -v[29:30]
	v_add_f64 v[9:10], v[13:14], -v[9:10]
	;; [unrolled: 1-line block ×3, first 2 shown]
	v_cndmask_b32_e32 v28, 0, v23, vcc
	v_add_f64 v[11:12], v[11:12], v[27:28]
	v_add_f64 v[25:26], v[21:22], -v[25:26]
	v_add_f64 v[2:3], v[2:3], v[17:18]
	v_add_f64 v[35:36], v[19:20], v[11:12]
	;; [unrolled: 1-line block ×3, first 2 shown]
	v_cvt_i32_f64_e32 v23, v[35:36]
	v_add_f64 v[2:3], v[5:6], v[2:3]
	v_cvt_f64_i32_e32 v[28:29], v23
	v_add_f64 v[11:12], v[11:12], -v[28:29]
	v_add_f64 v[2:3], v[7:8], v[2:3]
	v_add_f64 v[5:6], v[19:20], v[11:12]
	;; [unrolled: 1-line block ×3, first 2 shown]
	v_mov_b32_e32 v9, 0x3ff00000
	v_add_f64 v[7:8], v[5:6], -v[11:12]
	v_cmp_le_f64_e32 vcc, 0.5, v[5:6]
	v_add_f64 v[7:8], v[19:20], -v[7:8]
	v_cndmask_b32_e32 v28, 0, v9, vcc
	v_add_f64 v[5:6], v[5:6], -v[27:28]
	v_addc_co_u32_e64 v25, s[0:1], 0, v23, vcc
	s_mov_b32 s0, 0x54442d18
	s_mov_b32 s1, 0x3ff921fb
	v_add_f64 v[2:3], v[2:3], v[7:8]
	v_add_f64 v[7:8], v[5:6], v[2:3]
	v_mul_f64 v[9:10], v[7:8], s[0:1]
	v_add_f64 v[5:6], v[7:8], -v[5:6]
	v_fma_f64 v[11:12], v[7:8], s[0:1], -v[9:10]
	v_add_f64 v[2:3], v[2:3], -v[5:6]
	v_fma_f64 v[5:6], v[7:8], s[16:17], v[11:12]
	v_fma_f64 v[5:6], v[2:3], s[0:1], v[5:6]
	v_add_f64 v[2:3], v[9:10], v[5:6]
	v_add_f64 v[7:8], v[2:3], -v[9:10]
	v_add_f64 v[10:11], v[5:6], -v[7:8]
.LBB6_1170:
	s_andn2_saveexec_b64 s[0:1], s[12:13]
	s_cbranch_execz .LBB6_1172
; %bb.1171:
	s_mov_b32 s12, 0x6dc9c883
	s_mov_b32 s13, 0x3fe45f30
	v_mul_f64 v[2:3], |v[0:1]|, s[12:13]
	s_mov_b32 s12, 0x54442d18
	s_mov_b32 s13, 0xbff921fb
	;; [unrolled: 1-line block ×4, first 2 shown]
	v_rndne_f64_e32 v[5:6], v[2:3]
	v_fma_f64 v[2:3], v[5:6], s[12:13], |v[0:1]|
	v_mul_f64 v[7:8], v[5:6], s[16:17]
	s_mov_b32 s12, 0x252049c0
	s_mov_b32 s13, 0xb97b839a
	v_cvt_i32_f64_e32 v25, v[5:6]
	v_fma_f64 v[13:14], v[5:6], s[16:17], v[2:3]
	v_add_f64 v[9:10], v[2:3], v[7:8]
	s_mov_b32 s17, 0x3c91a626
	v_add_f64 v[11:12], v[2:3], -v[9:10]
	v_add_f64 v[9:10], v[9:10], -v[13:14]
	v_add_f64 v[2:3], v[11:12], v[7:8]
	v_fma_f64 v[7:8], v[5:6], s[16:17], v[7:8]
	v_add_f64 v[2:3], v[9:10], v[2:3]
	v_add_f64 v[2:3], v[2:3], -v[7:8]
	v_fma_f64 v[7:8], v[5:6], s[12:13], v[2:3]
	v_add_f64 v[2:3], v[13:14], v[7:8]
	v_add_f64 v[9:10], v[2:3], -v[13:14]
	v_add_f64 v[10:11], v[7:8], -v[9:10]
.LBB6_1172:
	s_or_b64 exec, exec, s[0:1]
	s_lshl_b32 s3, s3, 7
	v_add_u32_e32 v8, s3, v4
	v_ashrrev_i32_e32 v4, 31, v8
	v_mov_b32_e32 v5, s11
	v_add_co_u32_e32 v6, vcc, s10, v8
	s_cmp_lt_i32 s22, 11
	v_addc_co_u32_e32 v7, vcc, v5, v4, vcc
	s_cbranch_scc1 .LBB6_1179
; %bb.1173:
	s_cmp_gt_i32 s22, 25
	s_mov_b64 s[12:13], 0
	s_cbranch_scc0 .LBB6_1181
; %bb.1174:
	s_cmp_gt_i32 s22, 28
	s_cbranch_scc0 .LBB6_1182
; %bb.1175:
	s_cmp_gt_i32 s22, 43
	;; [unrolled: 3-line block ×3, first 2 shown]
	s_cbranch_scc0 .LBB6_1185
; %bb.1177:
	s_cmp_eq_u32 s22, 46
	s_mov_b64 s[18:19], 0
	s_cbranch_scc0 .LBB6_1188
; %bb.1178:
	global_load_dword v4, v[6:7], off
	s_mov_b64 s[0:1], 0
	s_mov_b64 s[16:17], -1
	s_waitcnt vmcnt(0)
	v_lshlrev_b32_e32 v4, 16, v4
	v_cvt_f64_f32_e32 v[4:5], v4
	s_branch .LBB6_1189
.LBB6_1179:
	s_mov_b64 s[16:17], 0
                                        ; implicit-def: $vgpr4_vgpr5
	s_cbranch_execnz .LBB6_1254
.LBB6_1180:
	s_andn2_b64 vcc, exec, s[16:17]
	s_cbranch_vccnz .LBB6_2005
	s_branch .LBB6_1301
.LBB6_1181:
	s_mov_b64 s[16:17], 0
	s_mov_b64 s[0:1], 0
                                        ; implicit-def: $vgpr4_vgpr5
	s_cbranch_execnz .LBB6_1220
	s_branch .LBB6_1250
.LBB6_1182:
	s_mov_b64 s[18:19], -1
	s_mov_b64 s[16:17], 0
	s_mov_b64 s[0:1], 0
                                        ; implicit-def: $vgpr4_vgpr5
	s_branch .LBB6_1199
.LBB6_1183:
	s_mov_b64 s[18:19], -1
	s_mov_b64 s[16:17], 0
	s_mov_b64 s[0:1], 0
                                        ; implicit-def: $vgpr4_vgpr5
	s_branch .LBB6_1194
.LBB6_1184:
	s_or_b64 s[14:15], s[6:7], exec
	s_trap 2
	s_cbranch_execz .LBB6_1121
	s_branch .LBB6_1122
.LBB6_1185:
	s_mov_b64 s[18:19], -1
	s_mov_b64 s[16:17], 0
	s_mov_b64 s[0:1], 0
                                        ; implicit-def: $vgpr4_vgpr5
	s_branch .LBB6_1189
.LBB6_1186:
	s_andn2_saveexec_b64 s[24:25], s[24:25]
	s_cbranch_execz .LBB6_968
.LBB6_1187:
	s_mov_b32 s28, 0x42800000
	v_add_f32_e64 v3, |v2|, s28
	v_and_b32_e32 v3, 0xff, v3
	v_cmp_ne_u32_e32 vcc, 0, v3
	s_andn2_b64 s[22:23], s[22:23], exec
	s_and_b64 s[28:29], vcc, exec
	s_or_b64 s[22:23], s[22:23], s[28:29]
	s_or_b64 exec, exec, s[24:25]
	v_mov_b32_e32 v6, 0
	s_and_saveexec_b64 s[24:25], s[22:23]
	s_cbranch_execnz .LBB6_969
	s_branch .LBB6_970
.LBB6_1188:
	s_mov_b64 s[0:1], -1
                                        ; implicit-def: $vgpr4_vgpr5
	s_mov_b64 s[16:17], 0
.LBB6_1189:
	s_and_b64 vcc, exec, s[18:19]
	s_cbranch_vccz .LBB6_1193
; %bb.1190:
	s_cmp_eq_u32 s22, 44
	s_cbranch_scc0 .LBB6_1192
; %bb.1191:
	global_load_ubyte v9, v[6:7], off
	s_movk_i32 s16, 0xff
	v_bfrev_b32_e32 v12, 4
	v_mov_b32_e32 v13, 0x7ff80000
	v_bfrev_b32_e32 v14, 28
	s_mov_b64 s[0:1], 0
	s_waitcnt vmcnt(0)
	v_lshlrev_b32_e32 v4, 23, v9
	v_cvt_f64_f32_e32 v[4:5], v4
	v_cmp_ne_u32_e32 vcc, s16, v9
	s_mov_b64 s[16:17], -1
	v_cndmask_b32_e32 v4, v12, v4, vcc
	v_cndmask_b32_e32 v5, v13, v5, vcc
	v_cmp_ne_u32_e32 vcc, 0, v9
	v_cndmask_b32_e32 v5, v14, v5, vcc
	v_cndmask_b32_e32 v4, 0, v4, vcc
	s_branch .LBB6_1193
.LBB6_1192:
	s_mov_b64 s[0:1], -1
                                        ; implicit-def: $vgpr4_vgpr5
.LBB6_1193:
	s_mov_b64 s[18:19], 0
.LBB6_1194:
	s_and_b64 vcc, exec, s[18:19]
	s_cbranch_vccz .LBB6_1198
; %bb.1195:
	s_cmp_eq_u32 s22, 29
	s_cbranch_scc0 .LBB6_1197
; %bb.1196:
	global_load_dwordx2 v[4:5], v[6:7], off
	s_mov_b64 s[0:1], 0
	s_mov_b64 s[16:17], -1
	s_mov_b64 s[18:19], 0
	s_waitcnt vmcnt(0)
	v_cvt_f64_u32_e32 v[12:13], v5
	v_cvt_f64_u32_e32 v[4:5], v4
	v_ldexp_f64 v[12:13], v[12:13], 32
	v_add_f64 v[4:5], v[12:13], v[4:5]
	s_branch .LBB6_1199
.LBB6_1197:
	s_mov_b64 s[0:1], -1
                                        ; implicit-def: $vgpr4_vgpr5
.LBB6_1198:
	s_mov_b64 s[18:19], 0
.LBB6_1199:
	s_and_b64 vcc, exec, s[18:19]
	s_cbranch_vccz .LBB6_1219
; %bb.1200:
	s_cmp_lt_i32 s22, 27
	s_cbranch_scc1 .LBB6_1203
; %bb.1201:
	s_cmp_gt_i32 s22, 27
	s_cbranch_scc0 .LBB6_1204
; %bb.1202:
	global_load_dword v4, v[6:7], off
	s_mov_b64 s[16:17], 0
	s_waitcnt vmcnt(0)
	v_cvt_f64_u32_e32 v[4:5], v4
	s_branch .LBB6_1205
.LBB6_1203:
	s_mov_b64 s[16:17], -1
                                        ; implicit-def: $vgpr4_vgpr5
	s_branch .LBB6_1208
.LBB6_1204:
	s_mov_b64 s[16:17], -1
                                        ; implicit-def: $vgpr4_vgpr5
.LBB6_1205:
	s_andn2_b64 vcc, exec, s[16:17]
	s_cbranch_vccnz .LBB6_1207
; %bb.1206:
	global_load_ushort v4, v[6:7], off
	s_waitcnt vmcnt(0)
	v_cvt_f64_u32_e32 v[4:5], v4
.LBB6_1207:
	s_mov_b64 s[16:17], 0
.LBB6_1208:
	s_andn2_b64 vcc, exec, s[16:17]
	s_cbranch_vccnz .LBB6_1218
; %bb.1209:
	global_load_ubyte v9, v[6:7], off
	s_movk_i32 s16, 0x7f
	s_waitcnt vmcnt(0)
	v_cmp_lt_i16_e32 vcc, s16, v9
	s_mov_b64 s[16:17], 0
	s_and_saveexec_b64 s[18:19], vcc
	s_xor_b64 s[18:19], exec, s[18:19]
	s_cbranch_execz .LBB6_1213
; %bb.1210:
	s_movk_i32 s16, 0x80
	v_cmp_eq_u16_e32 vcc, s16, v9
	s_mov_b64 s[16:17], -1
	s_and_saveexec_b64 s[20:21], vcc
; %bb.1211:
	s_xor_b64 s[16:17], exec, -1
; %bb.1212:
	s_or_b64 exec, exec, s[20:21]
	s_and_b64 s[16:17], s[16:17], exec
.LBB6_1213:
	s_or_saveexec_b64 s[18:19], s[18:19]
	v_bfrev_b32_e32 v4, 4
	v_mov_b32_e32 v5, 0x7ff80000
	s_xor_b64 exec, exec, s[18:19]
; %bb.1214:
	v_cmp_ne_u16_e32 vcc, 0, v9
	v_mov_b32_e32 v4, 0
	s_andn2_b64 s[16:17], s[16:17], exec
	s_and_b64 s[20:21], vcc, exec
	v_mov_b32_e32 v5, 0
	s_or_b64 s[16:17], s[16:17], s[20:21]
; %bb.1215:
	s_or_b64 exec, exec, s[18:19]
	s_and_saveexec_b64 s[18:19], s[16:17]
	s_cbranch_execz .LBB6_1217
; %bb.1216:
	v_and_b32_e32 v5, 0xffff, v9
	v_lshlrev_b32_e32 v4, 24, v9
	v_and_b32_e32 v9, 7, v5
	v_ffbh_u32_e32 v13, v9
	v_min_u32_e32 v13, 32, v13
	v_subrev_u32_e32 v14, 28, v13
	v_bfe_u32 v12, v5, 3, 4
	v_lshlrev_b32_e32 v5, v14, v5
	v_sub_u32_e32 v13, 29, v13
	v_and_b32_e32 v5, 7, v5
	v_cmp_eq_u32_e32 vcc, 0, v12
	v_cndmask_b32_e32 v12, v12, v13, vcc
	v_cndmask_b32_e32 v5, v9, v5, vcc
	v_mov_b32_e32 v9, 0x3b800000
	v_lshlrev_b32_e32 v5, 20, v5
	v_and_b32_e32 v4, 0x80000000, v4
	v_lshl_add_u32 v9, v12, 23, v9
	v_or3_b32 v4, v4, v9, v5
	v_cvt_f64_f32_e32 v[4:5], v4
.LBB6_1217:
	s_or_b64 exec, exec, s[18:19]
.LBB6_1218:
	s_mov_b64 s[16:17], -1
.LBB6_1219:
	s_branch .LBB6_1250
.LBB6_1220:
	s_cmp_gt_i32 s22, 22
	s_cbranch_scc0 .LBB6_1232
; %bb.1221:
	s_cmp_lt_i32 s22, 24
	s_cbranch_scc1 .LBB6_1233
; %bb.1222:
	s_cmp_gt_i32 s22, 24
	s_cbranch_scc0 .LBB6_1234
; %bb.1223:
	global_load_ubyte v9, v[6:7], off
	s_movk_i32 s12, 0x7f
	s_waitcnt vmcnt(0)
	v_cmp_lt_i16_e32 vcc, s12, v9
	s_mov_b64 s[12:13], 0
	s_and_saveexec_b64 s[16:17], vcc
	s_xor_b64 s[16:17], exec, s[16:17]
	s_cbranch_execz .LBB6_1227
; %bb.1224:
	s_movk_i32 s12, 0x80
	v_cmp_eq_u16_e32 vcc, s12, v9
	s_mov_b64 s[12:13], -1
	s_and_saveexec_b64 s[18:19], vcc
; %bb.1225:
	s_xor_b64 s[12:13], exec, -1
; %bb.1226:
	s_or_b64 exec, exec, s[18:19]
	s_and_b64 s[12:13], s[12:13], exec
.LBB6_1227:
	s_or_saveexec_b64 s[16:17], s[16:17]
	v_bfrev_b32_e32 v4, 4
	v_mov_b32_e32 v5, 0x7ff80000
	s_xor_b64 exec, exec, s[16:17]
; %bb.1228:
	v_cmp_ne_u16_e32 vcc, 0, v9
	v_mov_b32_e32 v4, 0
	s_andn2_b64 s[12:13], s[12:13], exec
	s_and_b64 s[18:19], vcc, exec
	v_mov_b32_e32 v5, 0
	s_or_b64 s[12:13], s[12:13], s[18:19]
; %bb.1229:
	s_or_b64 exec, exec, s[16:17]
	s_and_saveexec_b64 s[16:17], s[12:13]
	s_cbranch_execz .LBB6_1231
; %bb.1230:
	v_and_b32_e32 v5, 0xffff, v9
	v_lshlrev_b32_e32 v4, 24, v9
	v_and_b32_e32 v9, 3, v5
	v_ffbh_u32_e32 v13, v9
	v_min_u32_e32 v13, 32, v13
	v_subrev_u32_e32 v14, 29, v13
	v_bfe_u32 v12, v5, 2, 5
	v_lshlrev_b32_e32 v5, v14, v5
	v_sub_u32_e32 v13, 30, v13
	v_and_b32_e32 v5, 3, v5
	v_cmp_eq_u32_e32 vcc, 0, v12
	v_cndmask_b32_e32 v12, v12, v13, vcc
	v_cndmask_b32_e32 v5, v9, v5, vcc
	v_mov_b32_e32 v9, 0x37800000
	v_lshlrev_b32_e32 v5, 21, v5
	v_and_b32_e32 v4, 0x80000000, v4
	v_lshl_add_u32 v9, v12, 23, v9
	v_or3_b32 v4, v4, v9, v5
	v_cvt_f64_f32_e32 v[4:5], v4
.LBB6_1231:
	s_or_b64 exec, exec, s[16:17]
	s_mov_b64 s[12:13], 0
	s_branch .LBB6_1235
.LBB6_1232:
	s_mov_b64 s[12:13], -1
                                        ; implicit-def: $vgpr4_vgpr5
	s_branch .LBB6_1241
.LBB6_1233:
	s_mov_b64 s[12:13], -1
                                        ; implicit-def: $vgpr4_vgpr5
	s_branch .LBB6_1238
.LBB6_1234:
	s_mov_b64 s[12:13], -1
                                        ; implicit-def: $vgpr4_vgpr5
.LBB6_1235:
	s_and_b64 vcc, exec, s[12:13]
	s_cbranch_vccz .LBB6_1237
; %bb.1236:
	global_load_ubyte v4, v[6:7], off
	s_mov_b32 s12, 0x7f800000
	s_waitcnt vmcnt(0)
	v_lshlrev_b32_e32 v4, 24, v4
	v_and_b32_e32 v5, 0x7f000000, v4
	v_ffbh_u32_e32 v9, v5
	v_min_u32_e32 v9, 32, v9
	v_sub_u32_e64 v9, v9, 4 clamp
	v_lshlrev_b32_e32 v13, v9, v5
	v_lshlrev_b32_e32 v9, 23, v9
	v_lshrrev_b32_e32 v13, 4, v13
	v_add_u32_e32 v12, 0x1000000, v5
	v_sub_u32_e32 v9, v13, v9
	v_ashrrev_i32_e32 v12, 8, v12
	v_add_u32_e32 v9, 0x3c000000, v9
	v_and_or_b32 v9, v12, s12, v9
	v_cmp_ne_u32_e32 vcc, 0, v5
	v_cndmask_b32_e32 v5, 0, v9, vcc
	s_brev_b32 s12, 1
	v_and_or_b32 v4, v4, s12, v5
	v_cvt_f64_f32_e32 v[4:5], v4
.LBB6_1237:
	s_mov_b64 s[12:13], 0
.LBB6_1238:
	s_andn2_b64 vcc, exec, s[12:13]
	s_cbranch_vccnz .LBB6_1240
; %bb.1239:
	global_load_ubyte v4, v[6:7], off
	s_movk_i32 s12, 0x7f00
	s_brev_b32 s13, 16
	s_waitcnt vmcnt(0)
	v_lshlrev_b16_e32 v5, 8, v4
	v_lshlrev_b32_e32 v4, 25, v4
	v_lshrrev_b32_e32 v9, 4, v4
	v_and_or_b32 v12, v5, s12, 0.5
	v_or_b32_e32 v9, 0x70000000, v9
	v_add_f32_e32 v12, -0.5, v12
	v_mul_f32_e32 v9, 0x7800000, v9
	v_cmp_gt_u32_e32 vcc, s13, v4
	v_bfe_i32 v5, v5, 0, 16
	v_cndmask_b32_e32 v4, v9, v12, vcc
	s_brev_b32 s12, 1
	v_and_or_b32 v4, v5, s12, v4
	v_cvt_f64_f32_e32 v[4:5], v4
.LBB6_1240:
	s_mov_b64 s[12:13], 0
	s_mov_b64 s[16:17], -1
.LBB6_1241:
	s_andn2_b64 vcc, exec, s[12:13]
	s_mov_b64 s[12:13], 0
	s_cbranch_vccnz .LBB6_1250
; %bb.1242:
	s_cmp_gt_i32 s22, 14
	s_cbranch_scc0 .LBB6_1245
; %bb.1243:
	s_cmp_eq_u32 s22, 15
	s_cbranch_scc0 .LBB6_1246
; %bb.1244:
	global_load_ushort v4, v[6:7], off
	s_mov_b64 s[0:1], 0
	s_mov_b64 s[16:17], -1
	s_waitcnt vmcnt(0)
	v_lshlrev_b32_e32 v4, 16, v4
	v_cvt_f64_f32_e32 v[4:5], v4
	s_branch .LBB6_1247
.LBB6_1245:
	s_mov_b64 s[18:19], -1
                                        ; implicit-def: $vgpr4_vgpr5
	s_branch .LBB6_1248
.LBB6_1246:
	s_mov_b64 s[0:1], -1
                                        ; implicit-def: $vgpr4_vgpr5
.LBB6_1247:
	s_mov_b64 s[18:19], 0
.LBB6_1248:
	s_and_b64 vcc, exec, s[18:19]
	s_cbranch_vccz .LBB6_1250
; %bb.1249:
	s_cmp_lg_u32 s22, 11
	s_mov_b64 s[12:13], -1
	s_cselect_b64 s[0:1], -1, 0
.LBB6_1250:
	s_and_b64 vcc, exec, s[0:1]
	s_cbranch_vccnz .LBB6_1317
; %bb.1251:
	s_andn2_b64 vcc, exec, s[12:13]
	s_cbranch_vccnz .LBB6_1253
.LBB6_1252:
	global_load_ubyte v5, v[6:7], off
	v_mov_b32_e32 v9, 0x3ff00000
	v_mov_b32_e32 v4, 0
	s_mov_b64 s[16:17], -1
	s_waitcnt vmcnt(0)
	v_cmp_ne_u16_e32 vcc, 0, v5
	v_cndmask_b32_e32 v5, 0, v9, vcc
.LBB6_1253:
	s_branch .LBB6_1180
.LBB6_1254:
	s_cmp_lt_i32 s22, 5
	s_cbranch_scc1 .LBB6_1259
; %bb.1255:
	s_cmp_lt_i32 s22, 8
	s_cbranch_scc1 .LBB6_1260
; %bb.1256:
	s_cmp_lt_i32 s22, 9
	s_cbranch_scc1 .LBB6_1261
; %bb.1257:
	s_cmp_gt_i32 s22, 9
	s_cbranch_scc0 .LBB6_1262
; %bb.1258:
	global_load_dwordx2 v[4:5], v[6:7], off
	s_mov_b64 s[0:1], 0
	s_branch .LBB6_1263
.LBB6_1259:
                                        ; implicit-def: $vgpr4_vgpr5
	s_branch .LBB6_1281
.LBB6_1260:
	s_mov_b64 s[0:1], -1
                                        ; implicit-def: $vgpr4_vgpr5
	s_branch .LBB6_1269
.LBB6_1261:
	s_mov_b64 s[0:1], -1
                                        ; implicit-def: $vgpr4_vgpr5
	s_branch .LBB6_1266
.LBB6_1262:
	s_mov_b64 s[0:1], -1
                                        ; implicit-def: $vgpr4_vgpr5
.LBB6_1263:
	s_andn2_b64 vcc, exec, s[0:1]
	s_cbranch_vccnz .LBB6_1265
; %bb.1264:
	global_load_dword v4, v[6:7], off
	s_waitcnt vmcnt(0)
	v_cvt_f64_f32_e32 v[4:5], v4
.LBB6_1265:
	s_mov_b64 s[0:1], 0
.LBB6_1266:
	s_andn2_b64 vcc, exec, s[0:1]
	s_cbranch_vccnz .LBB6_1268
; %bb.1267:
	global_load_dword v4, v[6:7], off
	s_waitcnt vmcnt(0)
	v_cvt_f32_f16_e32 v4, v4
	v_cvt_f64_f32_e32 v[4:5], v4
.LBB6_1268:
	s_mov_b64 s[0:1], 0
.LBB6_1269:
	s_andn2_b64 vcc, exec, s[0:1]
	s_cbranch_vccnz .LBB6_1280
; %bb.1270:
	s_cmp_lt_i32 s22, 6
	s_cbranch_scc1 .LBB6_1273
; %bb.1271:
	s_cmp_gt_i32 s22, 6
	s_cbranch_scc0 .LBB6_1274
; %bb.1272:
	global_load_dwordx2 v[4:5], v[6:7], off
	s_mov_b64 s[0:1], 0
	s_branch .LBB6_1275
.LBB6_1273:
	s_mov_b64 s[0:1], -1
                                        ; implicit-def: $vgpr4_vgpr5
	s_branch .LBB6_1278
.LBB6_1274:
	s_mov_b64 s[0:1], -1
                                        ; implicit-def: $vgpr4_vgpr5
.LBB6_1275:
	s_andn2_b64 vcc, exec, s[0:1]
	s_cbranch_vccnz .LBB6_1277
; %bb.1276:
	global_load_dword v4, v[6:7], off
	s_waitcnt vmcnt(0)
	v_cvt_f64_f32_e32 v[4:5], v4
.LBB6_1277:
	s_mov_b64 s[0:1], 0
.LBB6_1278:
	s_andn2_b64 vcc, exec, s[0:1]
	s_cbranch_vccnz .LBB6_1280
; %bb.1279:
	global_load_ushort v4, v[6:7], off
	s_waitcnt vmcnt(0)
	v_cvt_f32_f16_e32 v4, v4
	v_cvt_f64_f32_e32 v[4:5], v4
.LBB6_1280:
	s_cbranch_execnz .LBB6_1300
.LBB6_1281:
	s_cmp_lt_i32 s22, 2
	s_cbranch_scc1 .LBB6_1285
; %bb.1282:
	s_cmp_lt_i32 s22, 3
	s_cbranch_scc1 .LBB6_1286
; %bb.1283:
	s_cmp_gt_i32 s22, 3
	s_cbranch_scc0 .LBB6_1287
; %bb.1284:
	global_load_dwordx2 v[4:5], v[6:7], off
	s_mov_b64 s[0:1], 0
	s_waitcnt vmcnt(0)
	v_cvt_f64_i32_e32 v[12:13], v5
	v_cvt_f64_u32_e32 v[4:5], v4
	v_ldexp_f64 v[12:13], v[12:13], 32
	v_add_f64 v[4:5], v[12:13], v[4:5]
	s_branch .LBB6_1288
.LBB6_1285:
	s_mov_b64 s[0:1], -1
                                        ; implicit-def: $vgpr4_vgpr5
	s_branch .LBB6_1294
.LBB6_1286:
	s_mov_b64 s[0:1], -1
                                        ; implicit-def: $vgpr4_vgpr5
	s_branch .LBB6_1291
.LBB6_1287:
	s_mov_b64 s[0:1], -1
                                        ; implicit-def: $vgpr4_vgpr5
.LBB6_1288:
	s_andn2_b64 vcc, exec, s[0:1]
	s_cbranch_vccnz .LBB6_1290
; %bb.1289:
	global_load_dword v4, v[6:7], off
	s_waitcnt vmcnt(0)
	v_cvt_f64_i32_e32 v[4:5], v4
.LBB6_1290:
	s_mov_b64 s[0:1], 0
.LBB6_1291:
	s_andn2_b64 vcc, exec, s[0:1]
	s_cbranch_vccnz .LBB6_1293
; %bb.1292:
	global_load_sshort v4, v[6:7], off
	s_waitcnt vmcnt(0)
	v_cvt_f64_i32_e32 v[4:5], v4
.LBB6_1293:
	s_mov_b64 s[0:1], 0
.LBB6_1294:
	s_andn2_b64 vcc, exec, s[0:1]
	s_cbranch_vccnz .LBB6_1300
; %bb.1295:
	s_cmp_gt_i32 s22, 0
	s_cbranch_scc0 .LBB6_1297
; %bb.1296:
	global_load_sbyte v4, v[6:7], off
	s_mov_b64 s[0:1], 0
	s_waitcnt vmcnt(0)
	v_cvt_f64_i32_e32 v[4:5], v4
	s_branch .LBB6_1298
.LBB6_1297:
	s_mov_b64 s[0:1], -1
                                        ; implicit-def: $vgpr4_vgpr5
.LBB6_1298:
	s_andn2_b64 vcc, exec, s[0:1]
	s_cbranch_vccnz .LBB6_1300
; %bb.1299:
	global_load_ubyte v4, v[6:7], off
	s_waitcnt vmcnt(0)
	v_cvt_f64_u32_e32 v[4:5], v4
.LBB6_1300:
.LBB6_1301:
	s_mov_b32 s0, 0
	s_mov_b32 s1, 0x41d00000
	s_waitcnt vmcnt(0)
	v_cmp_nlt_f64_e64 s[0:1], |v[4:5]|, s[0:1]
                                        ; implicit-def: $vgpr26
                                        ; implicit-def: $vgpr12_vgpr13
                                        ; implicit-def: $vgpr14_vgpr15
	s_and_saveexec_b64 s[12:13], s[0:1]
	s_xor_b64 s[12:13], exec, s[12:13]
	s_cbranch_execz .LBB6_1303
; %bb.1302:
	v_trig_preop_f64 v[6:7], |v[4:5]|, 0
	s_mov_b32 s0, 0
	s_mov_b32 s1, 0x7b000000
	s_movk_i32 s16, 0xff80
	v_ldexp_f64 v[14:15], |v[4:5]|, s16
	v_cmp_ge_f64_e64 vcc, |v[4:5]|, s[0:1]
	v_trig_preop_f64 v[12:13], |v[4:5]|, 1
	v_and_b32_e32 v9, 0x7fffffff, v5
	v_trig_preop_f64 v[22:23], |v[4:5]|, 2
	s_mov_b32 s0, 0
	s_mov_b32 s1, 0x7ff00000
	v_mov_b32_e32 v34, 0
	s_mov_b32 s16, 0x33145c07
	v_cndmask_b32_e32 v15, v9, v15, vcc
	v_cndmask_b32_e32 v14, v4, v14, vcc
	v_mov_b32_e32 v9, 0x40100000
	v_mul_f64 v[16:17], v[6:7], v[14:15]
	s_mov_b32 s17, 0x3c91a626
	v_mul_f64 v[18:19], v[12:13], v[14:15]
	v_mul_f64 v[30:31], v[22:23], v[14:15]
	v_fma_f64 v[6:7], v[6:7], v[14:15], -v[16:17]
	v_fma_f64 v[12:13], v[12:13], v[14:15], -v[18:19]
	;; [unrolled: 1-line block ×3, first 2 shown]
	v_add_f64 v[20:21], v[18:19], v[6:7]
	v_add_f64 v[26:27], v[20:21], -v[18:19]
	v_add_f64 v[32:33], v[16:17], v[20:21]
	v_add_f64 v[28:29], v[20:21], -v[26:27]
	v_add_f64 v[6:7], v[6:7], -v[26:27]
	v_add_f64 v[26:27], v[30:31], v[12:13]
	v_add_f64 v[16:17], v[32:33], -v[16:17]
	v_add_f64 v[18:19], v[18:19], -v[28:29]
	v_ldexp_f64 v[28:29], v[32:33], -2
	v_add_f64 v[36:37], v[26:27], -v[30:31]
	v_add_f64 v[16:17], v[20:21], -v[16:17]
	v_add_f64 v[6:7], v[6:7], v[18:19]
	v_fract_f64_e32 v[18:19], v[28:29]
	v_cmp_neq_f64_e64 vcc, |v[28:29]|, s[0:1]
	v_add_f64 v[12:13], v[12:13], -v[36:37]
	v_add_f64 v[20:21], v[26:27], v[6:7]
	v_ldexp_f64 v[18:19], v[18:19], 2
	v_add_f64 v[28:29], v[16:17], v[20:21]
	v_cndmask_b32_e32 v19, 0, v19, vcc
	v_cndmask_b32_e32 v18, 0, v18, vcc
	v_add_f64 v[38:39], v[20:21], -v[26:27]
	v_add_f64 v[32:33], v[28:29], v[18:19]
	v_add_f64 v[16:17], v[28:29], -v[16:17]
	v_add_f64 v[40:41], v[20:21], -v[38:39]
	;; [unrolled: 1-line block ×3, first 2 shown]
	v_cmp_gt_f64_e32 vcc, 0, v[32:33]
	v_add_f64 v[32:33], v[26:27], -v[36:37]
	v_add_f64 v[16:17], v[20:21], -v[16:17]
	;; [unrolled: 1-line block ×3, first 2 shown]
	v_cndmask_b32_e32 v35, 0, v9, vcc
	v_add_f64 v[18:19], v[18:19], v[34:35]
	v_add_f64 v[32:33], v[30:31], -v[32:33]
	v_add_f64 v[6:7], v[6:7], v[26:27]
	v_add_f64 v[42:43], v[28:29], v[18:19]
	;; [unrolled: 1-line block ×3, first 2 shown]
	v_cvt_i32_f64_e32 v9, v[42:43]
	v_add_f64 v[6:7], v[12:13], v[6:7]
	v_cvt_f64_i32_e32 v[35:36], v9
	v_add_f64 v[18:19], v[18:19], -v[35:36]
	v_add_f64 v[6:7], v[14:15], v[6:7]
	v_add_f64 v[12:13], v[28:29], v[18:19]
	;; [unrolled: 1-line block ×3, first 2 shown]
	v_mov_b32_e32 v16, 0x3ff00000
	v_add_f64 v[14:15], v[12:13], -v[18:19]
	v_cmp_le_f64_e32 vcc, 0.5, v[12:13]
	v_add_f64 v[14:15], v[28:29], -v[14:15]
	v_cndmask_b32_e32 v35, 0, v16, vcc
	v_add_f64 v[12:13], v[12:13], -v[34:35]
	v_addc_co_u32_e64 v26, s[0:1], 0, v9, vcc
	s_mov_b32 s0, 0x54442d18
	s_mov_b32 s1, 0x3ff921fb
	v_add_f64 v[6:7], v[6:7], v[14:15]
	v_add_f64 v[14:15], v[12:13], v[6:7]
	v_mul_f64 v[16:17], v[14:15], s[0:1]
	v_add_f64 v[12:13], v[14:15], -v[12:13]
	v_fma_f64 v[18:19], v[14:15], s[0:1], -v[16:17]
	v_add_f64 v[6:7], v[6:7], -v[12:13]
	v_fma_f64 v[12:13], v[14:15], s[16:17], v[18:19]
	v_fma_f64 v[6:7], v[6:7], s[0:1], v[12:13]
	v_add_f64 v[12:13], v[16:17], v[6:7]
	v_add_f64 v[14:15], v[12:13], -v[16:17]
	v_add_f64 v[14:15], v[6:7], -v[14:15]
.LBB6_1303:
	s_andn2_saveexec_b64 s[0:1], s[12:13]
	s_cbranch_execz .LBB6_1305
; %bb.1304:
	s_mov_b32 s12, 0x6dc9c883
	s_mov_b32 s13, 0x3fe45f30
	v_mul_f64 v[6:7], |v[4:5]|, s[12:13]
	s_mov_b32 s12, 0x54442d18
	s_mov_b32 s13, 0xbff921fb
	;; [unrolled: 1-line block ×4, first 2 shown]
	v_rndne_f64_e32 v[6:7], v[6:7]
	v_fma_f64 v[12:13], v[6:7], s[12:13], |v[4:5]|
	v_mul_f64 v[14:15], v[6:7], s[16:17]
	s_mov_b32 s12, 0x252049c0
	s_mov_b32 s13, 0xb97b839a
	v_cvt_i32_f64_e32 v26, v[6:7]
	v_fma_f64 v[20:21], v[6:7], s[16:17], v[12:13]
	v_add_f64 v[16:17], v[12:13], v[14:15]
	s_mov_b32 s17, 0x3c91a626
	v_add_f64 v[18:19], v[12:13], -v[16:17]
	v_add_f64 v[16:17], v[16:17], -v[20:21]
	v_add_f64 v[12:13], v[18:19], v[14:15]
	v_fma_f64 v[14:15], v[6:7], s[16:17], v[14:15]
	v_add_f64 v[12:13], v[16:17], v[12:13]
	v_add_f64 v[12:13], v[12:13], -v[14:15]
	v_fma_f64 v[14:15], v[6:7], s[12:13], v[12:13]
	v_add_f64 v[12:13], v[20:21], v[14:15]
	v_add_f64 v[16:17], v[12:13], -v[20:21]
	v_add_f64 v[14:15], v[14:15], -v[16:17]
.LBB6_1305:
	s_or_b64 exec, exec, s[0:1]
	v_add_u32_e32 v20, s3, v8
	v_ashrrev_i32_e32 v6, 31, v20
	v_mov_b32_e32 v7, s11
	v_add_co_u32_e32 v8, vcc, s10, v20
	s_cmp_lt_i32 s22, 11
	v_addc_co_u32_e32 v9, vcc, v7, v6, vcc
	s_cbranch_scc1 .LBB6_1312
; %bb.1306:
	s_cmp_gt_i32 s22, 25
	s_mov_b64 s[12:13], 0
	s_cbranch_scc0 .LBB6_1314
; %bb.1307:
	s_cmp_gt_i32 s22, 28
	s_cbranch_scc0 .LBB6_1315
; %bb.1308:
	s_cmp_gt_i32 s22, 43
	;; [unrolled: 3-line block ×3, first 2 shown]
	s_cbranch_scc0 .LBB6_1318
; %bb.1310:
	s_cmp_eq_u32 s22, 46
	s_mov_b64 s[18:19], 0
	s_cbranch_scc0 .LBB6_1319
; %bb.1311:
	global_load_dword v6, v[8:9], off
	s_mov_b64 s[0:1], 0
	s_mov_b64 s[16:17], -1
	s_waitcnt vmcnt(0)
	v_lshlrev_b32_e32 v6, 16, v6
	v_cvt_f64_f32_e32 v[6:7], v6
	s_branch .LBB6_1320
.LBB6_1312:
	s_mov_b64 s[16:17], 0
                                        ; implicit-def: $vgpr6_vgpr7
	s_cbranch_execnz .LBB6_1386
.LBB6_1313:
	s_andn2_b64 vcc, exec, s[16:17]
	s_cbranch_vccnz .LBB6_2005
	s_branch .LBB6_1434
.LBB6_1314:
	s_mov_b64 s[18:19], -1
	s_mov_b64 s[16:17], 0
	s_mov_b64 s[0:1], 0
                                        ; implicit-def: $vgpr6_vgpr7
	s_branch .LBB6_1351
.LBB6_1315:
	s_mov_b64 s[18:19], -1
	s_mov_b64 s[16:17], 0
	s_mov_b64 s[0:1], 0
                                        ; implicit-def: $vgpr6_vgpr7
	s_branch .LBB6_1330
.LBB6_1316:
	s_mov_b64 s[18:19], -1
	s_mov_b64 s[16:17], 0
	s_mov_b64 s[0:1], 0
                                        ; implicit-def: $vgpr6_vgpr7
	s_branch .LBB6_1325
.LBB6_1317:
	s_trap 2
	s_or_b64 s[14:15], s[14:15], exec
	s_cbranch_execz .LBB6_1252
	s_branch .LBB6_1253
.LBB6_1318:
	s_mov_b64 s[18:19], -1
	s_mov_b64 s[16:17], 0
	s_mov_b64 s[0:1], 0
                                        ; implicit-def: $vgpr6_vgpr7
	s_branch .LBB6_1320
.LBB6_1319:
	s_mov_b64 s[0:1], -1
                                        ; implicit-def: $vgpr6_vgpr7
	s_mov_b64 s[16:17], 0
.LBB6_1320:
	s_and_b64 vcc, exec, s[18:19]
	s_cbranch_vccz .LBB6_1324
; %bb.1321:
	s_cmp_eq_u32 s22, 44
	s_cbranch_scc0 .LBB6_1323
; %bb.1322:
	global_load_ubyte v16, v[8:9], off
	s_movk_i32 s16, 0xff
	v_bfrev_b32_e32 v17, 4
	v_mov_b32_e32 v18, 0x7ff80000
	v_bfrev_b32_e32 v19, 28
	s_mov_b64 s[0:1], 0
	s_waitcnt vmcnt(0)
	v_lshlrev_b32_e32 v6, 23, v16
	v_cvt_f64_f32_e32 v[6:7], v6
	v_cmp_ne_u32_e32 vcc, s16, v16
	s_mov_b64 s[16:17], -1
	v_cndmask_b32_e32 v6, v17, v6, vcc
	v_cndmask_b32_e32 v7, v18, v7, vcc
	v_cmp_ne_u32_e32 vcc, 0, v16
	v_cndmask_b32_e32 v7, v19, v7, vcc
	v_cndmask_b32_e32 v6, 0, v6, vcc
	s_branch .LBB6_1324
.LBB6_1323:
	s_mov_b64 s[0:1], -1
                                        ; implicit-def: $vgpr6_vgpr7
.LBB6_1324:
	s_mov_b64 s[18:19], 0
.LBB6_1325:
	s_and_b64 vcc, exec, s[18:19]
	s_cbranch_vccz .LBB6_1329
; %bb.1326:
	s_cmp_eq_u32 s22, 29
	s_cbranch_scc0 .LBB6_1328
; %bb.1327:
	global_load_dwordx2 v[6:7], v[8:9], off
	s_mov_b64 s[0:1], 0
	s_mov_b64 s[16:17], -1
	s_mov_b64 s[18:19], 0
	s_waitcnt vmcnt(0)
	v_cvt_f64_u32_e32 v[16:17], v7
	v_cvt_f64_u32_e32 v[6:7], v6
	v_ldexp_f64 v[16:17], v[16:17], 32
	v_add_f64 v[6:7], v[16:17], v[6:7]
	s_branch .LBB6_1330
.LBB6_1328:
	s_mov_b64 s[0:1], -1
                                        ; implicit-def: $vgpr6_vgpr7
.LBB6_1329:
	s_mov_b64 s[18:19], 0
.LBB6_1330:
	s_and_b64 vcc, exec, s[18:19]
	s_cbranch_vccz .LBB6_1350
; %bb.1331:
	s_cmp_lt_i32 s22, 27
	s_cbranch_scc1 .LBB6_1334
; %bb.1332:
	s_cmp_gt_i32 s22, 27
	s_cbranch_scc0 .LBB6_1335
; %bb.1333:
	global_load_dword v6, v[8:9], off
	s_mov_b64 s[16:17], 0
	s_waitcnt vmcnt(0)
	v_cvt_f64_u32_e32 v[6:7], v6
	s_branch .LBB6_1336
.LBB6_1334:
	s_mov_b64 s[16:17], -1
                                        ; implicit-def: $vgpr6_vgpr7
	s_branch .LBB6_1339
.LBB6_1335:
	s_mov_b64 s[16:17], -1
                                        ; implicit-def: $vgpr6_vgpr7
.LBB6_1336:
	s_andn2_b64 vcc, exec, s[16:17]
	s_cbranch_vccnz .LBB6_1338
; %bb.1337:
	global_load_ushort v6, v[8:9], off
	s_waitcnt vmcnt(0)
	v_cvt_f64_u32_e32 v[6:7], v6
.LBB6_1338:
	s_mov_b64 s[16:17], 0
.LBB6_1339:
	s_andn2_b64 vcc, exec, s[16:17]
	s_cbranch_vccnz .LBB6_1349
; %bb.1340:
	global_load_ubyte v16, v[8:9], off
	s_movk_i32 s16, 0x7f
	s_waitcnt vmcnt(0)
	v_cmp_lt_i16_e32 vcc, s16, v16
	s_mov_b64 s[16:17], 0
	s_and_saveexec_b64 s[18:19], vcc
	s_xor_b64 s[18:19], exec, s[18:19]
	s_cbranch_execz .LBB6_1344
; %bb.1341:
	s_movk_i32 s16, 0x80
	v_cmp_eq_u16_e32 vcc, s16, v16
	s_mov_b64 s[16:17], -1
	s_and_saveexec_b64 s[20:21], vcc
; %bb.1342:
	s_xor_b64 s[16:17], exec, -1
; %bb.1343:
	s_or_b64 exec, exec, s[20:21]
	s_and_b64 s[16:17], s[16:17], exec
.LBB6_1344:
	s_or_saveexec_b64 s[18:19], s[18:19]
	v_bfrev_b32_e32 v6, 4
	v_mov_b32_e32 v7, 0x7ff80000
	s_xor_b64 exec, exec, s[18:19]
; %bb.1345:
	v_cmp_ne_u16_e32 vcc, 0, v16
	v_mov_b32_e32 v6, 0
	s_andn2_b64 s[16:17], s[16:17], exec
	s_and_b64 s[20:21], vcc, exec
	v_mov_b32_e32 v7, 0
	s_or_b64 s[16:17], s[16:17], s[20:21]
; %bb.1346:
	s_or_b64 exec, exec, s[18:19]
	s_and_saveexec_b64 s[18:19], s[16:17]
	s_cbranch_execz .LBB6_1348
; %bb.1347:
	v_and_b32_e32 v7, 0xffff, v16
	v_lshlrev_b32_e32 v6, 24, v16
	v_and_b32_e32 v16, 7, v7
	v_ffbh_u32_e32 v18, v16
	v_min_u32_e32 v18, 32, v18
	v_subrev_u32_e32 v19, 28, v18
	v_bfe_u32 v17, v7, 3, 4
	v_lshlrev_b32_e32 v7, v19, v7
	v_sub_u32_e32 v18, 29, v18
	v_and_b32_e32 v7, 7, v7
	v_cmp_eq_u32_e32 vcc, 0, v17
	v_cndmask_b32_e32 v17, v17, v18, vcc
	v_cndmask_b32_e32 v7, v16, v7, vcc
	v_mov_b32_e32 v16, 0x3b800000
	v_lshlrev_b32_e32 v7, 20, v7
	v_and_b32_e32 v6, 0x80000000, v6
	v_lshl_add_u32 v16, v17, 23, v16
	v_or3_b32 v6, v6, v16, v7
	v_cvt_f64_f32_e32 v[6:7], v6
.LBB6_1348:
	s_or_b64 exec, exec, s[18:19]
.LBB6_1349:
	s_mov_b64 s[16:17], -1
.LBB6_1350:
	s_mov_b64 s[18:19], 0
.LBB6_1351:
	s_and_b64 vcc, exec, s[18:19]
	s_cbranch_vccz .LBB6_1382
; %bb.1352:
	s_cmp_gt_i32 s22, 22
	s_cbranch_scc0 .LBB6_1364
; %bb.1353:
	s_cmp_lt_i32 s22, 24
	s_cbranch_scc1 .LBB6_1365
; %bb.1354:
	s_cmp_gt_i32 s22, 24
	s_cbranch_scc0 .LBB6_1366
; %bb.1355:
	global_load_ubyte v16, v[8:9], off
	s_movk_i32 s12, 0x7f
	s_waitcnt vmcnt(0)
	v_cmp_lt_i16_e32 vcc, s12, v16
	s_mov_b64 s[12:13], 0
	s_and_saveexec_b64 s[16:17], vcc
	s_xor_b64 s[16:17], exec, s[16:17]
	s_cbranch_execz .LBB6_1359
; %bb.1356:
	s_movk_i32 s12, 0x80
	v_cmp_eq_u16_e32 vcc, s12, v16
	s_mov_b64 s[12:13], -1
	s_and_saveexec_b64 s[18:19], vcc
; %bb.1357:
	s_xor_b64 s[12:13], exec, -1
; %bb.1358:
	s_or_b64 exec, exec, s[18:19]
	s_and_b64 s[12:13], s[12:13], exec
.LBB6_1359:
	s_or_saveexec_b64 s[16:17], s[16:17]
	v_bfrev_b32_e32 v6, 4
	v_mov_b32_e32 v7, 0x7ff80000
	s_xor_b64 exec, exec, s[16:17]
; %bb.1360:
	v_cmp_ne_u16_e32 vcc, 0, v16
	v_mov_b32_e32 v6, 0
	s_andn2_b64 s[12:13], s[12:13], exec
	s_and_b64 s[18:19], vcc, exec
	v_mov_b32_e32 v7, 0
	s_or_b64 s[12:13], s[12:13], s[18:19]
; %bb.1361:
	s_or_b64 exec, exec, s[16:17]
	s_and_saveexec_b64 s[16:17], s[12:13]
	s_cbranch_execz .LBB6_1363
; %bb.1362:
	v_and_b32_e32 v7, 0xffff, v16
	v_lshlrev_b32_e32 v6, 24, v16
	v_and_b32_e32 v16, 3, v7
	v_ffbh_u32_e32 v18, v16
	v_min_u32_e32 v18, 32, v18
	v_subrev_u32_e32 v19, 29, v18
	v_bfe_u32 v17, v7, 2, 5
	v_lshlrev_b32_e32 v7, v19, v7
	v_sub_u32_e32 v18, 30, v18
	v_and_b32_e32 v7, 3, v7
	v_cmp_eq_u32_e32 vcc, 0, v17
	v_cndmask_b32_e32 v17, v17, v18, vcc
	v_cndmask_b32_e32 v7, v16, v7, vcc
	v_mov_b32_e32 v16, 0x37800000
	v_lshlrev_b32_e32 v7, 21, v7
	v_and_b32_e32 v6, 0x80000000, v6
	v_lshl_add_u32 v16, v17, 23, v16
	v_or3_b32 v6, v6, v16, v7
	v_cvt_f64_f32_e32 v[6:7], v6
.LBB6_1363:
	s_or_b64 exec, exec, s[16:17]
	s_mov_b64 s[12:13], 0
	s_branch .LBB6_1367
.LBB6_1364:
	s_mov_b64 s[12:13], -1
                                        ; implicit-def: $vgpr6_vgpr7
	s_branch .LBB6_1373
.LBB6_1365:
	s_mov_b64 s[12:13], -1
                                        ; implicit-def: $vgpr6_vgpr7
	s_branch .LBB6_1370
.LBB6_1366:
	s_mov_b64 s[12:13], -1
                                        ; implicit-def: $vgpr6_vgpr7
.LBB6_1367:
	s_and_b64 vcc, exec, s[12:13]
	s_cbranch_vccz .LBB6_1369
; %bb.1368:
	global_load_ubyte v6, v[8:9], off
	s_mov_b32 s12, 0x7f800000
	s_waitcnt vmcnt(0)
	v_lshlrev_b32_e32 v6, 24, v6
	v_and_b32_e32 v7, 0x7f000000, v6
	v_ffbh_u32_e32 v16, v7
	v_min_u32_e32 v16, 32, v16
	v_sub_u32_e64 v16, v16, 4 clamp
	v_lshlrev_b32_e32 v18, v16, v7
	v_lshlrev_b32_e32 v16, 23, v16
	v_lshrrev_b32_e32 v18, 4, v18
	v_add_u32_e32 v17, 0x1000000, v7
	v_sub_u32_e32 v16, v18, v16
	v_ashrrev_i32_e32 v17, 8, v17
	v_add_u32_e32 v16, 0x3c000000, v16
	v_and_or_b32 v16, v17, s12, v16
	v_cmp_ne_u32_e32 vcc, 0, v7
	v_cndmask_b32_e32 v7, 0, v16, vcc
	s_brev_b32 s12, 1
	v_and_or_b32 v6, v6, s12, v7
	v_cvt_f64_f32_e32 v[6:7], v6
.LBB6_1369:
	s_mov_b64 s[12:13], 0
.LBB6_1370:
	s_andn2_b64 vcc, exec, s[12:13]
	s_cbranch_vccnz .LBB6_1372
; %bb.1371:
	global_load_ubyte v6, v[8:9], off
	s_movk_i32 s12, 0x7f00
	s_brev_b32 s13, 16
	s_waitcnt vmcnt(0)
	v_lshlrev_b16_e32 v7, 8, v6
	v_lshlrev_b32_e32 v6, 25, v6
	v_lshrrev_b32_e32 v16, 4, v6
	v_and_or_b32 v17, v7, s12, 0.5
	v_or_b32_e32 v16, 0x70000000, v16
	v_add_f32_e32 v17, -0.5, v17
	v_mul_f32_e32 v16, 0x7800000, v16
	v_cmp_gt_u32_e32 vcc, s13, v6
	v_bfe_i32 v7, v7, 0, 16
	v_cndmask_b32_e32 v6, v16, v17, vcc
	s_brev_b32 s12, 1
	v_and_or_b32 v6, v7, s12, v6
	v_cvt_f64_f32_e32 v[6:7], v6
.LBB6_1372:
	s_mov_b64 s[12:13], 0
	s_mov_b64 s[16:17], -1
.LBB6_1373:
	s_andn2_b64 vcc, exec, s[12:13]
	s_mov_b64 s[12:13], 0
	s_cbranch_vccnz .LBB6_1382
; %bb.1374:
	s_cmp_gt_i32 s22, 14
	s_cbranch_scc0 .LBB6_1377
; %bb.1375:
	s_cmp_eq_u32 s22, 15
	s_cbranch_scc0 .LBB6_1378
; %bb.1376:
	global_load_ushort v6, v[8:9], off
	s_mov_b64 s[0:1], 0
	s_mov_b64 s[16:17], -1
	s_waitcnt vmcnt(0)
	v_lshlrev_b32_e32 v6, 16, v6
	v_cvt_f64_f32_e32 v[6:7], v6
	s_branch .LBB6_1379
.LBB6_1377:
	s_mov_b64 s[18:19], -1
                                        ; implicit-def: $vgpr6_vgpr7
	s_branch .LBB6_1380
.LBB6_1378:
	s_mov_b64 s[0:1], -1
                                        ; implicit-def: $vgpr6_vgpr7
.LBB6_1379:
	s_mov_b64 s[18:19], 0
.LBB6_1380:
	s_and_b64 vcc, exec, s[18:19]
	s_cbranch_vccz .LBB6_1382
; %bb.1381:
	s_cmp_lg_u32 s22, 11
	s_mov_b64 s[12:13], -1
	s_cselect_b64 s[0:1], -1, 0
.LBB6_1382:
	s_and_b64 vcc, exec, s[0:1]
	s_cbranch_vccnz .LBB6_1449
; %bb.1383:
	s_andn2_b64 vcc, exec, s[12:13]
	s_cbranch_vccnz .LBB6_1385
.LBB6_1384:
	global_load_ubyte v7, v[8:9], off
	v_mov_b32_e32 v16, 0x3ff00000
	v_mov_b32_e32 v6, 0
	s_mov_b64 s[16:17], -1
	s_waitcnt vmcnt(0)
	v_cmp_ne_u16_e32 vcc, 0, v7
	v_cndmask_b32_e32 v7, 0, v16, vcc
.LBB6_1385:
	s_branch .LBB6_1313
.LBB6_1386:
	s_cmp_lt_i32 s22, 5
	s_cbranch_scc1 .LBB6_1391
; %bb.1387:
	s_cmp_lt_i32 s22, 8
	s_cbranch_scc1 .LBB6_1392
; %bb.1388:
	;; [unrolled: 3-line block ×3, first 2 shown]
	s_cmp_gt_i32 s22, 9
	s_cbranch_scc0 .LBB6_1394
; %bb.1390:
	global_load_dwordx2 v[6:7], v[8:9], off
	s_mov_b64 s[0:1], 0
	s_branch .LBB6_1395
.LBB6_1391:
	s_mov_b64 s[0:1], -1
                                        ; implicit-def: $vgpr6_vgpr7
	s_branch .LBB6_1413
.LBB6_1392:
	s_mov_b64 s[0:1], -1
                                        ; implicit-def: $vgpr6_vgpr7
	s_branch .LBB6_1401
.LBB6_1393:
	s_mov_b64 s[0:1], -1
                                        ; implicit-def: $vgpr6_vgpr7
	s_branch .LBB6_1398
.LBB6_1394:
	s_mov_b64 s[0:1], -1
                                        ; implicit-def: $vgpr6_vgpr7
.LBB6_1395:
	s_andn2_b64 vcc, exec, s[0:1]
	s_cbranch_vccnz .LBB6_1397
; %bb.1396:
	global_load_dword v6, v[8:9], off
	s_waitcnt vmcnt(0)
	v_cvt_f64_f32_e32 v[6:7], v6
.LBB6_1397:
	s_mov_b64 s[0:1], 0
.LBB6_1398:
	s_andn2_b64 vcc, exec, s[0:1]
	s_cbranch_vccnz .LBB6_1400
; %bb.1399:
	global_load_dword v6, v[8:9], off
	s_waitcnt vmcnt(0)
	v_cvt_f32_f16_e32 v6, v6
	v_cvt_f64_f32_e32 v[6:7], v6
.LBB6_1400:
	s_mov_b64 s[0:1], 0
.LBB6_1401:
	s_andn2_b64 vcc, exec, s[0:1]
	s_cbranch_vccnz .LBB6_1412
; %bb.1402:
	s_cmp_lt_i32 s22, 6
	s_cbranch_scc1 .LBB6_1405
; %bb.1403:
	s_cmp_gt_i32 s22, 6
	s_cbranch_scc0 .LBB6_1406
; %bb.1404:
	global_load_dwordx2 v[6:7], v[8:9], off
	s_mov_b64 s[0:1], 0
	s_branch .LBB6_1407
.LBB6_1405:
	s_mov_b64 s[0:1], -1
                                        ; implicit-def: $vgpr6_vgpr7
	s_branch .LBB6_1410
.LBB6_1406:
	s_mov_b64 s[0:1], -1
                                        ; implicit-def: $vgpr6_vgpr7
.LBB6_1407:
	s_andn2_b64 vcc, exec, s[0:1]
	s_cbranch_vccnz .LBB6_1409
; %bb.1408:
	global_load_dword v6, v[8:9], off
	s_waitcnt vmcnt(0)
	v_cvt_f64_f32_e32 v[6:7], v6
.LBB6_1409:
	s_mov_b64 s[0:1], 0
.LBB6_1410:
	s_andn2_b64 vcc, exec, s[0:1]
	s_cbranch_vccnz .LBB6_1412
; %bb.1411:
	global_load_ushort v6, v[8:9], off
	s_waitcnt vmcnt(0)
	v_cvt_f32_f16_e32 v6, v6
	v_cvt_f64_f32_e32 v[6:7], v6
.LBB6_1412:
	s_mov_b64 s[0:1], 0
.LBB6_1413:
	s_andn2_b64 vcc, exec, s[0:1]
	s_cbranch_vccnz .LBB6_1433
; %bb.1414:
	s_cmp_lt_i32 s22, 2
	s_cbranch_scc1 .LBB6_1418
; %bb.1415:
	s_cmp_lt_i32 s22, 3
	s_cbranch_scc1 .LBB6_1419
; %bb.1416:
	s_cmp_gt_i32 s22, 3
	s_cbranch_scc0 .LBB6_1420
; %bb.1417:
	global_load_dwordx2 v[6:7], v[8:9], off
	s_mov_b64 s[0:1], 0
	s_waitcnt vmcnt(0)
	v_cvt_f64_i32_e32 v[16:17], v7
	v_cvt_f64_u32_e32 v[6:7], v6
	v_ldexp_f64 v[16:17], v[16:17], 32
	v_add_f64 v[6:7], v[16:17], v[6:7]
	s_branch .LBB6_1421
.LBB6_1418:
	s_mov_b64 s[0:1], -1
                                        ; implicit-def: $vgpr6_vgpr7
	s_branch .LBB6_1427
.LBB6_1419:
	s_mov_b64 s[0:1], -1
                                        ; implicit-def: $vgpr6_vgpr7
	s_branch .LBB6_1424
.LBB6_1420:
	s_mov_b64 s[0:1], -1
                                        ; implicit-def: $vgpr6_vgpr7
.LBB6_1421:
	s_andn2_b64 vcc, exec, s[0:1]
	s_cbranch_vccnz .LBB6_1423
; %bb.1422:
	global_load_dword v6, v[8:9], off
	s_waitcnt vmcnt(0)
	v_cvt_f64_i32_e32 v[6:7], v6
.LBB6_1423:
	s_mov_b64 s[0:1], 0
.LBB6_1424:
	s_andn2_b64 vcc, exec, s[0:1]
	s_cbranch_vccnz .LBB6_1426
; %bb.1425:
	global_load_sshort v6, v[8:9], off
	s_waitcnt vmcnt(0)
	v_cvt_f64_i32_e32 v[6:7], v6
.LBB6_1426:
	s_mov_b64 s[0:1], 0
.LBB6_1427:
	s_andn2_b64 vcc, exec, s[0:1]
	s_cbranch_vccnz .LBB6_1433
; %bb.1428:
	s_cmp_gt_i32 s22, 0
	s_cbranch_scc0 .LBB6_1430
; %bb.1429:
	global_load_sbyte v6, v[8:9], off
	s_mov_b64 s[0:1], 0
	s_waitcnt vmcnt(0)
	v_cvt_f64_i32_e32 v[6:7], v6
	s_branch .LBB6_1431
.LBB6_1430:
	s_mov_b64 s[0:1], -1
                                        ; implicit-def: $vgpr6_vgpr7
.LBB6_1431:
	s_andn2_b64 vcc, exec, s[0:1]
	s_cbranch_vccnz .LBB6_1433
; %bb.1432:
	global_load_ubyte v6, v[8:9], off
	s_waitcnt vmcnt(0)
	v_cvt_f64_u32_e32 v[6:7], v6
.LBB6_1433:
.LBB6_1434:
	s_mov_b32 s0, 0
	s_mov_b32 s1, 0x41d00000
	s_waitcnt vmcnt(0)
	v_cmp_nlt_f64_e64 s[0:1], |v[6:7]|, s[0:1]
                                        ; implicit-def: $vgpr27
                                        ; implicit-def: $vgpr16_vgpr17
                                        ; implicit-def: $vgpr18_vgpr19
	s_and_saveexec_b64 s[12:13], s[0:1]
	s_xor_b64 s[12:13], exec, s[12:13]
	s_cbranch_execz .LBB6_1436
; %bb.1435:
	v_trig_preop_f64 v[8:9], |v[6:7]|, 0
	s_mov_b32 s0, 0
	s_mov_b32 s1, 0x7b000000
	s_movk_i32 s16, 0xff80
	v_ldexp_f64 v[18:19], |v[6:7]|, s16
	v_cmp_ge_f64_e64 vcc, |v[6:7]|, s[0:1]
	v_trig_preop_f64 v[16:17], |v[6:7]|, 1
	v_and_b32_e32 v21, 0x7fffffff, v7
	v_trig_preop_f64 v[31:32], |v[6:7]|, 2
	s_mov_b32 s0, 0
	s_mov_b32 s1, 0x7ff00000
	v_mov_b32_e32 v23, 0x40100000
	v_mov_b32_e32 v41, 0
	v_cndmask_b32_e32 v19, v21, v19, vcc
	v_cndmask_b32_e32 v18, v6, v18, vcc
	s_mov_b32 s16, 0x33145c07
	v_mul_f64 v[21:22], v[8:9], v[18:19]
	s_mov_b32 s17, 0x3c91a626
	v_mul_f64 v[27:28], v[16:17], v[18:19]
	v_mul_f64 v[37:38], v[31:32], v[18:19]
	v_fma_f64 v[8:9], v[8:9], v[18:19], -v[21:22]
	v_fma_f64 v[16:17], v[16:17], v[18:19], -v[27:28]
	v_fma_f64 v[18:19], v[31:32], v[18:19], -v[37:38]
	v_add_f64 v[29:30], v[27:28], v[8:9]
	v_add_f64 v[33:34], v[29:30], -v[27:28]
	v_add_f64 v[39:40], v[21:22], v[29:30]
	v_add_f64 v[35:36], v[29:30], -v[33:34]
	v_add_f64 v[8:9], v[8:9], -v[33:34]
	v_add_f64 v[33:34], v[37:38], v[16:17]
	v_add_f64 v[21:22], v[39:40], -v[21:22]
	v_add_f64 v[27:28], v[27:28], -v[35:36]
	v_ldexp_f64 v[35:36], v[39:40], -2
	v_add_f64 v[43:44], v[33:34], -v[37:38]
	v_add_f64 v[21:22], v[29:30], -v[21:22]
	v_add_f64 v[8:9], v[8:9], v[27:28]
	v_fract_f64_e32 v[27:28], v[35:36]
	v_cmp_neq_f64_e64 vcc, |v[35:36]|, s[0:1]
	v_add_f64 v[16:17], v[16:17], -v[43:44]
	v_add_f64 v[29:30], v[33:34], v[8:9]
	v_ldexp_f64 v[27:28], v[27:28], 2
	v_add_f64 v[35:36], v[21:22], v[29:30]
	v_cndmask_b32_e32 v28, 0, v28, vcc
	v_cndmask_b32_e32 v27, 0, v27, vcc
	v_add_f64 v[45:46], v[29:30], -v[33:34]
	v_add_f64 v[39:40], v[35:36], v[27:28]
	v_add_f64 v[21:22], v[35:36], -v[21:22]
	v_add_f64 v[47:48], v[29:30], -v[45:46]
	;; [unrolled: 1-line block ×3, first 2 shown]
	v_cmp_gt_f64_e32 vcc, 0, v[39:40]
	v_add_f64 v[39:40], v[33:34], -v[43:44]
	v_add_f64 v[21:22], v[29:30], -v[21:22]
	;; [unrolled: 1-line block ×3, first 2 shown]
	v_cndmask_b32_e32 v42, 0, v23, vcc
	v_add_f64 v[27:28], v[27:28], v[41:42]
	v_add_f64 v[39:40], v[37:38], -v[39:40]
	v_add_f64 v[8:9], v[8:9], v[33:34]
	v_add_f64 v[49:50], v[35:36], v[27:28]
	;; [unrolled: 1-line block ×3, first 2 shown]
	v_cvt_i32_f64_e32 v23, v[49:50]
	v_add_f64 v[8:9], v[16:17], v[8:9]
	v_cvt_f64_i32_e32 v[42:43], v23
	v_add_f64 v[27:28], v[27:28], -v[42:43]
	v_add_f64 v[8:9], v[18:19], v[8:9]
	v_add_f64 v[16:17], v[35:36], v[27:28]
	;; [unrolled: 1-line block ×3, first 2 shown]
	v_mov_b32_e32 v21, 0x3ff00000
	v_add_f64 v[18:19], v[16:17], -v[27:28]
	v_cmp_le_f64_e32 vcc, 0.5, v[16:17]
	v_add_f64 v[18:19], v[35:36], -v[18:19]
	v_cndmask_b32_e32 v42, 0, v21, vcc
	v_add_f64 v[16:17], v[16:17], -v[41:42]
	v_addc_co_u32_e64 v27, s[0:1], 0, v23, vcc
	s_mov_b32 s0, 0x54442d18
	s_mov_b32 s1, 0x3ff921fb
	v_add_f64 v[8:9], v[8:9], v[18:19]
	v_add_f64 v[18:19], v[16:17], v[8:9]
	v_mul_f64 v[21:22], v[18:19], s[0:1]
	v_add_f64 v[16:17], v[18:19], -v[16:17]
	v_fma_f64 v[28:29], v[18:19], s[0:1], -v[21:22]
	v_add_f64 v[8:9], v[8:9], -v[16:17]
	v_fma_f64 v[16:17], v[18:19], s[16:17], v[28:29]
	v_fma_f64 v[8:9], v[8:9], s[0:1], v[16:17]
	v_add_f64 v[16:17], v[21:22], v[8:9]
	v_add_f64 v[18:19], v[16:17], -v[21:22]
	v_add_f64 v[18:19], v[8:9], -v[18:19]
.LBB6_1436:
	s_andn2_saveexec_b64 s[0:1], s[12:13]
	s_cbranch_execz .LBB6_1438
; %bb.1437:
	s_mov_b32 s12, 0x6dc9c883
	s_mov_b32 s13, 0x3fe45f30
	v_mul_f64 v[8:9], |v[6:7]|, s[12:13]
	s_mov_b32 s12, 0x54442d18
	s_mov_b32 s13, 0xbff921fb
	;; [unrolled: 1-line block ×4, first 2 shown]
	v_rndne_f64_e32 v[8:9], v[8:9]
	v_fma_f64 v[16:17], v[8:9], s[12:13], |v[6:7]|
	v_mul_f64 v[18:19], v[8:9], s[16:17]
	s_mov_b32 s12, 0x252049c0
	s_mov_b32 s13, 0xb97b839a
	v_fma_f64 v[29:30], v[8:9], s[16:17], v[16:17]
	v_add_f64 v[21:22], v[16:17], v[18:19]
	s_mov_b32 s17, 0x3c91a626
	v_add_f64 v[27:28], v[16:17], -v[21:22]
	v_add_f64 v[21:22], v[21:22], -v[29:30]
	v_add_f64 v[16:17], v[27:28], v[18:19]
	v_fma_f64 v[18:19], v[8:9], s[16:17], v[18:19]
	v_cvt_i32_f64_e32 v27, v[8:9]
	v_add_f64 v[16:17], v[21:22], v[16:17]
	v_add_f64 v[16:17], v[16:17], -v[18:19]
	v_fma_f64 v[18:19], v[8:9], s[12:13], v[16:17]
	v_add_f64 v[16:17], v[29:30], v[18:19]
	v_add_f64 v[21:22], v[16:17], -v[29:30]
	v_add_f64 v[18:19], v[18:19], -v[21:22]
.LBB6_1438:
	s_or_b64 exec, exec, s[0:1]
	v_add_u32_e32 v8, s3, v20
	v_ashrrev_i32_e32 v9, 31, v8
	v_mov_b32_e32 v21, s11
	v_add_co_u32_e32 v20, vcc, s10, v8
	s_cmp_lt_i32 s22, 11
	v_addc_co_u32_e32 v21, vcc, v21, v9, vcc
	s_cbranch_scc1 .LBB6_1445
; %bb.1439:
	s_cmp_gt_i32 s22, 25
	s_mov_b64 s[10:11], 0
	s_cbranch_scc0 .LBB6_1446
; %bb.1440:
	s_cmp_gt_i32 s22, 28
	s_cbranch_scc0 .LBB6_1447
; %bb.1441:
	s_cmp_gt_i32 s22, 43
	;; [unrolled: 3-line block ×3, first 2 shown]
	s_cbranch_scc0 .LBB6_1450
; %bb.1443:
	s_cmp_eq_u32 s22, 46
	s_mov_b64 s[16:17], 0
	s_cbranch_scc0 .LBB6_1451
; %bb.1444:
	global_load_dword v8, v[20:21], off
	s_mov_b64 s[0:1], 0
	s_mov_b64 s[12:13], -1
	s_waitcnt vmcnt(0)
	v_lshlrev_b32_e32 v8, 16, v8
	v_cvt_f64_f32_e32 v[8:9], v8
	s_branch .LBB6_1452
.LBB6_1445:
	s_mov_b64 s[0:1], -1
	s_mov_b64 s[12:13], 0
                                        ; implicit-def: $vgpr8_vgpr9
	s_branch .LBB6_1518
.LBB6_1446:
	s_mov_b64 s[16:17], -1
	s_mov_b64 s[12:13], 0
	s_mov_b64 s[0:1], 0
                                        ; implicit-def: $vgpr8_vgpr9
	s_branch .LBB6_1483
.LBB6_1447:
	s_mov_b64 s[16:17], -1
	s_mov_b64 s[12:13], 0
	s_mov_b64 s[0:1], 0
                                        ; implicit-def: $vgpr8_vgpr9
	s_branch .LBB6_1462
.LBB6_1448:
	s_mov_b64 s[16:17], -1
	s_mov_b64 s[12:13], 0
	s_mov_b64 s[0:1], 0
                                        ; implicit-def: $vgpr8_vgpr9
	s_branch .LBB6_1457
.LBB6_1449:
	s_trap 2
	s_or_b64 s[14:15], s[14:15], exec
	s_cbranch_execz .LBB6_1384
	s_branch .LBB6_1385
.LBB6_1450:
	s_mov_b64 s[16:17], -1
	s_mov_b64 s[12:13], 0
	s_mov_b64 s[0:1], 0
                                        ; implicit-def: $vgpr8_vgpr9
	s_branch .LBB6_1452
.LBB6_1451:
	s_mov_b64 s[0:1], -1
                                        ; implicit-def: $vgpr8_vgpr9
	s_mov_b64 s[12:13], 0
.LBB6_1452:
	s_and_b64 vcc, exec, s[16:17]
	s_cbranch_vccz .LBB6_1456
; %bb.1453:
	s_cmp_eq_u32 s22, 44
	s_cbranch_scc0 .LBB6_1455
; %bb.1454:
	global_load_ubyte v22, v[20:21], off
	s_movk_i32 s3, 0xff
	v_bfrev_b32_e32 v23, 4
	v_mov_b32_e32 v28, 0x7ff80000
	v_bfrev_b32_e32 v29, 28
	s_mov_b64 s[0:1], 0
	s_mov_b64 s[12:13], -1
	s_waitcnt vmcnt(0)
	v_lshlrev_b32_e32 v8, 23, v22
	v_cvt_f64_f32_e32 v[8:9], v8
	v_cmp_ne_u32_e32 vcc, s3, v22
	v_cndmask_b32_e32 v8, v23, v8, vcc
	v_cndmask_b32_e32 v9, v28, v9, vcc
	v_cmp_ne_u32_e32 vcc, 0, v22
	v_cndmask_b32_e32 v9, v29, v9, vcc
	v_cndmask_b32_e32 v8, 0, v8, vcc
	s_branch .LBB6_1456
.LBB6_1455:
	s_mov_b64 s[0:1], -1
                                        ; implicit-def: $vgpr8_vgpr9
.LBB6_1456:
	s_mov_b64 s[16:17], 0
.LBB6_1457:
	s_and_b64 vcc, exec, s[16:17]
	s_cbranch_vccz .LBB6_1461
; %bb.1458:
	s_cmp_eq_u32 s22, 29
	s_cbranch_scc0 .LBB6_1460
; %bb.1459:
	global_load_dwordx2 v[8:9], v[20:21], off
	s_mov_b64 s[0:1], 0
	s_mov_b64 s[12:13], -1
	s_mov_b64 s[16:17], 0
	s_waitcnt vmcnt(0)
	v_cvt_f64_u32_e32 v[22:23], v9
	v_cvt_f64_u32_e32 v[8:9], v8
	v_ldexp_f64 v[22:23], v[22:23], 32
	v_add_f64 v[8:9], v[22:23], v[8:9]
	s_branch .LBB6_1462
.LBB6_1460:
	s_mov_b64 s[0:1], -1
                                        ; implicit-def: $vgpr8_vgpr9
.LBB6_1461:
	s_mov_b64 s[16:17], 0
.LBB6_1462:
	s_and_b64 vcc, exec, s[16:17]
	s_cbranch_vccz .LBB6_1482
; %bb.1463:
	s_cmp_lt_i32 s22, 27
	s_cbranch_scc1 .LBB6_1466
; %bb.1464:
	s_cmp_gt_i32 s22, 27
	s_cbranch_scc0 .LBB6_1467
; %bb.1465:
	global_load_dword v8, v[20:21], off
	s_mov_b64 s[12:13], 0
	s_waitcnt vmcnt(0)
	v_cvt_f64_u32_e32 v[8:9], v8
	s_branch .LBB6_1468
.LBB6_1466:
	s_mov_b64 s[12:13], -1
                                        ; implicit-def: $vgpr8_vgpr9
	s_branch .LBB6_1471
.LBB6_1467:
	s_mov_b64 s[12:13], -1
                                        ; implicit-def: $vgpr8_vgpr9
.LBB6_1468:
	s_andn2_b64 vcc, exec, s[12:13]
	s_cbranch_vccnz .LBB6_1470
; %bb.1469:
	global_load_ushort v8, v[20:21], off
	s_waitcnt vmcnt(0)
	v_cvt_f64_u32_e32 v[8:9], v8
.LBB6_1470:
	s_mov_b64 s[12:13], 0
.LBB6_1471:
	s_andn2_b64 vcc, exec, s[12:13]
	s_cbranch_vccnz .LBB6_1481
; %bb.1472:
	global_load_ubyte v22, v[20:21], off
	s_movk_i32 s3, 0x7f
	s_mov_b64 s[12:13], 0
	s_waitcnt vmcnt(0)
	v_cmp_lt_i16_e32 vcc, s3, v22
	s_and_saveexec_b64 s[16:17], vcc
	s_xor_b64 s[16:17], exec, s[16:17]
	s_cbranch_execz .LBB6_1476
; %bb.1473:
	s_movk_i32 s3, 0x80
	v_cmp_eq_u16_e32 vcc, s3, v22
	s_mov_b64 s[12:13], -1
	s_and_saveexec_b64 s[18:19], vcc
; %bb.1474:
	s_xor_b64 s[12:13], exec, -1
; %bb.1475:
	s_or_b64 exec, exec, s[18:19]
	s_and_b64 s[12:13], s[12:13], exec
.LBB6_1476:
	s_or_saveexec_b64 s[16:17], s[16:17]
	v_bfrev_b32_e32 v8, 4
	v_mov_b32_e32 v9, 0x7ff80000
	s_xor_b64 exec, exec, s[16:17]
; %bb.1477:
	v_cmp_ne_u16_e32 vcc, 0, v22
	v_mov_b32_e32 v8, 0
	s_andn2_b64 s[12:13], s[12:13], exec
	s_and_b64 s[18:19], vcc, exec
	v_mov_b32_e32 v9, 0
	s_or_b64 s[12:13], s[12:13], s[18:19]
; %bb.1478:
	s_or_b64 exec, exec, s[16:17]
	s_and_saveexec_b64 s[16:17], s[12:13]
	s_cbranch_execz .LBB6_1480
; %bb.1479:
	v_and_b32_e32 v9, 0xffff, v22
	v_lshlrev_b32_e32 v8, 24, v22
	v_and_b32_e32 v22, 7, v9
	v_ffbh_u32_e32 v28, v22
	v_min_u32_e32 v28, 32, v28
	v_subrev_u32_e32 v29, 28, v28
	v_bfe_u32 v23, v9, 3, 4
	v_lshlrev_b32_e32 v9, v29, v9
	v_sub_u32_e32 v28, 29, v28
	v_and_b32_e32 v9, 7, v9
	v_cmp_eq_u32_e32 vcc, 0, v23
	v_cndmask_b32_e32 v23, v23, v28, vcc
	v_cndmask_b32_e32 v9, v22, v9, vcc
	v_mov_b32_e32 v22, 0x3b800000
	v_lshlrev_b32_e32 v9, 20, v9
	v_and_b32_e32 v8, 0x80000000, v8
	v_lshl_add_u32 v22, v23, 23, v22
	v_or3_b32 v8, v8, v22, v9
	v_cvt_f64_f32_e32 v[8:9], v8
.LBB6_1480:
	s_or_b64 exec, exec, s[16:17]
.LBB6_1481:
	s_mov_b64 s[12:13], -1
.LBB6_1482:
	s_mov_b64 s[16:17], 0
.LBB6_1483:
	s_and_b64 vcc, exec, s[16:17]
	s_cbranch_vccz .LBB6_1514
; %bb.1484:
	s_cmp_gt_i32 s22, 22
	s_cbranch_scc0 .LBB6_1496
; %bb.1485:
	s_cmp_lt_i32 s22, 24
	s_cbranch_scc1 .LBB6_1497
; %bb.1486:
	s_cmp_gt_i32 s22, 24
	s_cbranch_scc0 .LBB6_1498
; %bb.1487:
	global_load_ubyte v22, v[20:21], off
	s_movk_i32 s3, 0x7f
	s_waitcnt vmcnt(0)
	v_cmp_lt_i16_e32 vcc, s3, v22
	s_and_saveexec_b64 s[12:13], vcc
	s_xor_b64 s[12:13], exec, s[12:13]
	s_cbranch_execz .LBB6_1491
; %bb.1488:
	s_movk_i32 s3, 0x80
	v_cmp_eq_u16_e32 vcc, s3, v22
	s_mov_b64 s[10:11], -1
	s_and_saveexec_b64 s[16:17], vcc
; %bb.1489:
	s_xor_b64 s[10:11], exec, -1
; %bb.1490:
	s_or_b64 exec, exec, s[16:17]
	s_and_b64 s[10:11], s[10:11], exec
.LBB6_1491:
	s_or_saveexec_b64 s[12:13], s[12:13]
	v_bfrev_b32_e32 v8, 4
	v_mov_b32_e32 v9, 0x7ff80000
	s_xor_b64 exec, exec, s[12:13]
; %bb.1492:
	v_cmp_ne_u16_e32 vcc, 0, v22
	v_mov_b32_e32 v8, 0
	s_andn2_b64 s[10:11], s[10:11], exec
	s_and_b64 s[16:17], vcc, exec
	v_mov_b32_e32 v9, 0
	s_or_b64 s[10:11], s[10:11], s[16:17]
; %bb.1493:
	s_or_b64 exec, exec, s[12:13]
	s_and_saveexec_b64 s[12:13], s[10:11]
	s_cbranch_execz .LBB6_1495
; %bb.1494:
	v_and_b32_e32 v9, 0xffff, v22
	v_lshlrev_b32_e32 v8, 24, v22
	v_and_b32_e32 v22, 3, v9
	v_ffbh_u32_e32 v28, v22
	v_min_u32_e32 v28, 32, v28
	v_subrev_u32_e32 v29, 29, v28
	v_bfe_u32 v23, v9, 2, 5
	v_lshlrev_b32_e32 v9, v29, v9
	v_sub_u32_e32 v28, 30, v28
	v_and_b32_e32 v9, 3, v9
	v_cmp_eq_u32_e32 vcc, 0, v23
	v_cndmask_b32_e32 v23, v23, v28, vcc
	v_cndmask_b32_e32 v9, v22, v9, vcc
	v_mov_b32_e32 v22, 0x37800000
	v_lshlrev_b32_e32 v9, 21, v9
	v_and_b32_e32 v8, 0x80000000, v8
	v_lshl_add_u32 v22, v23, 23, v22
	v_or3_b32 v8, v8, v22, v9
	v_cvt_f64_f32_e32 v[8:9], v8
.LBB6_1495:
	s_or_b64 exec, exec, s[12:13]
	s_mov_b64 s[10:11], 0
	s_branch .LBB6_1499
.LBB6_1496:
	s_mov_b64 s[10:11], -1
                                        ; implicit-def: $vgpr8_vgpr9
	s_branch .LBB6_1505
.LBB6_1497:
	s_mov_b64 s[10:11], -1
                                        ; implicit-def: $vgpr8_vgpr9
	s_branch .LBB6_1502
.LBB6_1498:
	s_mov_b64 s[10:11], -1
                                        ; implicit-def: $vgpr8_vgpr9
.LBB6_1499:
	s_and_b64 vcc, exec, s[10:11]
	s_cbranch_vccz .LBB6_1501
; %bb.1500:
	global_load_ubyte v8, v[20:21], off
	s_mov_b32 s3, 0x7f800000
	s_waitcnt vmcnt(0)
	v_lshlrev_b32_e32 v8, 24, v8
	v_and_b32_e32 v9, 0x7f000000, v8
	v_ffbh_u32_e32 v22, v9
	v_min_u32_e32 v22, 32, v22
	v_sub_u32_e64 v22, v22, 4 clamp
	v_lshlrev_b32_e32 v28, v22, v9
	v_lshlrev_b32_e32 v22, 23, v22
	v_lshrrev_b32_e32 v28, 4, v28
	v_add_u32_e32 v23, 0x1000000, v9
	v_sub_u32_e32 v22, v28, v22
	v_ashrrev_i32_e32 v23, 8, v23
	v_add_u32_e32 v22, 0x3c000000, v22
	v_and_or_b32 v22, v23, s3, v22
	v_cmp_ne_u32_e32 vcc, 0, v9
	v_cndmask_b32_e32 v9, 0, v22, vcc
	s_brev_b32 s3, 1
	v_and_or_b32 v8, v8, s3, v9
	v_cvt_f64_f32_e32 v[8:9], v8
.LBB6_1501:
	s_mov_b64 s[10:11], 0
.LBB6_1502:
	s_andn2_b64 vcc, exec, s[10:11]
	s_cbranch_vccnz .LBB6_1504
; %bb.1503:
	global_load_ubyte v8, v[20:21], off
	s_movk_i32 s3, 0x7f00
	s_brev_b32 s10, 16
	s_waitcnt vmcnt(0)
	v_lshlrev_b16_e32 v9, 8, v8
	v_lshlrev_b32_e32 v8, 25, v8
	v_lshrrev_b32_e32 v22, 4, v8
	v_and_or_b32 v23, v9, s3, 0.5
	v_or_b32_e32 v22, 0x70000000, v22
	v_add_f32_e32 v23, -0.5, v23
	v_mul_f32_e32 v22, 0x7800000, v22
	v_cmp_gt_u32_e32 vcc, s10, v8
	v_bfe_i32 v9, v9, 0, 16
	v_cndmask_b32_e32 v8, v22, v23, vcc
	s_brev_b32 s3, 1
	v_and_or_b32 v8, v9, s3, v8
	v_cvt_f64_f32_e32 v[8:9], v8
.LBB6_1504:
	s_mov_b64 s[10:11], 0
	s_mov_b64 s[12:13], -1
.LBB6_1505:
	s_andn2_b64 vcc, exec, s[10:11]
	s_mov_b64 s[10:11], 0
	s_cbranch_vccnz .LBB6_1514
; %bb.1506:
	s_cmp_gt_i32 s22, 14
	s_cbranch_scc0 .LBB6_1509
; %bb.1507:
	s_cmp_eq_u32 s22, 15
	s_cbranch_scc0 .LBB6_1510
; %bb.1508:
	global_load_ushort v8, v[20:21], off
	s_mov_b64 s[0:1], 0
	s_mov_b64 s[12:13], -1
	s_waitcnt vmcnt(0)
	v_lshlrev_b32_e32 v8, 16, v8
	v_cvt_f64_f32_e32 v[8:9], v8
	s_branch .LBB6_1511
.LBB6_1509:
	s_mov_b64 s[16:17], -1
                                        ; implicit-def: $vgpr8_vgpr9
	s_branch .LBB6_1512
.LBB6_1510:
	s_mov_b64 s[0:1], -1
                                        ; implicit-def: $vgpr8_vgpr9
.LBB6_1511:
	s_mov_b64 s[16:17], 0
.LBB6_1512:
	s_and_b64 vcc, exec, s[16:17]
	s_cbranch_vccz .LBB6_1514
; %bb.1513:
	s_cmp_lg_u32 s22, 11
	s_mov_b64 s[10:11], -1
	s_cselect_b64 s[0:1], -1, 0
.LBB6_1514:
	s_and_b64 vcc, exec, s[0:1]
	s_cbranch_vccnz .LBB6_2051
; %bb.1515:
	s_andn2_b64 vcc, exec, s[10:11]
	s_cbranch_vccnz .LBB6_1517
.LBB6_1516:
	global_load_ubyte v9, v[20:21], off
	v_mov_b32_e32 v22, 0x3ff00000
	v_mov_b32_e32 v8, 0
	s_mov_b64 s[12:13], -1
	s_waitcnt vmcnt(0)
	v_cmp_ne_u16_e32 vcc, 0, v9
	v_cndmask_b32_e32 v9, 0, v22, vcc
.LBB6_1517:
	s_mov_b64 s[0:1], 0
.LBB6_1518:
	s_and_b64 vcc, exec, s[0:1]
	s_cbranch_vccz .LBB6_1567
; %bb.1519:
	s_cmp_lt_i32 s22, 5
	s_cbranch_scc1 .LBB6_1524
; %bb.1520:
	s_cmp_lt_i32 s22, 8
	s_cbranch_scc1 .LBB6_1525
	;; [unrolled: 3-line block ×3, first 2 shown]
; %bb.1522:
	s_cmp_gt_i32 s22, 9
	s_cbranch_scc0 .LBB6_1527
; %bb.1523:
	global_load_dwordx2 v[8:9], v[20:21], off
	s_mov_b64 s[0:1], 0
	s_branch .LBB6_1528
.LBB6_1524:
	s_mov_b64 s[0:1], -1
                                        ; implicit-def: $vgpr8_vgpr9
	s_branch .LBB6_1546
.LBB6_1525:
	s_mov_b64 s[0:1], -1
                                        ; implicit-def: $vgpr8_vgpr9
	s_branch .LBB6_1534
.LBB6_1526:
	s_mov_b64 s[0:1], -1
                                        ; implicit-def: $vgpr8_vgpr9
	s_branch .LBB6_1531
.LBB6_1527:
	s_mov_b64 s[0:1], -1
                                        ; implicit-def: $vgpr8_vgpr9
.LBB6_1528:
	s_andn2_b64 vcc, exec, s[0:1]
	s_cbranch_vccnz .LBB6_1530
; %bb.1529:
	global_load_dword v8, v[20:21], off
	s_waitcnt vmcnt(0)
	v_cvt_f64_f32_e32 v[8:9], v8
.LBB6_1530:
	s_mov_b64 s[0:1], 0
.LBB6_1531:
	s_andn2_b64 vcc, exec, s[0:1]
	s_cbranch_vccnz .LBB6_1533
; %bb.1532:
	global_load_dword v8, v[20:21], off
	s_waitcnt vmcnt(0)
	v_cvt_f32_f16_e32 v8, v8
	v_cvt_f64_f32_e32 v[8:9], v8
.LBB6_1533:
	s_mov_b64 s[0:1], 0
.LBB6_1534:
	s_andn2_b64 vcc, exec, s[0:1]
	s_cbranch_vccnz .LBB6_1545
; %bb.1535:
	s_cmp_lt_i32 s22, 6
	s_cbranch_scc1 .LBB6_1538
; %bb.1536:
	s_cmp_gt_i32 s22, 6
	s_cbranch_scc0 .LBB6_1539
; %bb.1537:
	global_load_dwordx2 v[8:9], v[20:21], off
	s_mov_b64 s[0:1], 0
	s_branch .LBB6_1540
.LBB6_1538:
	s_mov_b64 s[0:1], -1
                                        ; implicit-def: $vgpr8_vgpr9
	s_branch .LBB6_1543
.LBB6_1539:
	s_mov_b64 s[0:1], -1
                                        ; implicit-def: $vgpr8_vgpr9
.LBB6_1540:
	s_andn2_b64 vcc, exec, s[0:1]
	s_cbranch_vccnz .LBB6_1542
; %bb.1541:
	global_load_dword v8, v[20:21], off
	s_waitcnt vmcnt(0)
	v_cvt_f64_f32_e32 v[8:9], v8
.LBB6_1542:
	s_mov_b64 s[0:1], 0
.LBB6_1543:
	s_andn2_b64 vcc, exec, s[0:1]
	s_cbranch_vccnz .LBB6_1545
; %bb.1544:
	global_load_ushort v8, v[20:21], off
	s_waitcnt vmcnt(0)
	v_cvt_f32_f16_e32 v8, v8
	v_cvt_f64_f32_e32 v[8:9], v8
.LBB6_1545:
	s_mov_b64 s[0:1], 0
.LBB6_1546:
	s_andn2_b64 vcc, exec, s[0:1]
	s_cbranch_vccnz .LBB6_1566
; %bb.1547:
	s_cmp_lt_i32 s22, 2
	s_cbranch_scc1 .LBB6_1551
; %bb.1548:
	s_cmp_lt_i32 s22, 3
	s_cbranch_scc1 .LBB6_1552
; %bb.1549:
	s_cmp_gt_i32 s22, 3
	s_cbranch_scc0 .LBB6_1553
; %bb.1550:
	global_load_dwordx2 v[8:9], v[20:21], off
	s_mov_b64 s[0:1], 0
	s_waitcnt vmcnt(0)
	v_cvt_f64_i32_e32 v[22:23], v9
	v_cvt_f64_u32_e32 v[8:9], v8
	v_ldexp_f64 v[22:23], v[22:23], 32
	v_add_f64 v[8:9], v[22:23], v[8:9]
	s_branch .LBB6_1554
.LBB6_1551:
	s_mov_b64 s[0:1], -1
                                        ; implicit-def: $vgpr8_vgpr9
	s_branch .LBB6_1560
.LBB6_1552:
	s_mov_b64 s[0:1], -1
                                        ; implicit-def: $vgpr8_vgpr9
	s_branch .LBB6_1557
.LBB6_1553:
	s_mov_b64 s[0:1], -1
                                        ; implicit-def: $vgpr8_vgpr9
.LBB6_1554:
	s_andn2_b64 vcc, exec, s[0:1]
	s_cbranch_vccnz .LBB6_1556
; %bb.1555:
	global_load_dword v8, v[20:21], off
	s_waitcnt vmcnt(0)
	v_cvt_f64_i32_e32 v[8:9], v8
.LBB6_1556:
	s_mov_b64 s[0:1], 0
.LBB6_1557:
	s_andn2_b64 vcc, exec, s[0:1]
	s_cbranch_vccnz .LBB6_1559
; %bb.1558:
	global_load_sshort v8, v[20:21], off
	s_waitcnt vmcnt(0)
	v_cvt_f64_i32_e32 v[8:9], v8
.LBB6_1559:
	s_mov_b64 s[0:1], 0
.LBB6_1560:
	s_andn2_b64 vcc, exec, s[0:1]
	s_cbranch_vccnz .LBB6_1566
; %bb.1561:
	s_cmp_gt_i32 s22, 0
	s_cbranch_scc0 .LBB6_1563
; %bb.1562:
	global_load_sbyte v8, v[20:21], off
	s_mov_b64 s[0:1], 0
	s_waitcnt vmcnt(0)
	v_cvt_f64_i32_e32 v[8:9], v8
	s_branch .LBB6_1564
.LBB6_1563:
	s_mov_b64 s[0:1], -1
                                        ; implicit-def: $vgpr8_vgpr9
.LBB6_1564:
	s_andn2_b64 vcc, exec, s[0:1]
	s_cbranch_vccnz .LBB6_1566
; %bb.1565:
	global_load_ubyte v8, v[20:21], off
	s_waitcnt vmcnt(0)
	v_cvt_f64_u32_e32 v[8:9], v8
.LBB6_1566:
	s_mov_b64 s[12:13], -1
.LBB6_1567:
	s_andn2_b64 vcc, exec, s[12:13]
	s_cbranch_vccnz .LBB6_2005
; %bb.1568:
	s_mov_b32 s0, 0
	s_mov_b32 s1, 0x41d00000
	s_waitcnt vmcnt(0)
	v_cmp_nlt_f64_e64 s[0:1], |v[8:9]|, s[0:1]
                                        ; implicit-def: $vgpr28
                                        ; implicit-def: $vgpr20_vgpr21
                                        ; implicit-def: $vgpr22_vgpr23
	s_and_saveexec_b64 s[10:11], s[0:1]
	s_xor_b64 s[0:1], exec, s[10:11]
	s_cbranch_execz .LBB6_1570
; %bb.1569:
	v_trig_preop_f64 v[20:21], |v[8:9]|, 0
	s_mov_b32 s10, 0
	s_mov_b32 s11, 0x7b000000
	s_movk_i32 s3, 0xff80
	v_ldexp_f64 v[22:23], |v[8:9]|, s3
	v_cmp_ge_f64_e64 vcc, |v[8:9]|, s[10:11]
	v_trig_preop_f64 v[28:29], |v[8:9]|, 1
	v_and_b32_e32 v30, 0x7fffffff, v9
	v_trig_preop_f64 v[36:37], |v[8:9]|, 2
	s_mov_b32 s10, 0
	s_mov_b32 s11, 0x7ff00000
	v_mov_b32_e32 v47, 0x40100000
	v_mov_b32_e32 v46, 0
	v_cndmask_b32_e32 v23, v30, v23, vcc
	v_cndmask_b32_e32 v22, v8, v22, vcc
	s_mov_b32 s12, 0x33145c07
	v_mul_f64 v[30:31], v[20:21], v[22:23]
	s_mov_b32 s13, 0x3c91a626
	v_mul_f64 v[32:33], v[28:29], v[22:23]
	v_mul_f64 v[42:43], v[36:37], v[22:23]
	v_fma_f64 v[20:21], v[20:21], v[22:23], -v[30:31]
	v_fma_f64 v[28:29], v[28:29], v[22:23], -v[32:33]
	;; [unrolled: 1-line block ×3, first 2 shown]
	v_add_f64 v[34:35], v[32:33], v[20:21]
	v_add_f64 v[38:39], v[34:35], -v[32:33]
	v_add_f64 v[44:45], v[30:31], v[34:35]
	v_add_f64 v[40:41], v[34:35], -v[38:39]
	v_add_f64 v[20:21], v[20:21], -v[38:39]
	v_add_f64 v[38:39], v[42:43], v[28:29]
	v_add_f64 v[30:31], v[44:45], -v[30:31]
	v_add_f64 v[32:33], v[32:33], -v[40:41]
	v_ldexp_f64 v[40:41], v[44:45], -2
	v_add_f64 v[30:31], v[34:35], -v[30:31]
	v_add_f64 v[20:21], v[20:21], v[32:33]
	v_fract_f64_e32 v[32:33], v[40:41]
	v_cmp_neq_f64_e64 vcc, |v[40:41]|, s[10:11]
	s_mov_b32 s10, 0x54442d18
	s_mov_b32 s11, 0x3ff921fb
	v_add_f64 v[34:35], v[38:39], v[20:21]
	v_ldexp_f64 v[32:33], v[32:33], 2
	v_add_f64 v[40:41], v[30:31], v[34:35]
	v_cndmask_b32_e32 v33, 0, v33, vcc
	v_cndmask_b32_e32 v32, 0, v32, vcc
	v_add_f64 v[48:49], v[34:35], -v[38:39]
	v_add_f64 v[44:45], v[40:41], v[32:33]
	v_add_f64 v[30:31], v[40:41], -v[30:31]
	v_add_f64 v[52:53], v[34:35], -v[48:49]
	;; [unrolled: 1-line block ×3, first 2 shown]
	v_cmp_gt_f64_e32 vcc, 0, v[44:45]
	v_add_f64 v[44:45], v[38:39], -v[42:43]
	v_add_f64 v[30:31], v[34:35], -v[30:31]
	v_cndmask_b32_e32 v47, 0, v47, vcc
	v_add_f64 v[32:33], v[32:33], v[46:47]
	v_add_f64 v[50:51], v[38:39], -v[44:45]
	v_add_f64 v[28:29], v[28:29], -v[44:45]
	;; [unrolled: 1-line block ×3, first 2 shown]
	v_add_f64 v[54:55], v[40:41], v[32:33]
	v_add_f64 v[44:45], v[42:43], -v[50:51]
	v_add_f64 v[20:21], v[20:21], v[38:39]
	v_cvt_i32_f64_e32 v49, v[54:55]
	v_add_f64 v[28:29], v[28:29], v[44:45]
	v_cvt_f64_i32_e32 v[47:48], v49
	v_add_f64 v[32:33], v[32:33], -v[47:48]
	v_add_f64 v[20:21], v[28:29], v[20:21]
	v_add_f64 v[28:29], v[40:41], v[32:33]
	;; [unrolled: 1-line block ×3, first 2 shown]
	v_add_f64 v[22:23], v[28:29], -v[32:33]
	v_cmp_le_f64_e32 vcc, 0.5, v[28:29]
	v_add_f64 v[20:21], v[30:31], v[20:21]
	v_mov_b32_e32 v30, 0x3ff00000
	v_add_f64 v[22:23], v[40:41], -v[22:23]
	v_cndmask_b32_e32 v47, 0, v30, vcc
	v_add_f64 v[20:21], v[20:21], v[22:23]
	v_add_f64 v[22:23], v[28:29], -v[46:47]
	v_add_f64 v[28:29], v[22:23], v[20:21]
	v_mul_f64 v[30:31], v[28:29], s[10:11]
	v_add_f64 v[22:23], v[28:29], -v[22:23]
	v_fma_f64 v[32:33], v[28:29], s[10:11], -v[30:31]
	v_add_f64 v[20:21], v[20:21], -v[22:23]
	v_fma_f64 v[22:23], v[28:29], s[12:13], v[32:33]
	v_fma_f64 v[22:23], v[20:21], s[10:11], v[22:23]
	v_add_f64 v[20:21], v[30:31], v[22:23]
	v_add_f64 v[28:29], v[20:21], -v[30:31]
	v_add_f64 v[22:23], v[22:23], -v[28:29]
	v_addc_co_u32_e32 v28, vcc, 0, v49, vcc
.LBB6_1570:
	s_andn2_saveexec_b64 s[0:1], s[0:1]
	s_cbranch_execz .LBB6_1572
; %bb.1571:
	s_mov_b32 s10, 0x6dc9c883
	s_mov_b32 s11, 0x3fe45f30
	v_mul_f64 v[20:21], |v[8:9]|, s[10:11]
	s_mov_b32 s10, 0x54442d18
	s_mov_b32 s11, 0xbff921fb
	;; [unrolled: 1-line block ×4, first 2 shown]
	v_rndne_f64_e32 v[28:29], v[20:21]
	v_fma_f64 v[20:21], v[28:29], s[10:11], |v[8:9]|
	v_mul_f64 v[22:23], v[28:29], s[12:13]
	s_mov_b32 s10, 0x252049c0
	s_mov_b32 s11, 0xb97b839a
	v_fma_f64 v[34:35], v[28:29], s[12:13], v[20:21]
	v_add_f64 v[30:31], v[20:21], v[22:23]
	s_mov_b32 s13, 0x3c91a626
	v_add_f64 v[32:33], v[20:21], -v[30:31]
	v_add_f64 v[30:31], v[30:31], -v[34:35]
	v_add_f64 v[20:21], v[32:33], v[22:23]
	v_fma_f64 v[22:23], v[28:29], s[12:13], v[22:23]
	v_add_f64 v[20:21], v[30:31], v[20:21]
	v_add_f64 v[20:21], v[20:21], -v[22:23]
	v_fma_f64 v[22:23], v[28:29], s[10:11], v[20:21]
	v_cvt_i32_f64_e32 v28, v[28:29]
	v_add_f64 v[20:21], v[34:35], v[22:23]
	v_add_f64 v[30:31], v[20:21], -v[34:35]
	v_add_f64 v[22:23], v[22:23], -v[30:31]
.LBB6_1572:
	s_or_b64 exec, exec, s[0:1]
	v_mul_f64 v[29:30], v[2:3], v[2:3]
	s_mov_b32 s0, 0xf9a43bb8
	v_mov_b32_e32 v32, 0xb42fdfa7
	v_mov_b32_e32 v33, 0xbe5ae600
	s_mov_b32 s1, 0x3de5e0b2
	s_mov_b32 s10, 0x796cde01
	v_mov_b32_e32 v31, 0x9037ab78
	s_mov_b32 s11, 0x3ec71de3
	v_fma_f64 v[33:34], v[29:30], s[0:1], v[32:33]
	s_mov_b32 s0, 0x46cc5e42
	v_mov_b32_e32 v32, 0x3e21eeb6
	s_mov_b32 s1, 0xbda907db
	v_fma_f64 v[31:32], v[29:30], s[0:1], v[31:32]
	v_mul_f64 v[35:36], v[29:30], 0.5
	s_mov_b32 s0, 0xa17f65f6
	s_mov_b32 s12, 0x19e83e5c
	v_fma_f64 v[33:34], v[29:30], v[33:34], s[10:11]
	s_mov_b32 s1, 0xbe927e4f
	s_mov_b32 s13, 0xbf2a01a0
	;; [unrolled: 1-line block ×3, first 2 shown]
	v_fma_f64 v[31:32], v[29:30], v[31:32], s[0:1]
	v_add_f64 v[37:38], -v[35:36], 1.0
	s_mov_b32 s0, 0x11110bb3
	s_mov_b32 s11, 0x3efa01a0
	v_fma_f64 v[33:34], v[29:30], v[33:34], s[12:13]
	s_mov_b32 s1, 0x3f811111
	v_mul_f64 v[39:40], v[10:11], 0.5
	v_mul_f64 v[41:42], v[2:3], -v[29:30]
	v_fma_f64 v[31:32], v[29:30], v[31:32], s[10:11]
	v_add_f64 v[43:44], -v[37:38], 1.0
	v_mul_lo_u32 v24, s2, v24
	s_and_b32 s20, s33, 0xff
	v_fma_f64 v[33:34], v[29:30], v[33:34], s[0:1]
	s_mov_b32 s0, 0x16c16967
	s_mov_b32 s1, 0xbf56c16c
	s_cmp_lt_i32 s20, 11
	v_fma_f64 v[31:32], v[29:30], v[31:32], s[0:1]
	v_add_f64 v[35:36], v[43:44], -v[35:36]
	s_mov_b32 s1, 0x3fa55555
	s_mov_b32 s0, 0x55555555
	v_fma_f64 v[33:34], v[41:42], v[33:34], v[39:40]
	v_mul_f64 v[39:40], v[29:30], v[29:30]
	v_fma_f64 v[31:32], v[29:30], v[31:32], s[0:1]
	v_fma_f64 v[35:36], v[2:3], -v[10:11], v[35:36]
	s_mov_b32 s1, 0xbfc55555
	v_fma_f64 v[10:11], v[29:30], v[33:34], -v[10:11]
	v_fma_f64 v[29:30], v[39:40], v[31:32], v[35:36]
	v_and_b32_e32 v31, 1, v25
	v_cmp_eq_u32_e32 vcc, 0, v31
	v_fma_f64 v[10:11], v[41:42], s[0:1], v[10:11]
	s_movk_i32 s0, 0x1f8
	v_cmp_class_f64_e64 s[0:1], v[0:1], s0
	v_add_f64 v[29:30], v[37:38], v[29:30]
	v_add_f64 v[2:3], v[2:3], -v[10:11]
	v_lshlrev_b32_e32 v10, 30, v25
	v_xor_b32_e32 v0, v10, v1
	v_and_b32_e32 v0, 0x80000000, v0
	v_mov_b32_e32 v11, 0x7ff80000
	v_mov_b32_e32 v25, s9
	v_cndmask_b32_e32 v1, v30, v3, vcc
	v_cndmask_b32_e32 v2, v29, v2, vcc
	v_ashrrev_i32_e32 v29, 31, v24
	v_xor_b32_e32 v1, v1, v0
	v_add_co_u32_e32 v10, vcc, s8, v24
	v_cndmask_b32_e64 v0, 0, v2, s[0:1]
	v_cndmask_b32_e64 v1, v11, v1, s[0:1]
	v_addc_co_u32_e32 v11, vcc, v25, v29, vcc
	s_cbranch_scc1 .LBB6_1650
; %bb.1573:
	s_and_b32 s3, 0xffff, s20
	s_mov_b64 s[16:17], -1
	s_mov_b64 s[10:11], 0
	s_cmp_gt_i32 s3, 25
	s_mov_b64 s[12:13], 0
	s_mov_b64 s[0:1], 0
	s_cbranch_scc0 .LBB6_1606
; %bb.1574:
	s_cmp_gt_i32 s3, 28
	s_cbranch_scc0 .LBB6_1589
; %bb.1575:
	s_cmp_gt_i32 s3, 43
	;; [unrolled: 3-line block ×3, first 2 shown]
	s_cbranch_scc0 .LBB6_1579
; %bb.1577:
	s_mov_b64 s[0:1], -1
	s_mov_b64 s[16:17], 0
	s_cmp_eq_u32 s3, 46
	s_cbranch_scc0 .LBB6_1579
; %bb.1578:
	v_cvt_f32_f64_e32 v2, v[0:1]
	s_movk_i32 s0, 0x7fff
	v_mov_b32_e32 v3, 0x7fc0
	s_mov_b64 s[12:13], -1
	v_bfe_u32 v25, v2, 16, 1
	v_cmp_o_f32_e32 vcc, v2, v2
	v_add3_u32 v2, v2, v25, s0
	v_cndmask_b32_sdwa v2, v3, v2, vcc dst_sel:DWORD dst_unused:UNUSED_PAD src0_sel:DWORD src1_sel:WORD_1
	global_store_dword v[10:11], v2, off
	s_mov_b64 s[0:1], 0
.LBB6_1579:
	s_and_b64 vcc, exec, s[16:17]
	s_cbranch_vccz .LBB6_1584
; %bb.1580:
	s_cmp_eq_u32 s3, 44
	s_mov_b64 s[0:1], -1
	s_cbranch_scc0 .LBB6_1584
; %bb.1581:
	v_cvt_f32_f64_e32 v2, v[0:1]
	s_movk_i32 s0, 0xff
	v_mov_b32_e32 v25, 0xff
	v_bfe_u32 v3, v2, 23, 8
	v_cmp_ne_u32_e32 vcc, s0, v3
	s_and_saveexec_b64 s[12:13], vcc
; %bb.1582:
	s_mov_b32 s0, 0x3fffff
	v_lshrrev_b32_e32 v25, 23, v2
	v_and_b32_e32 v29, 0x400000, v2
	v_and_or_b32 v2, v2, s0, v3
	v_cmp_ne_u32_e32 vcc, 0, v29
	v_cmp_ne_u32_e64 s[0:1], 0, v2
	s_and_b64 s[0:1], vcc, s[0:1]
	v_cndmask_b32_e64 v2, 0, 1, s[0:1]
	v_add_u32_e32 v25, v25, v2
; %bb.1583:
	s_or_b64 exec, exec, s[12:13]
	s_mov_b64 s[0:1], 0
	s_mov_b64 s[12:13], -1
	global_store_byte v[10:11], v25, off
.LBB6_1584:
	s_mov_b64 s[16:17], 0
.LBB6_1585:
	s_and_b64 vcc, exec, s[16:17]
	s_cbranch_vccz .LBB6_1588
; %bb.1586:
	s_cmp_eq_u32 s3, 29
	s_mov_b64 s[0:1], -1
	s_cbranch_scc0 .LBB6_1588
; %bb.1587:
	v_trunc_f64_e32 v[2:3], v[0:1]
	s_movk_i32 s0, 0xffe0
	s_mov_b64 s[12:13], -1
	v_ldexp_f64 v[29:30], v[2:3], s0
	s_mov_b32 s0, 0
	s_mov_b32 s1, 0xc1f00000
	v_floor_f64_e32 v[29:30], v[29:30]
	v_fma_f64 v[2:3], v[29:30], s[0:1], v[2:3]
	v_cvt_u32_f64_e32 v30, v[29:30]
	s_mov_b64 s[0:1], 0
	v_cvt_u32_f64_e32 v29, v[2:3]
	global_store_dwordx2 v[10:11], v[29:30], off
.LBB6_1588:
	s_mov_b64 s[16:17], 0
.LBB6_1589:
	s_and_b64 vcc, exec, s[16:17]
	s_cbranch_vccz .LBB6_1605
; %bb.1590:
	s_cmp_lt_i32 s3, 27
	s_mov_b64 s[12:13], -1
	s_cbranch_scc1 .LBB6_1596
; %bb.1591:
	v_cvt_u32_f64_e32 v2, v[0:1]
	s_cmp_gt_i32 s3, 27
	s_cbranch_scc0 .LBB6_1593
; %bb.1592:
	s_mov_b64 s[12:13], 0
	global_store_dword v[10:11], v2, off
.LBB6_1593:
	s_andn2_b64 vcc, exec, s[12:13]
	s_cbranch_vccnz .LBB6_1595
; %bb.1594:
	global_store_short v[10:11], v2, off
.LBB6_1595:
	s_mov_b64 s[12:13], 0
.LBB6_1596:
	s_andn2_b64 vcc, exec, s[12:13]
	s_cbranch_vccnz .LBB6_1604
; %bb.1597:
	v_cvt_f32_f64_e32 v2, v[0:1]
	s_mov_b32 s12, 0x43800000
	v_mov_b32_e32 v25, 0x80
	v_and_b32_e32 v3, 0x7fffffff, v2
	v_cmp_gt_u32_e32 vcc, s12, v3
	s_and_saveexec_b64 s[12:13], vcc
	s_cbranch_execz .LBB6_1603
; %bb.1598:
	s_mov_b32 s16, 0x3bffffff
	v_cmp_lt_u32_e32 vcc, s16, v3
	s_mov_b64 s[16:17], 0
                                        ; implicit-def: $vgpr3
	s_and_saveexec_b64 s[18:19], vcc
	s_xor_b64 s[18:19], exec, s[18:19]
	s_cbranch_execz .LBB6_2052
; %bb.1599:
	v_bfe_u32 v3, v2, 20, 1
	s_mov_b32 s21, 0x487ffff
	v_add3_u32 v3, v2, v3, s21
	s_mov_b64 s[16:17], exec
	v_lshrrev_b32_e32 v3, 20, v3
	s_andn2_saveexec_b64 s[18:19], s[18:19]
	s_cbranch_execnz .LBB6_2053
.LBB6_1600:
	s_or_b64 exec, exec, s[18:19]
	v_mov_b32_e32 v25, 0
	s_and_saveexec_b64 s[18:19], s[16:17]
.LBB6_1601:
	v_lshrrev_b32_e32 v2, 24, v2
	s_movk_i32 s16, 0x80
	v_and_or_b32 v25, v2, s16, v3
.LBB6_1602:
	s_or_b64 exec, exec, s[18:19]
.LBB6_1603:
	s_or_b64 exec, exec, s[12:13]
	global_store_byte v[10:11], v25, off
.LBB6_1604:
	s_mov_b64 s[12:13], -1
.LBB6_1605:
	s_mov_b64 s[16:17], 0
.LBB6_1606:
	s_and_b64 vcc, exec, s[16:17]
	s_cbranch_vccz .LBB6_1646
; %bb.1607:
	s_cmp_gt_i32 s3, 22
	s_mov_b64 s[10:11], -1
	s_cbranch_scc0 .LBB6_1639
; %bb.1608:
	s_cmp_lt_i32 s3, 24
	s_cbranch_scc1 .LBB6_1628
; %bb.1609:
	s_cmp_gt_i32 s3, 24
	s_cbranch_scc0 .LBB6_1617
; %bb.1610:
	v_cvt_f32_f64_e32 v2, v[0:1]
	s_mov_b32 s10, 0x47800000
	v_mov_b32_e32 v25, 0x80
	v_and_b32_e32 v3, 0x7fffffff, v2
	v_cmp_gt_u32_e32 vcc, s10, v3
	s_and_saveexec_b64 s[10:11], vcc
	s_cbranch_execz .LBB6_1616
; %bb.1611:
	s_mov_b32 s12, 0x37ffffff
	v_cmp_lt_u32_e32 vcc, s12, v3
	s_mov_b64 s[12:13], 0
                                        ; implicit-def: $vgpr3
	s_and_saveexec_b64 s[16:17], vcc
	s_xor_b64 s[16:17], exec, s[16:17]
	s_cbranch_execz .LBB6_2055
; %bb.1612:
	v_bfe_u32 v3, v2, 21, 1
	s_mov_b32 s18, 0x88fffff
	v_add3_u32 v3, v2, v3, s18
	s_mov_b64 s[12:13], exec
	v_lshrrev_b32_e32 v3, 21, v3
	s_andn2_saveexec_b64 s[16:17], s[16:17]
	s_cbranch_execnz .LBB6_2056
.LBB6_1613:
	s_or_b64 exec, exec, s[16:17]
	v_mov_b32_e32 v25, 0
	s_and_saveexec_b64 s[16:17], s[12:13]
.LBB6_1614:
	v_lshrrev_b32_e32 v2, 24, v2
	s_movk_i32 s12, 0x80
	v_and_or_b32 v25, v2, s12, v3
.LBB6_1615:
	s_or_b64 exec, exec, s[16:17]
.LBB6_1616:
	s_or_b64 exec, exec, s[10:11]
	s_mov_b64 s[10:11], 0
	global_store_byte v[10:11], v25, off
.LBB6_1617:
	s_and_b64 vcc, exec, s[10:11]
	s_cbranch_vccz .LBB6_1627
; %bb.1618:
	v_cvt_f32_f64_e32 v2, v[0:1]
	s_mov_b32 s10, 0x43f00000
                                        ; implicit-def: $vgpr3
	v_and_b32_e32 v25, 0x7fffffff, v2
	v_cmp_gt_u32_e32 vcc, s10, v25
	s_and_saveexec_b64 s[10:11], vcc
	s_xor_b64 s[10:11], exec, s[10:11]
	s_cbranch_execz .LBB6_1624
; %bb.1619:
	s_mov_b32 s12, 0x3c7fffff
	v_cmp_lt_u32_e32 vcc, s12, v25
                                        ; implicit-def: $vgpr3
	s_and_saveexec_b64 s[12:13], vcc
	s_xor_b64 s[12:13], exec, s[12:13]
; %bb.1620:
	v_bfe_u32 v3, v2, 20, 1
	s_mov_b32 s16, 0x407ffff
	v_add3_u32 v3, v2, v3, s16
	v_lshrrev_b32_e32 v25, 20, v3
	v_and_b32_e32 v3, 0xff00000, v3
	s_mov_b32 s16, 0x7f00000
	v_mov_b32_e32 v29, 0x7e
	v_cmp_ne_u32_e32 vcc, s16, v3
	v_cndmask_b32_e32 v3, v29, v25, vcc
; %bb.1621:
	s_andn2_saveexec_b64 s[12:13], s[12:13]
; %bb.1622:
	s_mov_b32 s16, 0x46800000
	v_add_f32_e64 v3, |v2|, s16
; %bb.1623:
	s_or_b64 exec, exec, s[12:13]
                                        ; implicit-def: $vgpr25
.LBB6_1624:
	s_andn2_saveexec_b64 s[10:11], s[10:11]
; %bb.1625:
	s_mov_b32 s12, 0x7f800000
	v_mov_b32_e32 v3, 0x7e
	v_mov_b32_e32 v29, 0x7f
	v_cmp_lt_u32_e32 vcc, s12, v25
	v_cndmask_b32_e32 v3, v3, v29, vcc
; %bb.1626:
	s_or_b64 exec, exec, s[10:11]
	v_lshrrev_b32_e32 v2, 24, v2
	s_movk_i32 s10, 0x80
	v_and_or_b32 v2, v2, s10, v3
	global_store_byte v[10:11], v2, off
.LBB6_1627:
	s_mov_b64 s[10:11], 0
.LBB6_1628:
	s_andn2_b64 vcc, exec, s[10:11]
	s_cbranch_vccnz .LBB6_1638
; %bb.1629:
	v_cvt_f32_f64_e32 v2, v[0:1]
	s_mov_b32 s10, 0x47800000
                                        ; implicit-def: $vgpr3
	v_and_b32_e32 v25, 0x7fffffff, v2
	v_cmp_gt_u32_e32 vcc, s10, v25
	s_and_saveexec_b64 s[10:11], vcc
	s_xor_b64 s[10:11], exec, s[10:11]
	s_cbranch_execz .LBB6_1635
; %bb.1630:
	s_mov_b32 s12, 0x387fffff
	v_cmp_lt_u32_e32 vcc, s12, v25
                                        ; implicit-def: $vgpr3
	s_and_saveexec_b64 s[12:13], vcc
	s_xor_b64 s[12:13], exec, s[12:13]
; %bb.1631:
	v_bfe_u32 v3, v2, 21, 1
	s_mov_b32 s16, 0x80fffff
	v_add3_u32 v3, v2, v3, s16
	v_lshrrev_b32_e32 v3, 21, v3
; %bb.1632:
	s_andn2_saveexec_b64 s[12:13], s[12:13]
; %bb.1633:
	s_mov_b32 s16, 0x43000000
	v_add_f32_e64 v3, |v2|, s16
; %bb.1634:
	s_or_b64 exec, exec, s[12:13]
                                        ; implicit-def: $vgpr25
.LBB6_1635:
	s_andn2_saveexec_b64 s[10:11], s[10:11]
; %bb.1636:
	s_mov_b32 s12, 0x7f800000
	v_mov_b32_e32 v3, 0x7c
	v_mov_b32_e32 v29, 0x7f
	v_cmp_lt_u32_e32 vcc, s12, v25
	v_cndmask_b32_e32 v3, v3, v29, vcc
; %bb.1637:
	s_or_b64 exec, exec, s[10:11]
	v_lshrrev_b32_e32 v2, 24, v2
	s_movk_i32 s10, 0x80
	v_and_or_b32 v2, v2, s10, v3
	global_store_byte v[10:11], v2, off
.LBB6_1638:
	s_mov_b64 s[10:11], 0
	s_mov_b64 s[12:13], -1
.LBB6_1639:
	s_andn2_b64 vcc, exec, s[10:11]
	s_mov_b64 s[10:11], 0
	s_cbranch_vccnz .LBB6_1646
; %bb.1640:
	s_cmp_gt_i32 s3, 14
	s_mov_b64 s[16:17], -1
	s_cbranch_scc0 .LBB6_1644
; %bb.1641:
	s_cmp_eq_u32 s3, 15
	s_mov_b64 s[0:1], -1
	s_cbranch_scc0 .LBB6_1643
; %bb.1642:
	v_cvt_f32_f64_e32 v2, v[0:1]
	s_movk_i32 s0, 0x7fff
	v_mov_b32_e32 v3, 0x7fc0
	s_mov_b64 s[12:13], -1
	v_bfe_u32 v25, v2, 16, 1
	v_cmp_o_f32_e32 vcc, v2, v2
	v_add3_u32 v2, v2, v25, s0
	v_cndmask_b32_sdwa v2, v3, v2, vcc dst_sel:DWORD dst_unused:UNUSED_PAD src0_sel:DWORD src1_sel:WORD_1
	global_store_short v[10:11], v2, off
	s_mov_b64 s[0:1], 0
.LBB6_1643:
	s_mov_b64 s[16:17], 0
.LBB6_1644:
	s_and_b64 vcc, exec, s[16:17]
	s_cbranch_vccz .LBB6_1646
; %bb.1645:
	s_cmp_lg_u32 s3, 11
	s_mov_b64 s[10:11], -1
	s_cselect_b64 s[0:1], -1, 0
.LBB6_1646:
	s_and_b64 vcc, exec, s[0:1]
	s_cbranch_vccnz .LBB6_2054
; %bb.1647:
	s_andn2_b64 vcc, exec, s[10:11]
	s_cbranch_vccnz .LBB6_1649
.LBB6_1648:
	v_cmp_neq_f64_e32 vcc, 0, v[0:1]
	s_mov_b64 s[12:13], -1
	v_cndmask_b32_e64 v2, 0, 1, vcc
	global_store_byte v[10:11], v2, off
.LBB6_1649:
	s_mov_b64 s[0:1], 0
	s_branch .LBB6_1651
.LBB6_1650:
	s_mov_b64 s[0:1], -1
	s_mov_b64 s[12:13], 0
.LBB6_1651:
	s_and_b64 vcc, exec, s[0:1]
	s_cbranch_vccz .LBB6_1690
; %bb.1652:
	s_and_b32 s3, 0xffff, s20
	s_cmp_lt_i32 s3, 5
	s_mov_b64 s[0:1], -1
	s_cbranch_scc1 .LBB6_1673
; %bb.1653:
	s_cmp_lt_i32 s3, 8
	s_cbranch_scc1 .LBB6_1663
; %bb.1654:
	s_cmp_lt_i32 s3, 9
	s_cbranch_scc1 .LBB6_1660
; %bb.1655:
	s_cmp_gt_i32 s3, 9
	s_cbranch_scc0 .LBB6_1657
; %bb.1656:
	v_mov_b32_e32 v2, 0
	v_mov_b32_e32 v3, v2
	global_store_dwordx4 v[10:11], v[0:3], off
	s_mov_b64 s[0:1], 0
.LBB6_1657:
	s_andn2_b64 vcc, exec, s[0:1]
	s_cbranch_vccnz .LBB6_1659
; %bb.1658:
	v_cvt_f32_f64_e32 v2, v[0:1]
	v_mov_b32_e32 v3, 0
	global_store_dwordx2 v[10:11], v[2:3], off
.LBB6_1659:
	s_mov_b64 s[0:1], 0
.LBB6_1660:
	s_andn2_b64 vcc, exec, s[0:1]
	s_cbranch_vccnz .LBB6_1662
; %bb.1661:
	s_movk_i32 s0, 0x1ff
	v_and_or_b32 v2, v1, s0, v0
	v_cmp_ne_u32_e32 vcc, 0, v2
	v_cndmask_b32_e64 v2, 0, 1, vcc
	v_lshrrev_b32_e32 v3, 8, v1
	s_movk_i32 s0, 0xffe
	v_bfe_u32 v25, v1, 20, 11
	v_and_or_b32 v2, v3, s0, v2
	v_sub_u32_e32 v29, 0x3f1, v25
	v_or_b32_e32 v3, 0x1000, v2
	v_med3_i32 v29, v29, 0, 13
	v_lshrrev_b32_e32 v30, v29, v3
	v_lshlrev_b32_e32 v29, v29, v30
	v_cmp_ne_u32_e32 vcc, v29, v3
	v_cndmask_b32_e64 v3, 0, 1, vcc
	v_add_u32_e32 v25, 0xfffffc10, v25
	v_or_b32_e32 v3, v30, v3
	v_lshl_or_b32 v29, v25, 12, v2
	v_cmp_gt_i32_e32 vcc, 1, v25
	v_cndmask_b32_e32 v3, v29, v3, vcc
	v_and_b32_e32 v29, 7, v3
	v_cmp_lt_i32_e32 vcc, 5, v29
	v_cndmask_b32_e64 v30, 0, 1, vcc
	v_cmp_eq_u32_e32 vcc, 3, v29
	v_cndmask_b32_e64 v29, 0, 1, vcc
	v_or_b32_e32 v29, v29, v30
	v_lshrrev_b32_e32 v3, 2, v3
	v_add_u32_e32 v3, v3, v29
	v_mov_b32_e32 v29, 0x7c00
	v_cmp_gt_i32_e32 vcc, 31, v25
	v_cndmask_b32_e32 v3, v29, v3, vcc
	v_mov_b32_e32 v30, 0x7e00
	v_cmp_ne_u32_e32 vcc, 0, v2
	s_movk_i32 s0, 0x40f
	v_cndmask_b32_e32 v2, v29, v30, vcc
	v_cmp_eq_u32_e32 vcc, s0, v25
	v_cndmask_b32_e32 v2, v3, v2, vcc
	v_lshrrev_b32_e32 v3, 16, v1
	s_mov_b32 s0, 0x8000
	v_and_or_b32 v2, v3, s0, v2
	v_and_b32_e32 v2, 0xffff, v2
	global_store_dword v[10:11], v2, off
.LBB6_1662:
	s_mov_b64 s[0:1], 0
.LBB6_1663:
	s_andn2_b64 vcc, exec, s[0:1]
	s_cbranch_vccnz .LBB6_1672
; %bb.1664:
	s_cmp_lt_i32 s3, 6
	s_mov_b64 s[0:1], -1
	s_cbranch_scc1 .LBB6_1670
; %bb.1665:
	s_cmp_gt_i32 s3, 6
	s_cbranch_scc0 .LBB6_1667
; %bb.1666:
	global_store_dwordx2 v[10:11], v[0:1], off
	s_mov_b64 s[0:1], 0
.LBB6_1667:
	s_andn2_b64 vcc, exec, s[0:1]
	s_cbranch_vccnz .LBB6_1669
; %bb.1668:
	v_cvt_f32_f64_e32 v2, v[0:1]
	global_store_dword v[10:11], v2, off
.LBB6_1669:
	s_mov_b64 s[0:1], 0
.LBB6_1670:
	s_andn2_b64 vcc, exec, s[0:1]
	s_cbranch_vccnz .LBB6_1672
; %bb.1671:
	s_movk_i32 s0, 0x1ff
	v_and_or_b32 v2, v1, s0, v0
	v_cmp_ne_u32_e32 vcc, 0, v2
	v_cndmask_b32_e64 v2, 0, 1, vcc
	v_lshrrev_b32_e32 v3, 8, v1
	s_movk_i32 s0, 0xffe
	v_bfe_u32 v25, v1, 20, 11
	v_and_or_b32 v2, v3, s0, v2
	v_sub_u32_e32 v29, 0x3f1, v25
	v_or_b32_e32 v3, 0x1000, v2
	v_med3_i32 v29, v29, 0, 13
	v_lshrrev_b32_e32 v30, v29, v3
	v_lshlrev_b32_e32 v29, v29, v30
	v_cmp_ne_u32_e32 vcc, v29, v3
	v_cndmask_b32_e64 v3, 0, 1, vcc
	v_add_u32_e32 v25, 0xfffffc10, v25
	v_or_b32_e32 v3, v30, v3
	v_lshl_or_b32 v29, v25, 12, v2
	v_cmp_gt_i32_e32 vcc, 1, v25
	v_cndmask_b32_e32 v3, v29, v3, vcc
	v_and_b32_e32 v29, 7, v3
	v_cmp_lt_i32_e32 vcc, 5, v29
	v_cndmask_b32_e64 v30, 0, 1, vcc
	v_cmp_eq_u32_e32 vcc, 3, v29
	v_cndmask_b32_e64 v29, 0, 1, vcc
	v_or_b32_e32 v29, v29, v30
	v_lshrrev_b32_e32 v3, 2, v3
	v_add_u32_e32 v3, v3, v29
	v_mov_b32_e32 v29, 0x7c00
	v_cmp_gt_i32_e32 vcc, 31, v25
	v_cndmask_b32_e32 v3, v29, v3, vcc
	v_mov_b32_e32 v30, 0x7e00
	v_cmp_ne_u32_e32 vcc, 0, v2
	s_movk_i32 s0, 0x40f
	v_cndmask_b32_e32 v2, v29, v30, vcc
	v_cmp_eq_u32_e32 vcc, s0, v25
	v_cndmask_b32_e32 v2, v3, v2, vcc
	v_lshrrev_b32_e32 v3, 16, v1
	s_mov_b32 s0, 0x8000
	v_and_or_b32 v2, v3, s0, v2
	global_store_short v[10:11], v2, off
.LBB6_1672:
	s_mov_b64 s[0:1], 0
.LBB6_1673:
	s_andn2_b64 vcc, exec, s[0:1]
	s_cbranch_vccnz .LBB6_1689
; %bb.1674:
	s_cmp_lt_i32 s3, 2
	s_mov_b64 s[0:1], -1
	s_cbranch_scc1 .LBB6_1684
; %bb.1675:
	s_cmp_lt_i32 s3, 3
	s_cbranch_scc1 .LBB6_1681
; %bb.1676:
	s_cmp_gt_i32 s3, 3
	s_cbranch_scc0 .LBB6_1678
; %bb.1677:
	v_trunc_f64_e32 v[2:3], v[0:1]
	s_movk_i32 s0, 0xffe0
	v_ldexp_f64 v[29:30], v[2:3], s0
	s_mov_b32 s0, 0
	s_mov_b32 s1, 0xc1f00000
	v_floor_f64_e32 v[29:30], v[29:30]
	v_fma_f64 v[2:3], v[29:30], s[0:1], v[2:3]
	v_cvt_i32_f64_e32 v30, v[29:30]
	s_mov_b64 s[0:1], 0
	v_cvt_u32_f64_e32 v29, v[2:3]
	global_store_dwordx2 v[10:11], v[29:30], off
.LBB6_1678:
	s_andn2_b64 vcc, exec, s[0:1]
	s_cbranch_vccnz .LBB6_1680
; %bb.1679:
	v_cvt_i32_f64_e32 v2, v[0:1]
	global_store_dword v[10:11], v2, off
.LBB6_1680:
	s_mov_b64 s[0:1], 0
.LBB6_1681:
	s_andn2_b64 vcc, exec, s[0:1]
	s_cbranch_vccnz .LBB6_1683
; %bb.1682:
	v_cvt_i32_f64_e32 v2, v[0:1]
	global_store_short v[10:11], v2, off
.LBB6_1683:
	s_mov_b64 s[0:1], 0
.LBB6_1684:
	s_andn2_b64 vcc, exec, s[0:1]
	s_cbranch_vccnz .LBB6_1689
; %bb.1685:
	s_cmp_gt_i32 s3, 0
	s_mov_b64 s[0:1], -1
	s_cbranch_scc0 .LBB6_1687
; %bb.1686:
	v_cvt_i32_f64_e32 v2, v[0:1]
	s_mov_b64 s[0:1], 0
	global_store_byte v[10:11], v2, off
.LBB6_1687:
	s_andn2_b64 vcc, exec, s[0:1]
	s_cbranch_vccnz .LBB6_1689
; %bb.1688:
	v_trunc_f64_e32 v[0:1], v[0:1]
	s_movk_i32 s0, 0xffe0
	v_ldexp_f64 v[2:3], v[0:1], s0
	s_mov_b32 s0, 0
	s_mov_b32 s1, 0xc1f00000
	v_floor_f64_e32 v[2:3], v[2:3]
	v_fma_f64 v[0:1], v[2:3], s[0:1], v[0:1]
	v_cvt_u32_f64_e32 v0, v[0:1]
	global_store_byte v[10:11], v0, off
.LBB6_1689:
	s_mov_b64 s[12:13], -1
.LBB6_1690:
	s_andn2_b64 vcc, exec, s[12:13]
	s_cbranch_vccnz .LBB6_2005
; %bb.1691:
	v_mul_f64 v[0:1], v[12:13], v[12:13]
	s_mov_b32 s0, 0xf9a43bb8
	v_mov_b32_e32 v10, 0xb42fdfa7
	v_mov_b32_e32 v11, 0xbe5ae600
	s_mov_b32 s1, 0x3de5e0b2
	s_mov_b32 s10, 0x796cde01
	v_mov_b32_e32 v2, 0x9037ab78
	v_mov_b32_e32 v3, 0x3e21eeb6
	v_fma_f64 v[10:11], v[0:1], s[0:1], v[10:11]
	s_mov_b32 s0, 0x46cc5e42
	s_mov_b32 s1, 0xbda907db
	;; [unrolled: 1-line block ×3, first 2 shown]
	v_fma_f64 v[2:3], v[0:1], s[0:1], v[2:3]
	v_mul_f64 v[29:30], v[0:1], 0.5
	s_mov_b32 s0, 0xa17f65f6
	s_mov_b32 s12, 0x19e83e5c
	v_fma_f64 v[10:11], v[0:1], v[10:11], s[10:11]
	s_mov_b32 s1, 0xbe927e4f
	s_mov_b32 s13, 0xbf2a01a0
	;; [unrolled: 1-line block ×3, first 2 shown]
	v_fma_f64 v[2:3], v[0:1], v[2:3], s[0:1]
	v_add_f64 v[31:32], -v[29:30], 1.0
	s_mov_b32 s0, 0x11110bb3
	s_mov_b32 s11, 0x3efa01a0
	v_fma_f64 v[10:11], v[0:1], v[10:11], s[12:13]
	s_mov_b32 s1, 0x3f811111
	v_mul_f64 v[33:34], v[14:15], 0.5
	v_mul_f64 v[35:36], v[12:13], -v[0:1]
	v_fma_f64 v[2:3], v[0:1], v[2:3], s[10:11]
	v_add_f64 v[37:38], -v[31:32], 1.0
	s_lshl_b32 s18, s2, 7
	s_cmp_lt_i32 s20, 11
	v_fma_f64 v[10:11], v[0:1], v[10:11], s[0:1]
	s_mov_b32 s0, 0x16c16967
	s_mov_b32 s1, 0xbf56c16c
	v_fma_f64 v[2:3], v[0:1], v[2:3], s[0:1]
	v_add_f64 v[29:30], v[37:38], -v[29:30]
	s_mov_b32 s1, 0x3fa55555
	s_mov_b32 s0, 0x55555555
	v_fma_f64 v[10:11], v[35:36], v[10:11], v[33:34]
	v_mul_f64 v[33:34], v[0:1], v[0:1]
	v_fma_f64 v[2:3], v[0:1], v[2:3], s[0:1]
	v_fma_f64 v[29:30], v[12:13], -v[14:15], v[29:30]
	s_mov_b32 s1, 0xbfc55555
	v_fma_f64 v[0:1], v[0:1], v[10:11], -v[14:15]
	v_and_b32_e32 v10, 1, v26
	v_lshlrev_b32_e32 v11, 30, v26
	v_xor_b32_e32 v11, v11, v5
	v_cmp_eq_u32_e32 vcc, 0, v10
	v_fma_f64 v[2:3], v[33:34], v[2:3], v[29:30]
	v_add_u32_e32 v10, s18, v24
	v_fma_f64 v[0:1], v[35:36], s[0:1], v[0:1]
	s_movk_i32 s0, 0x1f8
	v_cmp_class_f64_e64 s[0:1], v[4:5], s0
	v_ashrrev_i32_e32 v5, 31, v10
	v_add_f64 v[2:3], v[31:32], v[2:3]
	v_add_f64 v[0:1], v[12:13], -v[0:1]
	v_mov_b32_e32 v12, 0x7ff80000
	v_mov_b32_e32 v13, s9
	v_cndmask_b32_e32 v0, v2, v0, vcc
	v_and_b32_e32 v2, 0x80000000, v11
	v_cndmask_b32_e32 v1, v3, v1, vcc
	v_xor_b32_e32 v1, v1, v2
	v_add_co_u32_e32 v4, vcc, s8, v10
	v_cndmask_b32_e64 v0, 0, v0, s[0:1]
	v_cndmask_b32_e64 v1, v12, v1, s[0:1]
	v_addc_co_u32_e32 v5, vcc, v13, v5, vcc
	s_cbranch_scc1 .LBB6_1769
; %bb.1692:
	s_and_b32 s19, 0xffff, s20
	s_mov_b64 s[12:13], -1
	s_mov_b64 s[2:3], 0
	s_cmp_gt_i32 s19, 25
	s_mov_b64 s[10:11], 0
	s_mov_b64 s[0:1], 0
	s_cbranch_scc0 .LBB6_1725
; %bb.1693:
	s_cmp_gt_i32 s19, 28
	s_cbranch_scc0 .LBB6_1708
; %bb.1694:
	s_cmp_gt_i32 s19, 43
	;; [unrolled: 3-line block ×3, first 2 shown]
	s_cbranch_scc0 .LBB6_1698
; %bb.1696:
	s_mov_b64 s[0:1], -1
	s_mov_b64 s[12:13], 0
	s_cmp_eq_u32 s19, 46
	s_cbranch_scc0 .LBB6_1698
; %bb.1697:
	v_cvt_f32_f64_e32 v2, v[0:1]
	s_movk_i32 s0, 0x7fff
	v_mov_b32_e32 v3, 0x7fc0
	s_mov_b64 s[10:11], -1
	v_bfe_u32 v11, v2, 16, 1
	v_cmp_o_f32_e32 vcc, v2, v2
	v_add3_u32 v2, v2, v11, s0
	v_cndmask_b32_sdwa v2, v3, v2, vcc dst_sel:DWORD dst_unused:UNUSED_PAD src0_sel:DWORD src1_sel:WORD_1
	global_store_dword v[4:5], v2, off
	s_mov_b64 s[0:1], 0
.LBB6_1698:
	s_and_b64 vcc, exec, s[12:13]
	s_cbranch_vccz .LBB6_1703
; %bb.1699:
	s_cmp_eq_u32 s19, 44
	s_mov_b64 s[0:1], -1
	s_cbranch_scc0 .LBB6_1703
; %bb.1700:
	v_cvt_f32_f64_e32 v2, v[0:1]
	s_movk_i32 s0, 0xff
	v_mov_b32_e32 v11, 0xff
	v_bfe_u32 v3, v2, 23, 8
	v_cmp_ne_u32_e32 vcc, s0, v3
	s_and_saveexec_b64 s[10:11], vcc
; %bb.1701:
	s_mov_b32 s0, 0x3fffff
	v_lshrrev_b32_e32 v11, 23, v2
	v_and_b32_e32 v12, 0x400000, v2
	v_and_or_b32 v2, v2, s0, v3
	v_cmp_ne_u32_e32 vcc, 0, v12
	v_cmp_ne_u32_e64 s[0:1], 0, v2
	s_and_b64 s[0:1], vcc, s[0:1]
	v_cndmask_b32_e64 v2, 0, 1, s[0:1]
	v_add_u32_e32 v11, v11, v2
; %bb.1702:
	s_or_b64 exec, exec, s[10:11]
	s_mov_b64 s[0:1], 0
	s_mov_b64 s[10:11], -1
	global_store_byte v[4:5], v11, off
.LBB6_1703:
	s_mov_b64 s[12:13], 0
.LBB6_1704:
	s_and_b64 vcc, exec, s[12:13]
	s_cbranch_vccz .LBB6_1707
; %bb.1705:
	s_cmp_eq_u32 s19, 29
	s_mov_b64 s[0:1], -1
	s_cbranch_scc0 .LBB6_1707
; %bb.1706:
	v_trunc_f64_e32 v[2:3], v[0:1]
	s_movk_i32 s0, 0xffe0
	s_mov_b64 s[10:11], -1
	v_ldexp_f64 v[11:12], v[2:3], s0
	s_mov_b32 s0, 0
	s_mov_b32 s1, 0xc1f00000
	v_floor_f64_e32 v[11:12], v[11:12]
	v_fma_f64 v[2:3], v[11:12], s[0:1], v[2:3]
	v_cvt_u32_f64_e32 v12, v[11:12]
	s_mov_b64 s[0:1], 0
	v_cvt_u32_f64_e32 v11, v[2:3]
	global_store_dwordx2 v[4:5], v[11:12], off
.LBB6_1707:
	s_mov_b64 s[12:13], 0
.LBB6_1708:
	s_and_b64 vcc, exec, s[12:13]
	s_cbranch_vccz .LBB6_1724
; %bb.1709:
	s_cmp_lt_i32 s19, 27
	s_mov_b64 s[10:11], -1
	s_cbranch_scc1 .LBB6_1715
; %bb.1710:
	v_cvt_u32_f64_e32 v2, v[0:1]
	s_cmp_gt_i32 s19, 27
	s_cbranch_scc0 .LBB6_1712
; %bb.1711:
	s_mov_b64 s[10:11], 0
	global_store_dword v[4:5], v2, off
.LBB6_1712:
	s_andn2_b64 vcc, exec, s[10:11]
	s_cbranch_vccnz .LBB6_1714
; %bb.1713:
	global_store_short v[4:5], v2, off
.LBB6_1714:
	s_mov_b64 s[10:11], 0
.LBB6_1715:
	s_andn2_b64 vcc, exec, s[10:11]
	s_cbranch_vccnz .LBB6_1723
; %bb.1716:
	v_cvt_f32_f64_e32 v2, v[0:1]
	s_mov_b32 s10, 0x43800000
	v_mov_b32_e32 v11, 0x80
	v_and_b32_e32 v3, 0x7fffffff, v2
	v_cmp_gt_u32_e32 vcc, s10, v3
	s_and_saveexec_b64 s[10:11], vcc
	s_cbranch_execz .LBB6_1722
; %bb.1717:
	s_mov_b32 s12, 0x3bffffff
	v_cmp_lt_u32_e32 vcc, s12, v3
	s_mov_b64 s[12:13], 0
                                        ; implicit-def: $vgpr3
	s_and_saveexec_b64 s[16:17], vcc
	s_xor_b64 s[16:17], exec, s[16:17]
	s_cbranch_execz .LBB6_2057
; %bb.1718:
	v_bfe_u32 v3, v2, 20, 1
	s_mov_b32 s21, 0x487ffff
	v_add3_u32 v3, v2, v3, s21
	s_mov_b64 s[12:13], exec
	v_lshrrev_b32_e32 v3, 20, v3
	s_andn2_saveexec_b64 s[16:17], s[16:17]
	s_cbranch_execnz .LBB6_2058
.LBB6_1719:
	s_or_b64 exec, exec, s[16:17]
	v_mov_b32_e32 v11, 0
	s_and_saveexec_b64 s[16:17], s[12:13]
.LBB6_1720:
	v_lshrrev_b32_e32 v2, 24, v2
	s_movk_i32 s12, 0x80
	v_and_or_b32 v11, v2, s12, v3
.LBB6_1721:
	s_or_b64 exec, exec, s[16:17]
.LBB6_1722:
	s_or_b64 exec, exec, s[10:11]
	global_store_byte v[4:5], v11, off
.LBB6_1723:
	s_mov_b64 s[10:11], -1
.LBB6_1724:
	s_mov_b64 s[12:13], 0
.LBB6_1725:
	s_and_b64 vcc, exec, s[12:13]
	s_cbranch_vccz .LBB6_1765
; %bb.1726:
	s_cmp_gt_i32 s19, 22
	s_mov_b64 s[2:3], -1
	s_cbranch_scc0 .LBB6_1758
; %bb.1727:
	s_cmp_lt_i32 s19, 24
	s_cbranch_scc1 .LBB6_1747
; %bb.1728:
	s_cmp_gt_i32 s19, 24
	s_cbranch_scc0 .LBB6_1736
; %bb.1729:
	v_cvt_f32_f64_e32 v2, v[0:1]
	s_mov_b32 s2, 0x47800000
	v_mov_b32_e32 v11, 0x80
	v_and_b32_e32 v3, 0x7fffffff, v2
	v_cmp_gt_u32_e32 vcc, s2, v3
	s_and_saveexec_b64 s[2:3], vcc
	s_cbranch_execz .LBB6_1735
; %bb.1730:
	s_mov_b32 s10, 0x37ffffff
	v_cmp_lt_u32_e32 vcc, s10, v3
	s_mov_b64 s[10:11], 0
                                        ; implicit-def: $vgpr3
	s_and_saveexec_b64 s[12:13], vcc
	s_xor_b64 s[12:13], exec, s[12:13]
	s_cbranch_execz .LBB6_2060
; %bb.1731:
	v_bfe_u32 v3, v2, 21, 1
	s_mov_b32 s16, 0x88fffff
	v_add3_u32 v3, v2, v3, s16
	s_mov_b64 s[10:11], exec
	v_lshrrev_b32_e32 v3, 21, v3
	s_andn2_saveexec_b64 s[12:13], s[12:13]
	s_cbranch_execnz .LBB6_2061
.LBB6_1732:
	s_or_b64 exec, exec, s[12:13]
	v_mov_b32_e32 v11, 0
	s_and_saveexec_b64 s[12:13], s[10:11]
.LBB6_1733:
	v_lshrrev_b32_e32 v2, 24, v2
	s_movk_i32 s10, 0x80
	v_and_or_b32 v11, v2, s10, v3
.LBB6_1734:
	s_or_b64 exec, exec, s[12:13]
.LBB6_1735:
	s_or_b64 exec, exec, s[2:3]
	s_mov_b64 s[2:3], 0
	global_store_byte v[4:5], v11, off
.LBB6_1736:
	s_and_b64 vcc, exec, s[2:3]
	s_cbranch_vccz .LBB6_1746
; %bb.1737:
	v_cvt_f32_f64_e32 v2, v[0:1]
	s_mov_b32 s2, 0x43f00000
                                        ; implicit-def: $vgpr3
	v_and_b32_e32 v11, 0x7fffffff, v2
	v_cmp_gt_u32_e32 vcc, s2, v11
	s_and_saveexec_b64 s[2:3], vcc
	s_xor_b64 s[2:3], exec, s[2:3]
	s_cbranch_execz .LBB6_1743
; %bb.1738:
	s_mov_b32 s10, 0x3c7fffff
	v_cmp_lt_u32_e32 vcc, s10, v11
                                        ; implicit-def: $vgpr3
	s_and_saveexec_b64 s[10:11], vcc
	s_xor_b64 s[10:11], exec, s[10:11]
; %bb.1739:
	v_bfe_u32 v3, v2, 20, 1
	s_mov_b32 s12, 0x407ffff
	v_add3_u32 v3, v2, v3, s12
	v_lshrrev_b32_e32 v11, 20, v3
	v_and_b32_e32 v3, 0xff00000, v3
	s_mov_b32 s12, 0x7f00000
	v_mov_b32_e32 v12, 0x7e
	v_cmp_ne_u32_e32 vcc, s12, v3
	v_cndmask_b32_e32 v3, v12, v11, vcc
; %bb.1740:
	s_andn2_saveexec_b64 s[10:11], s[10:11]
; %bb.1741:
	s_mov_b32 s12, 0x46800000
	v_add_f32_e64 v3, |v2|, s12
; %bb.1742:
	s_or_b64 exec, exec, s[10:11]
                                        ; implicit-def: $vgpr11
.LBB6_1743:
	s_andn2_saveexec_b64 s[2:3], s[2:3]
; %bb.1744:
	s_mov_b32 s10, 0x7f800000
	v_mov_b32_e32 v3, 0x7e
	v_mov_b32_e32 v12, 0x7f
	v_cmp_lt_u32_e32 vcc, s10, v11
	v_cndmask_b32_e32 v3, v3, v12, vcc
; %bb.1745:
	s_or_b64 exec, exec, s[2:3]
	v_lshrrev_b32_e32 v2, 24, v2
	s_movk_i32 s2, 0x80
	v_and_or_b32 v2, v2, s2, v3
	global_store_byte v[4:5], v2, off
.LBB6_1746:
	s_mov_b64 s[2:3], 0
.LBB6_1747:
	s_andn2_b64 vcc, exec, s[2:3]
	s_cbranch_vccnz .LBB6_1757
; %bb.1748:
	v_cvt_f32_f64_e32 v2, v[0:1]
	s_mov_b32 s2, 0x47800000
                                        ; implicit-def: $vgpr3
	v_and_b32_e32 v11, 0x7fffffff, v2
	v_cmp_gt_u32_e32 vcc, s2, v11
	s_and_saveexec_b64 s[2:3], vcc
	s_xor_b64 s[2:3], exec, s[2:3]
	s_cbranch_execz .LBB6_1754
; %bb.1749:
	s_mov_b32 s10, 0x387fffff
	v_cmp_lt_u32_e32 vcc, s10, v11
                                        ; implicit-def: $vgpr3
	s_and_saveexec_b64 s[10:11], vcc
	s_xor_b64 s[10:11], exec, s[10:11]
; %bb.1750:
	v_bfe_u32 v3, v2, 21, 1
	s_mov_b32 s12, 0x80fffff
	v_add3_u32 v3, v2, v3, s12
	v_lshrrev_b32_e32 v3, 21, v3
; %bb.1751:
	s_andn2_saveexec_b64 s[10:11], s[10:11]
; %bb.1752:
	s_mov_b32 s12, 0x43000000
	v_add_f32_e64 v3, |v2|, s12
; %bb.1753:
	s_or_b64 exec, exec, s[10:11]
                                        ; implicit-def: $vgpr11
.LBB6_1754:
	s_andn2_saveexec_b64 s[2:3], s[2:3]
; %bb.1755:
	s_mov_b32 s10, 0x7f800000
	v_mov_b32_e32 v3, 0x7c
	v_mov_b32_e32 v12, 0x7f
	v_cmp_lt_u32_e32 vcc, s10, v11
	v_cndmask_b32_e32 v3, v3, v12, vcc
; %bb.1756:
	s_or_b64 exec, exec, s[2:3]
	v_lshrrev_b32_e32 v2, 24, v2
	s_movk_i32 s2, 0x80
	v_and_or_b32 v2, v2, s2, v3
	global_store_byte v[4:5], v2, off
.LBB6_1757:
	s_mov_b64 s[2:3], 0
	s_mov_b64 s[10:11], -1
.LBB6_1758:
	s_andn2_b64 vcc, exec, s[2:3]
	s_mov_b64 s[2:3], 0
	s_cbranch_vccnz .LBB6_1765
; %bb.1759:
	s_cmp_gt_i32 s19, 14
	s_mov_b64 s[12:13], -1
	s_cbranch_scc0 .LBB6_1763
; %bb.1760:
	s_cmp_eq_u32 s19, 15
	s_mov_b64 s[0:1], -1
	s_cbranch_scc0 .LBB6_1762
; %bb.1761:
	v_cvt_f32_f64_e32 v2, v[0:1]
	s_movk_i32 s0, 0x7fff
	v_mov_b32_e32 v3, 0x7fc0
	s_mov_b64 s[10:11], -1
	v_bfe_u32 v11, v2, 16, 1
	v_cmp_o_f32_e32 vcc, v2, v2
	v_add3_u32 v2, v2, v11, s0
	v_cndmask_b32_sdwa v2, v3, v2, vcc dst_sel:DWORD dst_unused:UNUSED_PAD src0_sel:DWORD src1_sel:WORD_1
	global_store_short v[4:5], v2, off
	s_mov_b64 s[0:1], 0
.LBB6_1762:
	s_mov_b64 s[12:13], 0
.LBB6_1763:
	s_and_b64 vcc, exec, s[12:13]
	s_cbranch_vccz .LBB6_1765
; %bb.1764:
	s_cmp_lg_u32 s19, 11
	s_mov_b64 s[2:3], -1
	s_cselect_b64 s[0:1], -1, 0
.LBB6_1765:
	s_and_b64 vcc, exec, s[0:1]
	s_cbranch_vccnz .LBB6_2059
; %bb.1766:
	s_andn2_b64 vcc, exec, s[2:3]
	s_cbranch_vccnz .LBB6_1768
.LBB6_1767:
	v_cmp_neq_f64_e32 vcc, 0, v[0:1]
	s_mov_b64 s[10:11], -1
	v_cndmask_b32_e64 v2, 0, 1, vcc
	global_store_byte v[4:5], v2, off
.LBB6_1768:
	s_mov_b64 s[0:1], 0
	s_branch .LBB6_1770
.LBB6_1769:
	s_mov_b64 s[0:1], -1
	s_mov_b64 s[10:11], 0
.LBB6_1770:
	s_and_b64 vcc, exec, s[0:1]
	s_cbranch_vccz .LBB6_1809
; %bb.1771:
	s_and_b32 s2, 0xffff, s20
	s_cmp_lt_i32 s2, 5
	s_mov_b64 s[0:1], -1
	s_cbranch_scc1 .LBB6_1792
; %bb.1772:
	s_cmp_lt_i32 s2, 8
	s_cbranch_scc1 .LBB6_1782
; %bb.1773:
	s_cmp_lt_i32 s2, 9
	s_cbranch_scc1 .LBB6_1779
; %bb.1774:
	s_cmp_gt_i32 s2, 9
	s_cbranch_scc0 .LBB6_1776
; %bb.1775:
	v_mov_b32_e32 v2, 0
	v_mov_b32_e32 v3, v2
	global_store_dwordx4 v[4:5], v[0:3], off
	s_mov_b64 s[0:1], 0
.LBB6_1776:
	s_andn2_b64 vcc, exec, s[0:1]
	s_cbranch_vccnz .LBB6_1778
; %bb.1777:
	v_cvt_f32_f64_e32 v2, v[0:1]
	v_mov_b32_e32 v3, 0
	global_store_dwordx2 v[4:5], v[2:3], off
.LBB6_1778:
	s_mov_b64 s[0:1], 0
.LBB6_1779:
	s_andn2_b64 vcc, exec, s[0:1]
	s_cbranch_vccnz .LBB6_1781
; %bb.1780:
	s_movk_i32 s0, 0x1ff
	v_and_or_b32 v2, v1, s0, v0
	v_cmp_ne_u32_e32 vcc, 0, v2
	v_cndmask_b32_e64 v2, 0, 1, vcc
	v_lshrrev_b32_e32 v3, 8, v1
	s_movk_i32 s0, 0xffe
	v_bfe_u32 v11, v1, 20, 11
	v_and_or_b32 v2, v3, s0, v2
	v_sub_u32_e32 v12, 0x3f1, v11
	v_or_b32_e32 v3, 0x1000, v2
	v_med3_i32 v12, v12, 0, 13
	v_lshrrev_b32_e32 v13, v12, v3
	v_lshlrev_b32_e32 v12, v12, v13
	v_cmp_ne_u32_e32 vcc, v12, v3
	v_cndmask_b32_e64 v3, 0, 1, vcc
	v_add_u32_e32 v11, 0xfffffc10, v11
	v_or_b32_e32 v3, v13, v3
	v_lshl_or_b32 v12, v11, 12, v2
	v_cmp_gt_i32_e32 vcc, 1, v11
	v_cndmask_b32_e32 v3, v12, v3, vcc
	v_and_b32_e32 v12, 7, v3
	v_cmp_lt_i32_e32 vcc, 5, v12
	v_cndmask_b32_e64 v13, 0, 1, vcc
	v_cmp_eq_u32_e32 vcc, 3, v12
	v_cndmask_b32_e64 v12, 0, 1, vcc
	v_or_b32_e32 v12, v12, v13
	v_lshrrev_b32_e32 v3, 2, v3
	v_add_u32_e32 v3, v3, v12
	v_mov_b32_e32 v12, 0x7c00
	v_cmp_gt_i32_e32 vcc, 31, v11
	v_cndmask_b32_e32 v3, v12, v3, vcc
	v_mov_b32_e32 v13, 0x7e00
	v_cmp_ne_u32_e32 vcc, 0, v2
	s_movk_i32 s0, 0x40f
	v_cndmask_b32_e32 v2, v12, v13, vcc
	v_cmp_eq_u32_e32 vcc, s0, v11
	v_cndmask_b32_e32 v2, v3, v2, vcc
	v_lshrrev_b32_e32 v3, 16, v1
	s_mov_b32 s0, 0x8000
	v_and_or_b32 v2, v3, s0, v2
	v_and_b32_e32 v2, 0xffff, v2
	global_store_dword v[4:5], v2, off
.LBB6_1781:
	s_mov_b64 s[0:1], 0
.LBB6_1782:
	s_andn2_b64 vcc, exec, s[0:1]
	s_cbranch_vccnz .LBB6_1791
; %bb.1783:
	s_cmp_lt_i32 s2, 6
	s_mov_b64 s[0:1], -1
	s_cbranch_scc1 .LBB6_1789
; %bb.1784:
	s_cmp_gt_i32 s2, 6
	s_cbranch_scc0 .LBB6_1786
; %bb.1785:
	global_store_dwordx2 v[4:5], v[0:1], off
	s_mov_b64 s[0:1], 0
.LBB6_1786:
	s_andn2_b64 vcc, exec, s[0:1]
	s_cbranch_vccnz .LBB6_1788
; %bb.1787:
	v_cvt_f32_f64_e32 v2, v[0:1]
	global_store_dword v[4:5], v2, off
.LBB6_1788:
	s_mov_b64 s[0:1], 0
.LBB6_1789:
	s_andn2_b64 vcc, exec, s[0:1]
	s_cbranch_vccnz .LBB6_1791
; %bb.1790:
	s_movk_i32 s0, 0x1ff
	v_and_or_b32 v2, v1, s0, v0
	v_cmp_ne_u32_e32 vcc, 0, v2
	v_cndmask_b32_e64 v2, 0, 1, vcc
	v_lshrrev_b32_e32 v3, 8, v1
	s_movk_i32 s0, 0xffe
	v_bfe_u32 v11, v1, 20, 11
	v_and_or_b32 v2, v3, s0, v2
	v_sub_u32_e32 v12, 0x3f1, v11
	v_or_b32_e32 v3, 0x1000, v2
	v_med3_i32 v12, v12, 0, 13
	v_lshrrev_b32_e32 v13, v12, v3
	v_lshlrev_b32_e32 v12, v12, v13
	v_cmp_ne_u32_e32 vcc, v12, v3
	v_cndmask_b32_e64 v3, 0, 1, vcc
	v_add_u32_e32 v11, 0xfffffc10, v11
	v_or_b32_e32 v3, v13, v3
	v_lshl_or_b32 v12, v11, 12, v2
	v_cmp_gt_i32_e32 vcc, 1, v11
	v_cndmask_b32_e32 v3, v12, v3, vcc
	v_and_b32_e32 v12, 7, v3
	v_cmp_lt_i32_e32 vcc, 5, v12
	v_cndmask_b32_e64 v13, 0, 1, vcc
	v_cmp_eq_u32_e32 vcc, 3, v12
	v_cndmask_b32_e64 v12, 0, 1, vcc
	v_or_b32_e32 v12, v12, v13
	v_lshrrev_b32_e32 v3, 2, v3
	v_add_u32_e32 v3, v3, v12
	v_mov_b32_e32 v12, 0x7c00
	v_cmp_gt_i32_e32 vcc, 31, v11
	v_cndmask_b32_e32 v3, v12, v3, vcc
	v_mov_b32_e32 v13, 0x7e00
	v_cmp_ne_u32_e32 vcc, 0, v2
	s_movk_i32 s0, 0x40f
	v_cndmask_b32_e32 v2, v12, v13, vcc
	v_cmp_eq_u32_e32 vcc, s0, v11
	v_cndmask_b32_e32 v2, v3, v2, vcc
	v_lshrrev_b32_e32 v3, 16, v1
	s_mov_b32 s0, 0x8000
	v_and_or_b32 v2, v3, s0, v2
	global_store_short v[4:5], v2, off
.LBB6_1791:
	s_mov_b64 s[0:1], 0
.LBB6_1792:
	s_andn2_b64 vcc, exec, s[0:1]
	s_cbranch_vccnz .LBB6_1808
; %bb.1793:
	s_cmp_lt_i32 s2, 2
	s_mov_b64 s[0:1], -1
	s_cbranch_scc1 .LBB6_1803
; %bb.1794:
	s_cmp_lt_i32 s2, 3
	s_cbranch_scc1 .LBB6_1800
; %bb.1795:
	s_cmp_gt_i32 s2, 3
	s_cbranch_scc0 .LBB6_1797
; %bb.1796:
	v_trunc_f64_e32 v[2:3], v[0:1]
	s_movk_i32 s0, 0xffe0
	v_ldexp_f64 v[11:12], v[2:3], s0
	s_mov_b32 s0, 0
	s_mov_b32 s1, 0xc1f00000
	v_floor_f64_e32 v[11:12], v[11:12]
	v_fma_f64 v[2:3], v[11:12], s[0:1], v[2:3]
	v_cvt_i32_f64_e32 v12, v[11:12]
	s_mov_b64 s[0:1], 0
	v_cvt_u32_f64_e32 v11, v[2:3]
	global_store_dwordx2 v[4:5], v[11:12], off
.LBB6_1797:
	s_andn2_b64 vcc, exec, s[0:1]
	s_cbranch_vccnz .LBB6_1799
; %bb.1798:
	v_cvt_i32_f64_e32 v2, v[0:1]
	global_store_dword v[4:5], v2, off
.LBB6_1799:
	s_mov_b64 s[0:1], 0
.LBB6_1800:
	s_andn2_b64 vcc, exec, s[0:1]
	s_cbranch_vccnz .LBB6_1802
; %bb.1801:
	v_cvt_i32_f64_e32 v2, v[0:1]
	global_store_short v[4:5], v2, off
.LBB6_1802:
	s_mov_b64 s[0:1], 0
.LBB6_1803:
	s_andn2_b64 vcc, exec, s[0:1]
	s_cbranch_vccnz .LBB6_1808
; %bb.1804:
	s_cmp_gt_i32 s2, 0
	s_mov_b64 s[0:1], -1
	s_cbranch_scc0 .LBB6_1806
; %bb.1805:
	v_cvt_i32_f64_e32 v2, v[0:1]
	s_mov_b64 s[0:1], 0
	global_store_byte v[4:5], v2, off
.LBB6_1806:
	s_andn2_b64 vcc, exec, s[0:1]
	s_cbranch_vccnz .LBB6_1808
; %bb.1807:
	v_trunc_f64_e32 v[0:1], v[0:1]
	s_movk_i32 s0, 0xffe0
	v_ldexp_f64 v[2:3], v[0:1], s0
	s_mov_b32 s0, 0
	s_mov_b32 s1, 0xc1f00000
	v_floor_f64_e32 v[2:3], v[2:3]
	v_fma_f64 v[0:1], v[2:3], s[0:1], v[0:1]
	v_cvt_u32_f64_e32 v0, v[0:1]
	global_store_byte v[4:5], v0, off
.LBB6_1808:
	s_mov_b64 s[10:11], -1
.LBB6_1809:
	s_andn2_b64 vcc, exec, s[10:11]
	s_cbranch_vccnz .LBB6_2005
; %bb.1810:
	v_mul_f64 v[0:1], v[16:17], v[16:17]
	s_mov_b32 s0, 0xf9a43bb8
	v_mov_b32_e32 v3, 0xb42fdfa7
	v_mov_b32_e32 v4, 0xbe5ae600
	s_mov_b32 s1, 0x3de5e0b2
	s_mov_b32 s2, 0x796cde01
	v_mov_b32_e32 v2, 0x9037ab78
	s_mov_b32 s3, 0x3ec71de3
	v_fma_f64 v[4:5], v[0:1], s[0:1], v[3:4]
	s_mov_b32 s0, 0x46cc5e42
	v_mov_b32_e32 v3, 0x3e21eeb6
	s_mov_b32 s1, 0xbda907db
	v_fma_f64 v[2:3], v[0:1], s[0:1], v[2:3]
	v_mul_f64 v[11:12], v[0:1], 0.5
	s_mov_b32 s0, 0xa17f65f6
	s_mov_b32 s10, 0x19e83e5c
	v_fma_f64 v[4:5], v[0:1], v[4:5], s[2:3]
	s_mov_b32 s1, 0xbe927e4f
	s_mov_b32 s11, 0xbf2a01a0
	;; [unrolled: 1-line block ×3, first 2 shown]
	v_fma_f64 v[2:3], v[0:1], v[2:3], s[0:1]
	v_add_f64 v[13:14], -v[11:12], 1.0
	s_mov_b32 s0, 0x11110bb3
	s_mov_b32 s3, 0x3efa01a0
	v_fma_f64 v[4:5], v[0:1], v[4:5], s[10:11]
	s_mov_b32 s1, 0x3f811111
	v_mul_f64 v[24:25], v[18:19], 0.5
	v_mul_f64 v[29:30], v[16:17], -v[0:1]
	v_fma_f64 v[2:3], v[0:1], v[2:3], s[2:3]
	v_add_f64 v[31:32], -v[13:14], 1.0
	v_add_u32_e32 v10, s18, v10
	s_cmp_lt_i32 s20, 11
	v_fma_f64 v[4:5], v[0:1], v[4:5], s[0:1]
	s_mov_b32 s0, 0x16c16967
	s_mov_b32 s1, 0xbf56c16c
	v_fma_f64 v[2:3], v[0:1], v[2:3], s[0:1]
	v_add_f64 v[11:12], v[31:32], -v[11:12]
	s_mov_b32 s1, 0x3fa55555
	s_mov_b32 s0, 0x55555555
	v_fma_f64 v[4:5], v[29:30], v[4:5], v[24:25]
	v_mul_f64 v[24:25], v[0:1], v[0:1]
	v_fma_f64 v[2:3], v[0:1], v[2:3], s[0:1]
	v_fma_f64 v[11:12], v[16:17], -v[18:19], v[11:12]
	s_mov_b32 s1, 0xbfc55555
	v_fma_f64 v[0:1], v[0:1], v[4:5], -v[18:19]
	v_and_b32_e32 v4, 1, v27
	v_lshlrev_b32_e32 v5, 30, v27
	v_cmp_eq_u32_e32 vcc, 0, v4
	v_fma_f64 v[2:3], v[24:25], v[2:3], v[11:12]
	v_mov_b32_e32 v11, 0x7ff80000
	v_mov_b32_e32 v12, s9
	v_fma_f64 v[0:1], v[29:30], s[0:1], v[0:1]
	s_movk_i32 s0, 0x1f8
	v_cmp_class_f64_e64 s[0:1], v[6:7], s0
	v_add_f64 v[2:3], v[13:14], v[2:3]
	v_add_f64 v[0:1], v[16:17], -v[0:1]
	v_cndmask_b32_e32 v0, v2, v0, vcc
	v_xor_b32_e32 v2, v5, v7
	v_and_b32_e32 v2, 0x80000000, v2
	v_cndmask_b32_e32 v1, v3, v1, vcc
	v_ashrrev_i32_e32 v5, 31, v10
	v_xor_b32_e32 v1, v1, v2
	v_add_co_u32_e32 v4, vcc, s8, v10
	v_cndmask_b32_e64 v0, 0, v0, s[0:1]
	v_cndmask_b32_e64 v1, v11, v1, s[0:1]
	v_addc_co_u32_e32 v5, vcc, v12, v5, vcc
	s_cbranch_scc1 .LBB6_1888
; %bb.1811:
	s_and_b32 s19, 0xffff, s20
	s_mov_b64 s[12:13], -1
	s_mov_b64 s[2:3], 0
	s_cmp_gt_i32 s19, 25
	s_mov_b64 s[10:11], 0
	s_mov_b64 s[0:1], 0
	s_cbranch_scc0 .LBB6_1844
; %bb.1812:
	s_cmp_gt_i32 s19, 28
	s_cbranch_scc0 .LBB6_1827
; %bb.1813:
	s_cmp_gt_i32 s19, 43
	;; [unrolled: 3-line block ×3, first 2 shown]
	s_cbranch_scc0 .LBB6_1817
; %bb.1815:
	s_mov_b64 s[0:1], -1
	s_mov_b64 s[12:13], 0
	s_cmp_eq_u32 s19, 46
	s_cbranch_scc0 .LBB6_1817
; %bb.1816:
	v_cvt_f32_f64_e32 v2, v[0:1]
	s_movk_i32 s0, 0x7fff
	v_mov_b32_e32 v3, 0x7fc0
	s_mov_b64 s[10:11], -1
	v_bfe_u32 v6, v2, 16, 1
	v_cmp_o_f32_e32 vcc, v2, v2
	v_add3_u32 v2, v2, v6, s0
	v_cndmask_b32_sdwa v2, v3, v2, vcc dst_sel:DWORD dst_unused:UNUSED_PAD src0_sel:DWORD src1_sel:WORD_1
	global_store_dword v[4:5], v2, off
	s_mov_b64 s[0:1], 0
.LBB6_1817:
	s_and_b64 vcc, exec, s[12:13]
	s_cbranch_vccz .LBB6_1822
; %bb.1818:
	s_cmp_eq_u32 s19, 44
	s_mov_b64 s[0:1], -1
	s_cbranch_scc0 .LBB6_1822
; %bb.1819:
	v_cvt_f32_f64_e32 v2, v[0:1]
	s_movk_i32 s0, 0xff
	v_mov_b32_e32 v6, 0xff
	v_bfe_u32 v3, v2, 23, 8
	v_cmp_ne_u32_e32 vcc, s0, v3
	s_and_saveexec_b64 s[10:11], vcc
; %bb.1820:
	s_mov_b32 s0, 0x3fffff
	v_lshrrev_b32_e32 v6, 23, v2
	v_and_b32_e32 v7, 0x400000, v2
	v_and_or_b32 v2, v2, s0, v3
	v_cmp_ne_u32_e32 vcc, 0, v7
	v_cmp_ne_u32_e64 s[0:1], 0, v2
	s_and_b64 s[0:1], vcc, s[0:1]
	v_cndmask_b32_e64 v2, 0, 1, s[0:1]
	v_add_u32_e32 v6, v6, v2
; %bb.1821:
	s_or_b64 exec, exec, s[10:11]
	s_mov_b64 s[0:1], 0
	s_mov_b64 s[10:11], -1
	global_store_byte v[4:5], v6, off
.LBB6_1822:
	s_mov_b64 s[12:13], 0
.LBB6_1823:
	s_and_b64 vcc, exec, s[12:13]
	s_cbranch_vccz .LBB6_1826
; %bb.1824:
	s_cmp_eq_u32 s19, 29
	s_mov_b64 s[0:1], -1
	s_cbranch_scc0 .LBB6_1826
; %bb.1825:
	v_trunc_f64_e32 v[2:3], v[0:1]
	s_movk_i32 s0, 0xffe0
	s_mov_b64 s[10:11], -1
	v_ldexp_f64 v[6:7], v[2:3], s0
	s_mov_b32 s0, 0
	s_mov_b32 s1, 0xc1f00000
	v_floor_f64_e32 v[6:7], v[6:7]
	v_fma_f64 v[2:3], v[6:7], s[0:1], v[2:3]
	v_cvt_u32_f64_e32 v7, v[6:7]
	s_mov_b64 s[0:1], 0
	v_cvt_u32_f64_e32 v6, v[2:3]
	global_store_dwordx2 v[4:5], v[6:7], off
.LBB6_1826:
	s_mov_b64 s[12:13], 0
.LBB6_1827:
	s_and_b64 vcc, exec, s[12:13]
	s_cbranch_vccz .LBB6_1843
; %bb.1828:
	s_cmp_lt_i32 s19, 27
	s_mov_b64 s[10:11], -1
	s_cbranch_scc1 .LBB6_1834
; %bb.1829:
	v_cvt_u32_f64_e32 v2, v[0:1]
	s_cmp_gt_i32 s19, 27
	s_cbranch_scc0 .LBB6_1831
; %bb.1830:
	s_mov_b64 s[10:11], 0
	global_store_dword v[4:5], v2, off
.LBB6_1831:
	s_andn2_b64 vcc, exec, s[10:11]
	s_cbranch_vccnz .LBB6_1833
; %bb.1832:
	global_store_short v[4:5], v2, off
.LBB6_1833:
	s_mov_b64 s[10:11], 0
.LBB6_1834:
	s_andn2_b64 vcc, exec, s[10:11]
	s_cbranch_vccnz .LBB6_1842
; %bb.1835:
	v_cvt_f32_f64_e32 v2, v[0:1]
	s_mov_b32 s10, 0x43800000
	v_mov_b32_e32 v6, 0x80
	v_and_b32_e32 v3, 0x7fffffff, v2
	v_cmp_gt_u32_e32 vcc, s10, v3
	s_and_saveexec_b64 s[10:11], vcc
	s_cbranch_execz .LBB6_1841
; %bb.1836:
	s_mov_b32 s12, 0x3bffffff
	v_cmp_lt_u32_e32 vcc, s12, v3
	s_mov_b64 s[12:13], 0
                                        ; implicit-def: $vgpr3
	s_and_saveexec_b64 s[16:17], vcc
	s_xor_b64 s[16:17], exec, s[16:17]
	s_cbranch_execz .LBB6_2062
; %bb.1837:
	v_bfe_u32 v3, v2, 20, 1
	s_mov_b32 s21, 0x487ffff
	v_add3_u32 v3, v2, v3, s21
	s_mov_b64 s[12:13], exec
	v_lshrrev_b32_e32 v3, 20, v3
	s_andn2_saveexec_b64 s[16:17], s[16:17]
	s_cbranch_execnz .LBB6_2063
.LBB6_1838:
	s_or_b64 exec, exec, s[16:17]
	v_mov_b32_e32 v6, 0
	s_and_saveexec_b64 s[16:17], s[12:13]
.LBB6_1839:
	v_lshrrev_b32_e32 v2, 24, v2
	s_movk_i32 s12, 0x80
	v_and_or_b32 v6, v2, s12, v3
.LBB6_1840:
	s_or_b64 exec, exec, s[16:17]
.LBB6_1841:
	s_or_b64 exec, exec, s[10:11]
	global_store_byte v[4:5], v6, off
.LBB6_1842:
	s_mov_b64 s[10:11], -1
.LBB6_1843:
	s_mov_b64 s[12:13], 0
.LBB6_1844:
	s_and_b64 vcc, exec, s[12:13]
	s_cbranch_vccz .LBB6_1884
; %bb.1845:
	s_cmp_gt_i32 s19, 22
	s_mov_b64 s[2:3], -1
	s_cbranch_scc0 .LBB6_1877
; %bb.1846:
	s_cmp_lt_i32 s19, 24
	s_cbranch_scc1 .LBB6_1866
; %bb.1847:
	s_cmp_gt_i32 s19, 24
	s_cbranch_scc0 .LBB6_1855
; %bb.1848:
	v_cvt_f32_f64_e32 v2, v[0:1]
	s_mov_b32 s2, 0x47800000
	v_mov_b32_e32 v6, 0x80
	v_and_b32_e32 v3, 0x7fffffff, v2
	v_cmp_gt_u32_e32 vcc, s2, v3
	s_and_saveexec_b64 s[2:3], vcc
	s_cbranch_execz .LBB6_1854
; %bb.1849:
	s_mov_b32 s10, 0x37ffffff
	v_cmp_lt_u32_e32 vcc, s10, v3
	s_mov_b64 s[10:11], 0
                                        ; implicit-def: $vgpr3
	s_and_saveexec_b64 s[12:13], vcc
	s_xor_b64 s[12:13], exec, s[12:13]
	s_cbranch_execz .LBB6_2065
; %bb.1850:
	v_bfe_u32 v3, v2, 21, 1
	s_mov_b32 s16, 0x88fffff
	v_add3_u32 v3, v2, v3, s16
	s_mov_b64 s[10:11], exec
	v_lshrrev_b32_e32 v3, 21, v3
	s_andn2_saveexec_b64 s[12:13], s[12:13]
	s_cbranch_execnz .LBB6_2066
.LBB6_1851:
	s_or_b64 exec, exec, s[12:13]
	v_mov_b32_e32 v6, 0
	s_and_saveexec_b64 s[12:13], s[10:11]
.LBB6_1852:
	v_lshrrev_b32_e32 v2, 24, v2
	s_movk_i32 s10, 0x80
	v_and_or_b32 v6, v2, s10, v3
.LBB6_1853:
	s_or_b64 exec, exec, s[12:13]
.LBB6_1854:
	s_or_b64 exec, exec, s[2:3]
	s_mov_b64 s[2:3], 0
	global_store_byte v[4:5], v6, off
.LBB6_1855:
	s_and_b64 vcc, exec, s[2:3]
	s_cbranch_vccz .LBB6_1865
; %bb.1856:
	v_cvt_f32_f64_e32 v2, v[0:1]
	s_mov_b32 s2, 0x43f00000
                                        ; implicit-def: $vgpr3
	v_and_b32_e32 v6, 0x7fffffff, v2
	v_cmp_gt_u32_e32 vcc, s2, v6
	s_and_saveexec_b64 s[2:3], vcc
	s_xor_b64 s[2:3], exec, s[2:3]
	s_cbranch_execz .LBB6_1862
; %bb.1857:
	s_mov_b32 s10, 0x3c7fffff
	v_cmp_lt_u32_e32 vcc, s10, v6
                                        ; implicit-def: $vgpr3
	s_and_saveexec_b64 s[10:11], vcc
	s_xor_b64 s[10:11], exec, s[10:11]
; %bb.1858:
	v_bfe_u32 v3, v2, 20, 1
	s_mov_b32 s12, 0x407ffff
	v_add3_u32 v3, v2, v3, s12
	v_lshrrev_b32_e32 v6, 20, v3
	v_and_b32_e32 v3, 0xff00000, v3
	s_mov_b32 s12, 0x7f00000
	v_mov_b32_e32 v7, 0x7e
	v_cmp_ne_u32_e32 vcc, s12, v3
	v_cndmask_b32_e32 v3, v7, v6, vcc
; %bb.1859:
	s_andn2_saveexec_b64 s[10:11], s[10:11]
; %bb.1860:
	s_mov_b32 s12, 0x46800000
	v_add_f32_e64 v3, |v2|, s12
; %bb.1861:
	s_or_b64 exec, exec, s[10:11]
                                        ; implicit-def: $vgpr6
.LBB6_1862:
	s_andn2_saveexec_b64 s[2:3], s[2:3]
; %bb.1863:
	s_mov_b32 s10, 0x7f800000
	v_mov_b32_e32 v3, 0x7e
	v_mov_b32_e32 v7, 0x7f
	v_cmp_lt_u32_e32 vcc, s10, v6
	v_cndmask_b32_e32 v3, v3, v7, vcc
; %bb.1864:
	s_or_b64 exec, exec, s[2:3]
	v_lshrrev_b32_e32 v2, 24, v2
	s_movk_i32 s2, 0x80
	v_and_or_b32 v2, v2, s2, v3
	global_store_byte v[4:5], v2, off
.LBB6_1865:
	s_mov_b64 s[2:3], 0
.LBB6_1866:
	s_andn2_b64 vcc, exec, s[2:3]
	s_cbranch_vccnz .LBB6_1876
; %bb.1867:
	v_cvt_f32_f64_e32 v2, v[0:1]
	s_mov_b32 s2, 0x47800000
                                        ; implicit-def: $vgpr3
	v_and_b32_e32 v6, 0x7fffffff, v2
	v_cmp_gt_u32_e32 vcc, s2, v6
	s_and_saveexec_b64 s[2:3], vcc
	s_xor_b64 s[2:3], exec, s[2:3]
	s_cbranch_execz .LBB6_1873
; %bb.1868:
	s_mov_b32 s10, 0x387fffff
	v_cmp_lt_u32_e32 vcc, s10, v6
                                        ; implicit-def: $vgpr3
	s_and_saveexec_b64 s[10:11], vcc
	s_xor_b64 s[10:11], exec, s[10:11]
; %bb.1869:
	v_bfe_u32 v3, v2, 21, 1
	s_mov_b32 s12, 0x80fffff
	v_add3_u32 v3, v2, v3, s12
	v_lshrrev_b32_e32 v3, 21, v3
; %bb.1870:
	s_andn2_saveexec_b64 s[10:11], s[10:11]
; %bb.1871:
	s_mov_b32 s12, 0x43000000
	v_add_f32_e64 v3, |v2|, s12
; %bb.1872:
	s_or_b64 exec, exec, s[10:11]
                                        ; implicit-def: $vgpr6
.LBB6_1873:
	s_andn2_saveexec_b64 s[2:3], s[2:3]
; %bb.1874:
	s_mov_b32 s10, 0x7f800000
	v_mov_b32_e32 v3, 0x7c
	v_mov_b32_e32 v7, 0x7f
	v_cmp_lt_u32_e32 vcc, s10, v6
	v_cndmask_b32_e32 v3, v3, v7, vcc
; %bb.1875:
	s_or_b64 exec, exec, s[2:3]
	v_lshrrev_b32_e32 v2, 24, v2
	s_movk_i32 s2, 0x80
	v_and_or_b32 v2, v2, s2, v3
	global_store_byte v[4:5], v2, off
.LBB6_1876:
	s_mov_b64 s[2:3], 0
	s_mov_b64 s[10:11], -1
.LBB6_1877:
	s_andn2_b64 vcc, exec, s[2:3]
	s_mov_b64 s[2:3], 0
	s_cbranch_vccnz .LBB6_1884
; %bb.1878:
	s_cmp_gt_i32 s19, 14
	s_mov_b64 s[12:13], -1
	s_cbranch_scc0 .LBB6_1882
; %bb.1879:
	s_cmp_eq_u32 s19, 15
	s_mov_b64 s[0:1], -1
	s_cbranch_scc0 .LBB6_1881
; %bb.1880:
	v_cvt_f32_f64_e32 v2, v[0:1]
	s_movk_i32 s0, 0x7fff
	v_mov_b32_e32 v3, 0x7fc0
	s_mov_b64 s[10:11], -1
	v_bfe_u32 v6, v2, 16, 1
	v_cmp_o_f32_e32 vcc, v2, v2
	v_add3_u32 v2, v2, v6, s0
	v_cndmask_b32_sdwa v2, v3, v2, vcc dst_sel:DWORD dst_unused:UNUSED_PAD src0_sel:DWORD src1_sel:WORD_1
	global_store_short v[4:5], v2, off
	s_mov_b64 s[0:1], 0
.LBB6_1881:
	s_mov_b64 s[12:13], 0
.LBB6_1882:
	s_and_b64 vcc, exec, s[12:13]
	s_cbranch_vccz .LBB6_1884
; %bb.1883:
	s_cmp_lg_u32 s19, 11
	s_mov_b64 s[2:3], -1
	s_cselect_b64 s[0:1], -1, 0
.LBB6_1884:
	s_and_b64 vcc, exec, s[0:1]
	s_cbranch_vccnz .LBB6_2064
; %bb.1885:
	s_andn2_b64 vcc, exec, s[2:3]
	s_cbranch_vccnz .LBB6_1887
.LBB6_1886:
	v_cmp_neq_f64_e32 vcc, 0, v[0:1]
	s_mov_b64 s[10:11], -1
	v_cndmask_b32_e64 v2, 0, 1, vcc
	global_store_byte v[4:5], v2, off
.LBB6_1887:
	s_mov_b64 s[0:1], 0
	s_branch .LBB6_1889
.LBB6_1888:
	s_mov_b64 s[0:1], -1
	s_mov_b64 s[10:11], 0
.LBB6_1889:
	s_and_b64 vcc, exec, s[0:1]
	s_cbranch_vccz .LBB6_1928
; %bb.1890:
	s_and_b32 s2, 0xffff, s20
	s_cmp_lt_i32 s2, 5
	s_mov_b64 s[0:1], -1
	s_cbranch_scc1 .LBB6_1911
; %bb.1891:
	s_cmp_lt_i32 s2, 8
	s_cbranch_scc1 .LBB6_1901
; %bb.1892:
	s_cmp_lt_i32 s2, 9
	s_cbranch_scc1 .LBB6_1898
; %bb.1893:
	s_cmp_gt_i32 s2, 9
	s_cbranch_scc0 .LBB6_1895
; %bb.1894:
	v_mov_b32_e32 v2, 0
	v_mov_b32_e32 v3, v2
	global_store_dwordx4 v[4:5], v[0:3], off
	s_mov_b64 s[0:1], 0
.LBB6_1895:
	s_andn2_b64 vcc, exec, s[0:1]
	s_cbranch_vccnz .LBB6_1897
; %bb.1896:
	v_cvt_f32_f64_e32 v2, v[0:1]
	v_mov_b32_e32 v3, 0
	global_store_dwordx2 v[4:5], v[2:3], off
.LBB6_1897:
	s_mov_b64 s[0:1], 0
.LBB6_1898:
	s_andn2_b64 vcc, exec, s[0:1]
	s_cbranch_vccnz .LBB6_1900
; %bb.1899:
	s_movk_i32 s0, 0x1ff
	v_and_or_b32 v2, v1, s0, v0
	v_cmp_ne_u32_e32 vcc, 0, v2
	v_cndmask_b32_e64 v2, 0, 1, vcc
	v_lshrrev_b32_e32 v3, 8, v1
	s_movk_i32 s0, 0xffe
	v_bfe_u32 v6, v1, 20, 11
	v_and_or_b32 v2, v3, s0, v2
	v_sub_u32_e32 v7, 0x3f1, v6
	v_or_b32_e32 v3, 0x1000, v2
	v_med3_i32 v7, v7, 0, 13
	v_lshrrev_b32_e32 v11, v7, v3
	v_lshlrev_b32_e32 v7, v7, v11
	v_cmp_ne_u32_e32 vcc, v7, v3
	v_cndmask_b32_e64 v3, 0, 1, vcc
	v_add_u32_e32 v6, 0xfffffc10, v6
	v_or_b32_e32 v3, v11, v3
	v_lshl_or_b32 v7, v6, 12, v2
	v_cmp_gt_i32_e32 vcc, 1, v6
	v_cndmask_b32_e32 v3, v7, v3, vcc
	v_and_b32_e32 v7, 7, v3
	v_cmp_lt_i32_e32 vcc, 5, v7
	v_cndmask_b32_e64 v11, 0, 1, vcc
	v_cmp_eq_u32_e32 vcc, 3, v7
	v_cndmask_b32_e64 v7, 0, 1, vcc
	v_or_b32_e32 v7, v7, v11
	v_lshrrev_b32_e32 v3, 2, v3
	v_add_u32_e32 v3, v3, v7
	v_mov_b32_e32 v7, 0x7c00
	v_cmp_gt_i32_e32 vcc, 31, v6
	v_cndmask_b32_e32 v3, v7, v3, vcc
	v_mov_b32_e32 v11, 0x7e00
	v_cmp_ne_u32_e32 vcc, 0, v2
	s_movk_i32 s0, 0x40f
	v_cndmask_b32_e32 v2, v7, v11, vcc
	v_cmp_eq_u32_e32 vcc, s0, v6
	v_cndmask_b32_e32 v2, v3, v2, vcc
	v_lshrrev_b32_e32 v3, 16, v1
	s_mov_b32 s0, 0x8000
	v_and_or_b32 v2, v3, s0, v2
	v_and_b32_e32 v2, 0xffff, v2
	global_store_dword v[4:5], v2, off
.LBB6_1900:
	s_mov_b64 s[0:1], 0
.LBB6_1901:
	s_andn2_b64 vcc, exec, s[0:1]
	s_cbranch_vccnz .LBB6_1910
; %bb.1902:
	s_cmp_lt_i32 s2, 6
	s_mov_b64 s[0:1], -1
	s_cbranch_scc1 .LBB6_1908
; %bb.1903:
	s_cmp_gt_i32 s2, 6
	s_cbranch_scc0 .LBB6_1905
; %bb.1904:
	global_store_dwordx2 v[4:5], v[0:1], off
	s_mov_b64 s[0:1], 0
.LBB6_1905:
	s_andn2_b64 vcc, exec, s[0:1]
	s_cbranch_vccnz .LBB6_1907
; %bb.1906:
	v_cvt_f32_f64_e32 v2, v[0:1]
	global_store_dword v[4:5], v2, off
.LBB6_1907:
	s_mov_b64 s[0:1], 0
.LBB6_1908:
	s_andn2_b64 vcc, exec, s[0:1]
	s_cbranch_vccnz .LBB6_1910
; %bb.1909:
	s_movk_i32 s0, 0x1ff
	v_and_or_b32 v2, v1, s0, v0
	v_cmp_ne_u32_e32 vcc, 0, v2
	v_cndmask_b32_e64 v2, 0, 1, vcc
	v_lshrrev_b32_e32 v3, 8, v1
	s_movk_i32 s0, 0xffe
	v_bfe_u32 v6, v1, 20, 11
	v_and_or_b32 v2, v3, s0, v2
	v_sub_u32_e32 v7, 0x3f1, v6
	v_or_b32_e32 v3, 0x1000, v2
	v_med3_i32 v7, v7, 0, 13
	v_lshrrev_b32_e32 v11, v7, v3
	v_lshlrev_b32_e32 v7, v7, v11
	v_cmp_ne_u32_e32 vcc, v7, v3
	v_cndmask_b32_e64 v3, 0, 1, vcc
	v_add_u32_e32 v6, 0xfffffc10, v6
	v_or_b32_e32 v3, v11, v3
	v_lshl_or_b32 v7, v6, 12, v2
	v_cmp_gt_i32_e32 vcc, 1, v6
	v_cndmask_b32_e32 v3, v7, v3, vcc
	v_and_b32_e32 v7, 7, v3
	v_cmp_lt_i32_e32 vcc, 5, v7
	v_cndmask_b32_e64 v11, 0, 1, vcc
	v_cmp_eq_u32_e32 vcc, 3, v7
	v_cndmask_b32_e64 v7, 0, 1, vcc
	v_or_b32_e32 v7, v7, v11
	v_lshrrev_b32_e32 v3, 2, v3
	v_add_u32_e32 v3, v3, v7
	v_mov_b32_e32 v7, 0x7c00
	v_cmp_gt_i32_e32 vcc, 31, v6
	v_cndmask_b32_e32 v3, v7, v3, vcc
	v_mov_b32_e32 v11, 0x7e00
	v_cmp_ne_u32_e32 vcc, 0, v2
	s_movk_i32 s0, 0x40f
	v_cndmask_b32_e32 v2, v7, v11, vcc
	v_cmp_eq_u32_e32 vcc, s0, v6
	v_cndmask_b32_e32 v2, v3, v2, vcc
	v_lshrrev_b32_e32 v3, 16, v1
	s_mov_b32 s0, 0x8000
	v_and_or_b32 v2, v3, s0, v2
	global_store_short v[4:5], v2, off
.LBB6_1910:
	s_mov_b64 s[0:1], 0
.LBB6_1911:
	s_andn2_b64 vcc, exec, s[0:1]
	s_cbranch_vccnz .LBB6_1927
; %bb.1912:
	s_cmp_lt_i32 s2, 2
	s_mov_b64 s[0:1], -1
	s_cbranch_scc1 .LBB6_1922
; %bb.1913:
	s_cmp_lt_i32 s2, 3
	s_cbranch_scc1 .LBB6_1919
; %bb.1914:
	s_cmp_gt_i32 s2, 3
	s_cbranch_scc0 .LBB6_1916
; %bb.1915:
	v_trunc_f64_e32 v[2:3], v[0:1]
	s_movk_i32 s0, 0xffe0
	v_ldexp_f64 v[6:7], v[2:3], s0
	s_mov_b32 s0, 0
	s_mov_b32 s1, 0xc1f00000
	v_floor_f64_e32 v[6:7], v[6:7]
	v_fma_f64 v[2:3], v[6:7], s[0:1], v[2:3]
	v_cvt_i32_f64_e32 v7, v[6:7]
	s_mov_b64 s[0:1], 0
	v_cvt_u32_f64_e32 v6, v[2:3]
	global_store_dwordx2 v[4:5], v[6:7], off
.LBB6_1916:
	s_andn2_b64 vcc, exec, s[0:1]
	s_cbranch_vccnz .LBB6_1918
; %bb.1917:
	v_cvt_i32_f64_e32 v2, v[0:1]
	global_store_dword v[4:5], v2, off
.LBB6_1918:
	s_mov_b64 s[0:1], 0
.LBB6_1919:
	s_andn2_b64 vcc, exec, s[0:1]
	s_cbranch_vccnz .LBB6_1921
; %bb.1920:
	v_cvt_i32_f64_e32 v2, v[0:1]
	global_store_short v[4:5], v2, off
.LBB6_1921:
	s_mov_b64 s[0:1], 0
.LBB6_1922:
	s_andn2_b64 vcc, exec, s[0:1]
	s_cbranch_vccnz .LBB6_1927
; %bb.1923:
	s_cmp_gt_i32 s2, 0
	s_mov_b64 s[0:1], -1
	s_cbranch_scc0 .LBB6_1925
; %bb.1924:
	v_cvt_i32_f64_e32 v2, v[0:1]
	s_mov_b64 s[0:1], 0
	global_store_byte v[4:5], v2, off
.LBB6_1925:
	s_andn2_b64 vcc, exec, s[0:1]
	s_cbranch_vccnz .LBB6_1927
; %bb.1926:
	v_trunc_f64_e32 v[0:1], v[0:1]
	s_movk_i32 s0, 0xffe0
	v_ldexp_f64 v[2:3], v[0:1], s0
	s_mov_b32 s0, 0
	s_mov_b32 s1, 0xc1f00000
	v_floor_f64_e32 v[2:3], v[2:3]
	v_fma_f64 v[0:1], v[2:3], s[0:1], v[0:1]
	v_cvt_u32_f64_e32 v0, v[0:1]
	global_store_byte v[4:5], v0, off
.LBB6_1927:
	s_mov_b64 s[10:11], -1
.LBB6_1928:
	s_andn2_b64 vcc, exec, s[10:11]
	s_cbranch_vccnz .LBB6_2005
; %bb.1929:
	v_mul_f64 v[0:1], v[20:21], v[20:21]
	s_mov_b32 s0, 0xf9a43bb8
	v_mov_b32_e32 v3, 0xb42fdfa7
	v_mov_b32_e32 v4, 0xbe5ae600
	s_mov_b32 s1, 0x3de5e0b2
	s_mov_b32 s2, 0x796cde01
	v_mov_b32_e32 v2, 0x9037ab78
	s_mov_b32 s3, 0x3ec71de3
	v_fma_f64 v[4:5], v[0:1], s[0:1], v[3:4]
	s_mov_b32 s0, 0x46cc5e42
	v_mov_b32_e32 v3, 0x3e21eeb6
	s_mov_b32 s1, 0xbda907db
	v_fma_f64 v[2:3], v[0:1], s[0:1], v[2:3]
	v_mul_f64 v[6:7], v[0:1], 0.5
	s_mov_b32 s0, 0xa17f65f6
	s_mov_b32 s10, 0x19e83e5c
	v_fma_f64 v[4:5], v[0:1], v[4:5], s[2:3]
	s_mov_b32 s1, 0xbe927e4f
	s_mov_b32 s11, 0xbf2a01a0
	;; [unrolled: 1-line block ×3, first 2 shown]
	v_fma_f64 v[2:3], v[0:1], v[2:3], s[0:1]
	v_add_f64 v[11:12], -v[6:7], 1.0
	s_mov_b32 s0, 0x11110bb3
	s_mov_b32 s3, 0x3efa01a0
	v_fma_f64 v[4:5], v[0:1], v[4:5], s[10:11]
	s_mov_b32 s1, 0x3f811111
	v_mul_f64 v[13:14], v[22:23], 0.5
	v_mul_f64 v[15:16], v[20:21], -v[0:1]
	v_fma_f64 v[2:3], v[0:1], v[2:3], s[2:3]
	v_add_f64 v[17:18], -v[11:12], 1.0
	s_cmp_lt_i32 s20, 11
	v_fma_f64 v[4:5], v[0:1], v[4:5], s[0:1]
	s_mov_b32 s0, 0x16c16967
	s_mov_b32 s1, 0xbf56c16c
	v_fma_f64 v[2:3], v[0:1], v[2:3], s[0:1]
	v_add_f64 v[6:7], v[17:18], -v[6:7]
	s_mov_b32 s1, 0x3fa55555
	s_mov_b32 s0, 0x55555555
	v_fma_f64 v[4:5], v[15:16], v[4:5], v[13:14]
	v_mul_f64 v[13:14], v[0:1], v[0:1]
	v_fma_f64 v[2:3], v[0:1], v[2:3], s[0:1]
	v_fma_f64 v[6:7], v[20:21], -v[22:23], v[6:7]
	s_mov_b32 s1, 0xbfc55555
	v_fma_f64 v[0:1], v[0:1], v[4:5], -v[22:23]
	v_and_b32_e32 v4, 1, v28
	v_lshlrev_b32_e32 v5, 30, v28
	v_cmp_eq_u32_e32 vcc, 0, v4
	v_fma_f64 v[2:3], v[13:14], v[2:3], v[6:7]
	v_add_u32_e32 v7, s18, v10
	v_mov_b32_e32 v6, 0x7ff80000
	v_fma_f64 v[0:1], v[15:16], s[0:1], v[0:1]
	s_movk_i32 s0, 0x1f8
	v_cmp_class_f64_e64 s[0:1], v[8:9], s0
	v_mov_b32_e32 v10, s9
	v_add_f64 v[2:3], v[11:12], v[2:3]
	v_add_f64 v[0:1], v[20:21], -v[0:1]
	v_cndmask_b32_e32 v0, v2, v0, vcc
	v_xor_b32_e32 v2, v5, v9
	v_and_b32_e32 v2, 0x80000000, v2
	v_cndmask_b32_e32 v1, v3, v1, vcc
	v_ashrrev_i32_e32 v5, 31, v7
	v_xor_b32_e32 v1, v1, v2
	v_add_co_u32_e32 v4, vcc, s8, v7
	v_cndmask_b32_e64 v0, 0, v0, s[0:1]
	v_cndmask_b32_e64 v1, v6, v1, s[0:1]
	v_addc_co_u32_e32 v5, vcc, v10, v5, vcc
	s_cbranch_scc1 .LBB6_2050
; %bb.1930:
	s_and_b32 s16, 0xffff, s20
	s_mov_b64 s[8:9], -1
	s_mov_b64 s[2:3], 0
	s_cmp_gt_i32 s16, 25
	s_mov_b64 s[0:1], 0
	s_cbranch_scc0 .LBB6_1963
; %bb.1931:
	s_cmp_gt_i32 s16, 28
	s_cbranch_scc0 .LBB6_1947
; %bb.1932:
	s_cmp_gt_i32 s16, 43
	;; [unrolled: 3-line block ×3, first 2 shown]
	s_cbranch_scc0 .LBB6_1937
; %bb.1934:
	s_cmp_eq_u32 s16, 46
	s_mov_b64 s[0:1], -1
	s_cbranch_scc0 .LBB6_1936
; %bb.1935:
	v_cvt_f32_f64_e32 v2, v[0:1]
	s_movk_i32 s0, 0x7fff
	v_mov_b32_e32 v3, 0x7fc0
	v_bfe_u32 v6, v2, 16, 1
	v_cmp_o_f32_e32 vcc, v2, v2
	v_add3_u32 v2, v2, v6, s0
	v_cndmask_b32_sdwa v2, v3, v2, vcc dst_sel:DWORD dst_unused:UNUSED_PAD src0_sel:DWORD src1_sel:WORD_1
	global_store_dword v[4:5], v2, off
	s_mov_b64 s[0:1], 0
.LBB6_1936:
	s_mov_b64 s[8:9], 0
.LBB6_1937:
	s_and_b64 vcc, exec, s[8:9]
	s_cbranch_vccz .LBB6_1942
; %bb.1938:
	s_cmp_eq_u32 s16, 44
	s_mov_b64 s[0:1], -1
	s_cbranch_scc0 .LBB6_1942
; %bb.1939:
	v_cvt_f32_f64_e32 v2, v[0:1]
	s_movk_i32 s0, 0xff
	v_mov_b32_e32 v6, 0xff
	v_bfe_u32 v3, v2, 23, 8
	v_cmp_ne_u32_e32 vcc, s0, v3
	s_and_saveexec_b64 s[8:9], vcc
; %bb.1940:
	s_mov_b32 s0, 0x3fffff
	v_lshrrev_b32_e32 v6, 23, v2
	v_and_b32_e32 v7, 0x400000, v2
	v_and_or_b32 v2, v2, s0, v3
	v_cmp_ne_u32_e32 vcc, 0, v7
	v_cmp_ne_u32_e64 s[0:1], 0, v2
	s_and_b64 s[0:1], vcc, s[0:1]
	v_cndmask_b32_e64 v2, 0, 1, s[0:1]
	v_add_u32_e32 v6, v6, v2
; %bb.1941:
	s_or_b64 exec, exec, s[8:9]
	s_mov_b64 s[0:1], 0
	global_store_byte v[4:5], v6, off
.LBB6_1942:
	s_mov_b64 s[8:9], 0
.LBB6_1943:
	s_and_b64 vcc, exec, s[8:9]
	s_cbranch_vccz .LBB6_1946
; %bb.1944:
	s_cmp_eq_u32 s16, 29
	s_mov_b64 s[0:1], -1
	s_cbranch_scc0 .LBB6_1946
; %bb.1945:
	v_trunc_f64_e32 v[2:3], v[0:1]
	s_movk_i32 s0, 0xffe0
	v_ldexp_f64 v[6:7], v[2:3], s0
	s_mov_b32 s0, 0
	s_mov_b32 s1, 0xc1f00000
	v_floor_f64_e32 v[6:7], v[6:7]
	v_fma_f64 v[2:3], v[6:7], s[0:1], v[2:3]
	v_cvt_u32_f64_e32 v7, v[6:7]
	s_mov_b64 s[0:1], 0
	v_cvt_u32_f64_e32 v6, v[2:3]
	global_store_dwordx2 v[4:5], v[6:7], off
.LBB6_1946:
	s_mov_b64 s[8:9], 0
.LBB6_1947:
	s_and_b64 vcc, exec, s[8:9]
	s_cbranch_vccz .LBB6_1962
; %bb.1948:
	s_cmp_lt_i32 s16, 27
	s_mov_b64 s[8:9], -1
	s_cbranch_scc1 .LBB6_1954
; %bb.1949:
	v_cvt_u32_f64_e32 v2, v[0:1]
	s_cmp_gt_i32 s16, 27
	s_cbranch_scc0 .LBB6_1951
; %bb.1950:
	global_store_dword v[4:5], v2, off
	s_mov_b64 s[8:9], 0
.LBB6_1951:
	s_andn2_b64 vcc, exec, s[8:9]
	s_cbranch_vccnz .LBB6_1953
; %bb.1952:
	global_store_short v[4:5], v2, off
.LBB6_1953:
	s_mov_b64 s[8:9], 0
.LBB6_1954:
	s_andn2_b64 vcc, exec, s[8:9]
	s_cbranch_vccnz .LBB6_1962
; %bb.1955:
	v_cvt_f32_f64_e32 v2, v[0:1]
	s_mov_b32 s8, 0x43800000
	v_mov_b32_e32 v6, 0x80
	v_and_b32_e32 v3, 0x7fffffff, v2
	v_cmp_gt_u32_e32 vcc, s8, v3
	s_and_saveexec_b64 s[8:9], vcc
	s_cbranch_execz .LBB6_1961
; %bb.1956:
	s_mov_b32 s10, 0x3bffffff
	v_cmp_lt_u32_e32 vcc, s10, v3
	s_mov_b64 s[10:11], 0
                                        ; implicit-def: $vgpr3
	s_and_saveexec_b64 s[12:13], vcc
	s_xor_b64 s[12:13], exec, s[12:13]
	s_cbranch_execz .LBB6_2067
; %bb.1957:
	v_bfe_u32 v3, v2, 20, 1
	s_mov_b32 s17, 0x487ffff
	v_add3_u32 v3, v2, v3, s17
	s_mov_b64 s[10:11], exec
	v_lshrrev_b32_e32 v3, 20, v3
	s_andn2_saveexec_b64 s[12:13], s[12:13]
	s_cbranch_execnz .LBB6_2068
.LBB6_1958:
	s_or_b64 exec, exec, s[12:13]
	v_mov_b32_e32 v6, 0
	s_and_saveexec_b64 s[12:13], s[10:11]
.LBB6_1959:
	v_lshrrev_b32_e32 v2, 24, v2
	s_movk_i32 s10, 0x80
	v_and_or_b32 v6, v2, s10, v3
.LBB6_1960:
	s_or_b64 exec, exec, s[12:13]
.LBB6_1961:
	s_or_b64 exec, exec, s[8:9]
	global_store_byte v[4:5], v6, off
.LBB6_1962:
	s_mov_b64 s[8:9], 0
.LBB6_1963:
	s_and_b64 vcc, exec, s[8:9]
	s_cbranch_vccz .LBB6_2003
; %bb.1964:
	s_cmp_gt_i32 s16, 22
	s_mov_b64 s[2:3], -1
	s_cbranch_scc0 .LBB6_1996
; %bb.1965:
	s_cmp_lt_i32 s16, 24
	s_cbranch_scc1 .LBB6_1985
; %bb.1966:
	s_cmp_gt_i32 s16, 24
	s_cbranch_scc0 .LBB6_1974
; %bb.1967:
	v_cvt_f32_f64_e32 v2, v[0:1]
	s_mov_b32 s2, 0x47800000
	v_mov_b32_e32 v6, 0x80
	v_and_b32_e32 v3, 0x7fffffff, v2
	v_cmp_gt_u32_e32 vcc, s2, v3
	s_and_saveexec_b64 s[2:3], vcc
	s_cbranch_execz .LBB6_1973
; %bb.1968:
	s_mov_b32 s8, 0x37ffffff
	v_cmp_lt_u32_e32 vcc, s8, v3
	s_mov_b64 s[8:9], 0
                                        ; implicit-def: $vgpr3
	s_and_saveexec_b64 s[10:11], vcc
	s_xor_b64 s[10:11], exec, s[10:11]
	s_cbranch_execz .LBB6_2070
; %bb.1969:
	v_bfe_u32 v3, v2, 21, 1
	s_mov_b32 s12, 0x88fffff
	v_add3_u32 v3, v2, v3, s12
	s_mov_b64 s[8:9], exec
	v_lshrrev_b32_e32 v3, 21, v3
	s_andn2_saveexec_b64 s[10:11], s[10:11]
	s_cbranch_execnz .LBB6_2071
.LBB6_1970:
	s_or_b64 exec, exec, s[10:11]
	v_mov_b32_e32 v6, 0
	s_and_saveexec_b64 s[10:11], s[8:9]
.LBB6_1971:
	v_lshrrev_b32_e32 v2, 24, v2
	s_movk_i32 s8, 0x80
	v_and_or_b32 v6, v2, s8, v3
.LBB6_1972:
	s_or_b64 exec, exec, s[10:11]
.LBB6_1973:
	s_or_b64 exec, exec, s[2:3]
	s_mov_b64 s[2:3], 0
	global_store_byte v[4:5], v6, off
.LBB6_1974:
	s_and_b64 vcc, exec, s[2:3]
	s_cbranch_vccz .LBB6_1984
; %bb.1975:
	v_cvt_f32_f64_e32 v2, v[0:1]
	s_mov_b32 s2, 0x43f00000
                                        ; implicit-def: $vgpr3
	v_and_b32_e32 v6, 0x7fffffff, v2
	v_cmp_gt_u32_e32 vcc, s2, v6
	s_and_saveexec_b64 s[2:3], vcc
	s_xor_b64 s[2:3], exec, s[2:3]
	s_cbranch_execz .LBB6_1981
; %bb.1976:
	s_mov_b32 s8, 0x3c7fffff
	v_cmp_lt_u32_e32 vcc, s8, v6
                                        ; implicit-def: $vgpr3
	s_and_saveexec_b64 s[8:9], vcc
	s_xor_b64 s[8:9], exec, s[8:9]
; %bb.1977:
	v_bfe_u32 v3, v2, 20, 1
	s_mov_b32 s10, 0x407ffff
	v_add3_u32 v3, v2, v3, s10
	v_lshrrev_b32_e32 v6, 20, v3
	v_and_b32_e32 v3, 0xff00000, v3
	s_mov_b32 s10, 0x7f00000
	v_mov_b32_e32 v7, 0x7e
	v_cmp_ne_u32_e32 vcc, s10, v3
	v_cndmask_b32_e32 v3, v7, v6, vcc
; %bb.1978:
	s_andn2_saveexec_b64 s[8:9], s[8:9]
; %bb.1979:
	s_mov_b32 s10, 0x46800000
	v_add_f32_e64 v3, |v2|, s10
; %bb.1980:
	s_or_b64 exec, exec, s[8:9]
                                        ; implicit-def: $vgpr6
.LBB6_1981:
	s_andn2_saveexec_b64 s[2:3], s[2:3]
; %bb.1982:
	s_mov_b32 s8, 0x7f800000
	v_mov_b32_e32 v3, 0x7e
	v_mov_b32_e32 v7, 0x7f
	v_cmp_lt_u32_e32 vcc, s8, v6
	v_cndmask_b32_e32 v3, v3, v7, vcc
; %bb.1983:
	s_or_b64 exec, exec, s[2:3]
	v_lshrrev_b32_e32 v2, 24, v2
	s_movk_i32 s2, 0x80
	v_and_or_b32 v2, v2, s2, v3
	global_store_byte v[4:5], v2, off
.LBB6_1984:
	s_mov_b64 s[2:3], 0
.LBB6_1985:
	s_andn2_b64 vcc, exec, s[2:3]
	s_cbranch_vccnz .LBB6_1995
; %bb.1986:
	v_cvt_f32_f64_e32 v2, v[0:1]
	s_mov_b32 s2, 0x47800000
                                        ; implicit-def: $vgpr3
	v_and_b32_e32 v6, 0x7fffffff, v2
	v_cmp_gt_u32_e32 vcc, s2, v6
	s_and_saveexec_b64 s[2:3], vcc
	s_xor_b64 s[2:3], exec, s[2:3]
	s_cbranch_execz .LBB6_1992
; %bb.1987:
	s_mov_b32 s8, 0x387fffff
	v_cmp_lt_u32_e32 vcc, s8, v6
                                        ; implicit-def: $vgpr3
	s_and_saveexec_b64 s[8:9], vcc
	s_xor_b64 s[8:9], exec, s[8:9]
; %bb.1988:
	v_bfe_u32 v3, v2, 21, 1
	s_mov_b32 s10, 0x80fffff
	v_add3_u32 v3, v2, v3, s10
	v_lshrrev_b32_e32 v3, 21, v3
; %bb.1989:
	s_andn2_saveexec_b64 s[8:9], s[8:9]
; %bb.1990:
	s_mov_b32 s10, 0x43000000
	v_add_f32_e64 v3, |v2|, s10
; %bb.1991:
	s_or_b64 exec, exec, s[8:9]
                                        ; implicit-def: $vgpr6
.LBB6_1992:
	s_andn2_saveexec_b64 s[2:3], s[2:3]
; %bb.1993:
	s_mov_b32 s8, 0x7f800000
	v_mov_b32_e32 v3, 0x7c
	v_mov_b32_e32 v7, 0x7f
	v_cmp_lt_u32_e32 vcc, s8, v6
	v_cndmask_b32_e32 v3, v3, v7, vcc
; %bb.1994:
	s_or_b64 exec, exec, s[2:3]
	v_lshrrev_b32_e32 v2, 24, v2
	s_movk_i32 s2, 0x80
	v_and_or_b32 v2, v2, s2, v3
	global_store_byte v[4:5], v2, off
.LBB6_1995:
	s_mov_b64 s[2:3], 0
.LBB6_1996:
	s_andn2_b64 vcc, exec, s[2:3]
	s_mov_b64 s[2:3], 0
	s_cbranch_vccnz .LBB6_2003
; %bb.1997:
	s_cmp_gt_i32 s16, 14
	s_mov_b64 s[8:9], -1
	s_cbranch_scc0 .LBB6_2001
; %bb.1998:
	s_cmp_eq_u32 s16, 15
	s_mov_b64 s[0:1], -1
	s_cbranch_scc0 .LBB6_2000
; %bb.1999:
	v_cvt_f32_f64_e32 v2, v[0:1]
	s_movk_i32 s0, 0x7fff
	v_mov_b32_e32 v3, 0x7fc0
	v_bfe_u32 v6, v2, 16, 1
	v_cmp_o_f32_e32 vcc, v2, v2
	v_add3_u32 v2, v2, v6, s0
	v_cndmask_b32_sdwa v2, v3, v2, vcc dst_sel:DWORD dst_unused:UNUSED_PAD src0_sel:DWORD src1_sel:WORD_1
	global_store_short v[4:5], v2, off
	s_mov_b64 s[0:1], 0
.LBB6_2000:
	s_mov_b64 s[8:9], 0
.LBB6_2001:
	s_and_b64 vcc, exec, s[8:9]
	s_cbranch_vccz .LBB6_2003
; %bb.2002:
	s_cmp_lg_u32 s16, 11
	s_mov_b64 s[2:3], -1
	s_cselect_b64 s[0:1], -1, 0
.LBB6_2003:
	s_and_b64 vcc, exec, s[0:1]
	s_cbranch_vccnz .LBB6_2069
.LBB6_2004:
	s_mov_b64 s[0:1], 0
	s_branch .LBB6_2006
.LBB6_2005:
	s_mov_b64 s[0:1], 0
	s_mov_b64 s[2:3], 0
                                        ; implicit-def: $sgpr20
                                        ; implicit-def: $vgpr4_vgpr5
                                        ; implicit-def: $vgpr0_vgpr1
.LBB6_2006:
	s_and_b64 s[12:13], s[2:3], exec
	s_andn2_b64 s[2:3], s[6:7], exec
	s_and_b64 s[6:7], s[14:15], exec
	s_and_b64 s[0:1], s[0:1], exec
	s_or_b64 s[6:7], s[2:3], s[6:7]
.LBB6_2007:
	s_or_b64 exec, exec, s[4:5]
	s_and_saveexec_b64 s[2:3], s[6:7]
	s_cbranch_execz .LBB6_2010
; %bb.2008:
	; divergent unreachable
	s_or_b64 exec, exec, s[2:3]
	s_and_saveexec_b64 s[2:3], s[12:13]
	s_xor_b64 s[2:3], exec, s[2:3]
	s_cbranch_execnz .LBB6_2011
.LBB6_2009:
	s_or_b64 exec, exec, s[2:3]
	s_and_saveexec_b64 s[2:3], s[0:1]
	s_cbranch_execnz .LBB6_2012
	s_branch .LBB6_2049
.LBB6_2010:
	s_or_b64 exec, exec, s[2:3]
	s_and_saveexec_b64 s[2:3], s[12:13]
	s_xor_b64 s[2:3], exec, s[2:3]
	s_cbranch_execz .LBB6_2009
.LBB6_2011:
	s_waitcnt vmcnt(0)
	v_cmp_neq_f64_e32 vcc, 0, v[0:1]
	v_cndmask_b32_e64 v2, 0, 1, vcc
	global_store_byte v[4:5], v2, off
	s_or_b64 exec, exec, s[2:3]
	s_and_saveexec_b64 s[2:3], s[0:1]
	s_cbranch_execz .LBB6_2049
.LBB6_2012:
	s_sext_i32_i16 s2, s20
	s_cmp_lt_i32 s2, 5
	s_mov_b64 s[0:1], -1
	s_cbranch_scc1 .LBB6_2033
; %bb.2013:
	s_cmp_lt_i32 s2, 8
	s_cbranch_scc1 .LBB6_2023
; %bb.2014:
	s_cmp_lt_i32 s2, 9
	s_cbranch_scc1 .LBB6_2020
; %bb.2015:
	s_cmp_gt_i32 s2, 9
	s_cbranch_scc0 .LBB6_2017
; %bb.2016:
	s_waitcnt vmcnt(0)
	v_mov_b32_e32 v2, 0
	v_mov_b32_e32 v3, v2
	global_store_dwordx4 v[4:5], v[0:3], off
	s_mov_b64 s[0:1], 0
.LBB6_2017:
	s_andn2_b64 vcc, exec, s[0:1]
	s_cbranch_vccnz .LBB6_2019
; %bb.2018:
	s_waitcnt vmcnt(0)
	v_cvt_f32_f64_e32 v2, v[0:1]
	v_mov_b32_e32 v3, 0
	global_store_dwordx2 v[4:5], v[2:3], off
.LBB6_2019:
	s_mov_b64 s[0:1], 0
.LBB6_2020:
	s_andn2_b64 vcc, exec, s[0:1]
	s_cbranch_vccnz .LBB6_2022
; %bb.2021:
	s_movk_i32 s0, 0x1ff
	s_waitcnt vmcnt(0)
	v_and_or_b32 v2, v1, s0, v0
	v_cmp_ne_u32_e32 vcc, 0, v2
	v_cndmask_b32_e64 v2, 0, 1, vcc
	v_lshrrev_b32_e32 v3, 8, v1
	s_movk_i32 s0, 0xffe
	v_bfe_u32 v6, v1, 20, 11
	v_and_or_b32 v2, v3, s0, v2
	v_sub_u32_e32 v7, 0x3f1, v6
	v_or_b32_e32 v3, 0x1000, v2
	v_med3_i32 v7, v7, 0, 13
	v_lshrrev_b32_e32 v8, v7, v3
	v_lshlrev_b32_e32 v7, v7, v8
	v_cmp_ne_u32_e32 vcc, v7, v3
	v_cndmask_b32_e64 v3, 0, 1, vcc
	v_add_u32_e32 v6, 0xfffffc10, v6
	v_or_b32_e32 v3, v8, v3
	v_lshl_or_b32 v7, v6, 12, v2
	v_cmp_gt_i32_e32 vcc, 1, v6
	v_cndmask_b32_e32 v3, v7, v3, vcc
	v_and_b32_e32 v7, 7, v3
	v_cmp_lt_i32_e32 vcc, 5, v7
	v_cndmask_b32_e64 v8, 0, 1, vcc
	v_cmp_eq_u32_e32 vcc, 3, v7
	v_cndmask_b32_e64 v7, 0, 1, vcc
	v_or_b32_e32 v7, v7, v8
	v_lshrrev_b32_e32 v3, 2, v3
	v_add_u32_e32 v3, v3, v7
	v_mov_b32_e32 v7, 0x7c00
	v_cmp_gt_i32_e32 vcc, 31, v6
	v_cndmask_b32_e32 v3, v7, v3, vcc
	v_mov_b32_e32 v8, 0x7e00
	v_cmp_ne_u32_e32 vcc, 0, v2
	s_movk_i32 s0, 0x40f
	v_cndmask_b32_e32 v2, v7, v8, vcc
	v_cmp_eq_u32_e32 vcc, s0, v6
	v_cndmask_b32_e32 v2, v3, v2, vcc
	v_lshrrev_b32_e32 v3, 16, v1
	s_mov_b32 s0, 0x8000
	v_and_or_b32 v2, v3, s0, v2
	v_and_b32_e32 v2, 0xffff, v2
	global_store_dword v[4:5], v2, off
.LBB6_2022:
	s_mov_b64 s[0:1], 0
.LBB6_2023:
	s_andn2_b64 vcc, exec, s[0:1]
	s_cbranch_vccnz .LBB6_2032
; %bb.2024:
	s_sext_i32_i16 s2, s20
	s_cmp_lt_i32 s2, 6
	s_mov_b64 s[0:1], -1
	s_cbranch_scc1 .LBB6_2030
; %bb.2025:
	s_cmp_gt_i32 s2, 6
	s_cbranch_scc0 .LBB6_2027
; %bb.2026:
	s_waitcnt vmcnt(0)
	global_store_dwordx2 v[4:5], v[0:1], off
	s_mov_b64 s[0:1], 0
.LBB6_2027:
	s_andn2_b64 vcc, exec, s[0:1]
	s_cbranch_vccnz .LBB6_2029
; %bb.2028:
	s_waitcnt vmcnt(0)
	v_cvt_f32_f64_e32 v2, v[0:1]
	global_store_dword v[4:5], v2, off
.LBB6_2029:
	s_mov_b64 s[0:1], 0
.LBB6_2030:
	s_andn2_b64 vcc, exec, s[0:1]
	s_cbranch_vccnz .LBB6_2032
; %bb.2031:
	s_movk_i32 s0, 0x1ff
	s_waitcnt vmcnt(0)
	v_and_or_b32 v2, v1, s0, v0
	v_cmp_ne_u32_e32 vcc, 0, v2
	v_cndmask_b32_e64 v2, 0, 1, vcc
	v_lshrrev_b32_e32 v3, 8, v1
	s_movk_i32 s0, 0xffe
	v_bfe_u32 v6, v1, 20, 11
	v_and_or_b32 v2, v3, s0, v2
	v_sub_u32_e32 v7, 0x3f1, v6
	v_or_b32_e32 v3, 0x1000, v2
	v_med3_i32 v7, v7, 0, 13
	v_lshrrev_b32_e32 v8, v7, v3
	v_lshlrev_b32_e32 v7, v7, v8
	v_cmp_ne_u32_e32 vcc, v7, v3
	v_cndmask_b32_e64 v3, 0, 1, vcc
	v_add_u32_e32 v6, 0xfffffc10, v6
	v_or_b32_e32 v3, v8, v3
	v_lshl_or_b32 v7, v6, 12, v2
	v_cmp_gt_i32_e32 vcc, 1, v6
	v_cndmask_b32_e32 v3, v7, v3, vcc
	v_and_b32_e32 v7, 7, v3
	v_cmp_lt_i32_e32 vcc, 5, v7
	v_cndmask_b32_e64 v8, 0, 1, vcc
	v_cmp_eq_u32_e32 vcc, 3, v7
	v_cndmask_b32_e64 v7, 0, 1, vcc
	v_or_b32_e32 v7, v7, v8
	v_lshrrev_b32_e32 v3, 2, v3
	v_add_u32_e32 v3, v3, v7
	v_mov_b32_e32 v7, 0x7c00
	v_cmp_gt_i32_e32 vcc, 31, v6
	v_cndmask_b32_e32 v3, v7, v3, vcc
	v_mov_b32_e32 v8, 0x7e00
	v_cmp_ne_u32_e32 vcc, 0, v2
	s_movk_i32 s0, 0x40f
	v_cndmask_b32_e32 v2, v7, v8, vcc
	v_cmp_eq_u32_e32 vcc, s0, v6
	v_cndmask_b32_e32 v2, v3, v2, vcc
	v_lshrrev_b32_e32 v3, 16, v1
	s_mov_b32 s0, 0x8000
	v_and_or_b32 v2, v3, s0, v2
	global_store_short v[4:5], v2, off
.LBB6_2032:
	s_mov_b64 s[0:1], 0
.LBB6_2033:
	s_andn2_b64 vcc, exec, s[0:1]
	s_cbranch_vccnz .LBB6_2049
; %bb.2034:
	s_sext_i32_i16 s2, s20
	s_cmp_lt_i32 s2, 2
	s_mov_b64 s[0:1], -1
	s_cbranch_scc1 .LBB6_2044
; %bb.2035:
	s_cmp_lt_i32 s2, 3
	s_cbranch_scc1 .LBB6_2041
; %bb.2036:
	s_cmp_gt_i32 s2, 3
	s_cbranch_scc0 .LBB6_2038
; %bb.2037:
	s_waitcnt vmcnt(0)
	v_trunc_f64_e32 v[2:3], v[0:1]
	s_movk_i32 s0, 0xffe0
	v_ldexp_f64 v[6:7], v[2:3], s0
	s_mov_b32 s0, 0
	s_mov_b32 s1, 0xc1f00000
	v_floor_f64_e32 v[6:7], v[6:7]
	v_fma_f64 v[2:3], v[6:7], s[0:1], v[2:3]
	v_cvt_i32_f64_e32 v7, v[6:7]
	s_mov_b64 s[0:1], 0
	v_cvt_u32_f64_e32 v6, v[2:3]
	global_store_dwordx2 v[4:5], v[6:7], off
.LBB6_2038:
	s_andn2_b64 vcc, exec, s[0:1]
	s_cbranch_vccnz .LBB6_2040
; %bb.2039:
	s_waitcnt vmcnt(0)
	v_cvt_i32_f64_e32 v2, v[0:1]
	global_store_dword v[4:5], v2, off
.LBB6_2040:
	s_mov_b64 s[0:1], 0
.LBB6_2041:
	s_andn2_b64 vcc, exec, s[0:1]
	s_cbranch_vccnz .LBB6_2043
; %bb.2042:
	s_waitcnt vmcnt(0)
	v_cvt_i32_f64_e32 v2, v[0:1]
	global_store_short v[4:5], v2, off
.LBB6_2043:
	s_mov_b64 s[0:1], 0
.LBB6_2044:
	s_andn2_b64 vcc, exec, s[0:1]
	s_cbranch_vccnz .LBB6_2049
; %bb.2045:
	s_sext_i32_i16 s0, s20
	s_cmp_gt_i32 s0, 0
	s_mov_b64 s[0:1], -1
	s_cbranch_scc0 .LBB6_2047
; %bb.2046:
	s_waitcnt vmcnt(0)
	v_cvt_i32_f64_e32 v2, v[0:1]
	s_mov_b64 s[0:1], 0
	global_store_byte v[4:5], v2, off
.LBB6_2047:
	s_andn2_b64 vcc, exec, s[0:1]
	s_cbranch_vccnz .LBB6_2049
; %bb.2048:
	s_waitcnt vmcnt(0)
	v_trunc_f64_e32 v[0:1], v[0:1]
	s_movk_i32 s0, 0xffe0
	v_ldexp_f64 v[2:3], v[0:1], s0
	s_mov_b32 s0, 0
	s_mov_b32 s1, 0xc1f00000
	v_floor_f64_e32 v[2:3], v[2:3]
	v_fma_f64 v[0:1], v[2:3], s[0:1], v[0:1]
	v_cvt_u32_f64_e32 v0, v[0:1]
	global_store_byte v[4:5], v0, off
	s_endpgm
.LBB6_2049:
	s_endpgm
.LBB6_2050:
	s_mov_b64 s[2:3], 0
	s_mov_b64 s[0:1], -1
	s_branch .LBB6_2006
.LBB6_2051:
	s_trap 2
	s_or_b64 s[14:15], s[14:15], exec
	s_cbranch_execz .LBB6_1516
	s_branch .LBB6_1517
.LBB6_2052:
	s_andn2_saveexec_b64 s[18:19], s[18:19]
	s_cbranch_execz .LBB6_1600
.LBB6_2053:
	s_mov_b32 s21, 0x46000000
	v_add_f32_e64 v3, |v2|, s21
	v_and_b32_e32 v3, 0xff, v3
	v_cmp_ne_u32_e32 vcc, 0, v3
	s_andn2_b64 s[16:17], s[16:17], exec
	s_and_b64 s[22:23], vcc, exec
	s_or_b64 s[16:17], s[16:17], s[22:23]
	s_or_b64 exec, exec, s[18:19]
	v_mov_b32_e32 v25, 0
	s_and_saveexec_b64 s[18:19], s[16:17]
	s_cbranch_execnz .LBB6_1601
	s_branch .LBB6_1602
.LBB6_2054:
	s_trap 2
	s_or_b64 s[14:15], s[14:15], exec
	s_cbranch_execz .LBB6_1648
	s_branch .LBB6_1649
.LBB6_2055:
	s_andn2_saveexec_b64 s[16:17], s[16:17]
	s_cbranch_execz .LBB6_1613
.LBB6_2056:
	s_mov_b32 s18, 0x42800000
	v_add_f32_e64 v3, |v2|, s18
	v_and_b32_e32 v3, 0xff, v3
	v_cmp_ne_u32_e32 vcc, 0, v3
	s_andn2_b64 s[12:13], s[12:13], exec
	s_and_b64 s[18:19], vcc, exec
	s_or_b64 s[12:13], s[12:13], s[18:19]
	s_or_b64 exec, exec, s[16:17]
	v_mov_b32_e32 v25, 0
	s_and_saveexec_b64 s[16:17], s[12:13]
	s_cbranch_execnz .LBB6_1614
	s_branch .LBB6_1615
.LBB6_2057:
	s_andn2_saveexec_b64 s[16:17], s[16:17]
	s_cbranch_execz .LBB6_1719
.LBB6_2058:
	s_mov_b32 s21, 0x46000000
	v_add_f32_e64 v3, |v2|, s21
	v_and_b32_e32 v3, 0xff, v3
	v_cmp_ne_u32_e32 vcc, 0, v3
	s_andn2_b64 s[12:13], s[12:13], exec
	s_and_b64 s[22:23], vcc, exec
	s_or_b64 s[12:13], s[12:13], s[22:23]
	s_or_b64 exec, exec, s[16:17]
	v_mov_b32_e32 v11, 0
	s_and_saveexec_b64 s[16:17], s[12:13]
	s_cbranch_execnz .LBB6_1720
	s_branch .LBB6_1721
.LBB6_2059:
	s_trap 2
	s_or_b64 s[14:15], s[14:15], exec
	s_cbranch_execz .LBB6_1767
	s_branch .LBB6_1768
.LBB6_2060:
	s_andn2_saveexec_b64 s[12:13], s[12:13]
	s_cbranch_execz .LBB6_1732
.LBB6_2061:
	s_mov_b32 s16, 0x42800000
	v_add_f32_e64 v3, |v2|, s16
	v_and_b32_e32 v3, 0xff, v3
	v_cmp_ne_u32_e32 vcc, 0, v3
	s_andn2_b64 s[10:11], s[10:11], exec
	s_and_b64 s[16:17], vcc, exec
	s_or_b64 s[10:11], s[10:11], s[16:17]
	s_or_b64 exec, exec, s[12:13]
	v_mov_b32_e32 v11, 0
	s_and_saveexec_b64 s[12:13], s[10:11]
	s_cbranch_execnz .LBB6_1733
	s_branch .LBB6_1734
.LBB6_2062:
	s_andn2_saveexec_b64 s[16:17], s[16:17]
	s_cbranch_execz .LBB6_1838
.LBB6_2063:
	s_mov_b32 s21, 0x46000000
	v_add_f32_e64 v3, |v2|, s21
	v_and_b32_e32 v3, 0xff, v3
	v_cmp_ne_u32_e32 vcc, 0, v3
	s_andn2_b64 s[12:13], s[12:13], exec
	s_and_b64 s[22:23], vcc, exec
	s_or_b64 s[12:13], s[12:13], s[22:23]
	s_or_b64 exec, exec, s[16:17]
	v_mov_b32_e32 v6, 0
	s_and_saveexec_b64 s[16:17], s[12:13]
	s_cbranch_execnz .LBB6_1839
	s_branch .LBB6_1840
.LBB6_2064:
	s_trap 2
	s_or_b64 s[14:15], s[14:15], exec
	s_cbranch_execz .LBB6_1886
	s_branch .LBB6_1887
.LBB6_2065:
	s_andn2_saveexec_b64 s[12:13], s[12:13]
	s_cbranch_execz .LBB6_1851
.LBB6_2066:
	s_mov_b32 s16, 0x42800000
	v_add_f32_e64 v3, |v2|, s16
	v_and_b32_e32 v3, 0xff, v3
	v_cmp_ne_u32_e32 vcc, 0, v3
	s_andn2_b64 s[10:11], s[10:11], exec
	s_and_b64 s[16:17], vcc, exec
	s_or_b64 s[10:11], s[10:11], s[16:17]
	s_or_b64 exec, exec, s[12:13]
	v_mov_b32_e32 v6, 0
	s_and_saveexec_b64 s[12:13], s[10:11]
	s_cbranch_execnz .LBB6_1852
	s_branch .LBB6_1853
.LBB6_2067:
	s_andn2_saveexec_b64 s[12:13], s[12:13]
	s_cbranch_execz .LBB6_1958
.LBB6_2068:
	s_mov_b32 s17, 0x46000000
	v_add_f32_e64 v3, |v2|, s17
	v_and_b32_e32 v3, 0xff, v3
	v_cmp_ne_u32_e32 vcc, 0, v3
	s_andn2_b64 s[10:11], s[10:11], exec
	s_and_b64 s[18:19], vcc, exec
	s_or_b64 s[10:11], s[10:11], s[18:19]
	s_or_b64 exec, exec, s[12:13]
	v_mov_b32_e32 v6, 0
	s_and_saveexec_b64 s[12:13], s[10:11]
	s_cbranch_execnz .LBB6_1959
	s_branch .LBB6_1960
.LBB6_2069:
	s_mov_b64 s[2:3], 0
	s_or_b64 s[14:15], s[14:15], exec
	s_trap 2
	s_branch .LBB6_2004
.LBB6_2070:
	s_andn2_saveexec_b64 s[10:11], s[10:11]
	s_cbranch_execz .LBB6_1970
.LBB6_2071:
	s_mov_b32 s12, 0x42800000
	v_add_f32_e64 v3, |v2|, s12
	v_and_b32_e32 v3, 0xff, v3
	v_cmp_ne_u32_e32 vcc, 0, v3
	s_andn2_b64 s[8:9], s[8:9], exec
	s_and_b64 s[12:13], vcc, exec
	s_or_b64 s[8:9], s[8:9], s[12:13]
	s_or_b64 exec, exec, s[10:11]
	v_mov_b32_e32 v6, 0
	s_and_saveexec_b64 s[10:11], s[8:9]
	s_cbranch_execnz .LBB6_1971
	s_branch .LBB6_1972
	.section	.rodata,"a",@progbits
	.p2align	6, 0x0
	.amdhsa_kernel _ZN2at6native32elementwise_kernel_manual_unrollILi128ELi4EZNS0_15gpu_kernel_implIZZZNS0_15sin_kernel_cudaERNS_18TensorIteratorBaseEENKUlvE0_clEvENKUlvE_clEvEUldE_EEvS4_RKT_EUlibE_EEviT1_
		.amdhsa_group_segment_fixed_size 0
		.amdhsa_private_segment_fixed_size 0
		.amdhsa_kernarg_size 40
		.amdhsa_user_sgpr_count 6
		.amdhsa_user_sgpr_private_segment_buffer 1
		.amdhsa_user_sgpr_dispatch_ptr 0
		.amdhsa_user_sgpr_queue_ptr 0
		.amdhsa_user_sgpr_kernarg_segment_ptr 1
		.amdhsa_user_sgpr_dispatch_id 0
		.amdhsa_user_sgpr_flat_scratch_init 0
		.amdhsa_user_sgpr_private_segment_size 0
		.amdhsa_uses_dynamic_stack 0
		.amdhsa_system_sgpr_private_segment_wavefront_offset 0
		.amdhsa_system_sgpr_workgroup_id_x 1
		.amdhsa_system_sgpr_workgroup_id_y 0
		.amdhsa_system_sgpr_workgroup_id_z 0
		.amdhsa_system_sgpr_workgroup_info 0
		.amdhsa_system_vgpr_workitem_id 0
		.amdhsa_next_free_vgpr 56
		.amdhsa_next_free_sgpr 44
		.amdhsa_reserve_vcc 1
		.amdhsa_reserve_flat_scratch 0
		.amdhsa_float_round_mode_32 0
		.amdhsa_float_round_mode_16_64 0
		.amdhsa_float_denorm_mode_32 3
		.amdhsa_float_denorm_mode_16_64 3
		.amdhsa_dx10_clamp 1
		.amdhsa_ieee_mode 1
		.amdhsa_fp16_overflow 0
		.amdhsa_exception_fp_ieee_invalid_op 0
		.amdhsa_exception_fp_denorm_src 0
		.amdhsa_exception_fp_ieee_div_zero 0
		.amdhsa_exception_fp_ieee_overflow 0
		.amdhsa_exception_fp_ieee_underflow 0
		.amdhsa_exception_fp_ieee_inexact 0
		.amdhsa_exception_int_div_zero 0
	.end_amdhsa_kernel
	.section	.text._ZN2at6native32elementwise_kernel_manual_unrollILi128ELi4EZNS0_15gpu_kernel_implIZZZNS0_15sin_kernel_cudaERNS_18TensorIteratorBaseEENKUlvE0_clEvENKUlvE_clEvEUldE_EEvS4_RKT_EUlibE_EEviT1_,"axG",@progbits,_ZN2at6native32elementwise_kernel_manual_unrollILi128ELi4EZNS0_15gpu_kernel_implIZZZNS0_15sin_kernel_cudaERNS_18TensorIteratorBaseEENKUlvE0_clEvENKUlvE_clEvEUldE_EEvS4_RKT_EUlibE_EEviT1_,comdat
.Lfunc_end6:
	.size	_ZN2at6native32elementwise_kernel_manual_unrollILi128ELi4EZNS0_15gpu_kernel_implIZZZNS0_15sin_kernel_cudaERNS_18TensorIteratorBaseEENKUlvE0_clEvENKUlvE_clEvEUldE_EEvS4_RKT_EUlibE_EEviT1_, .Lfunc_end6-_ZN2at6native32elementwise_kernel_manual_unrollILi128ELi4EZNS0_15gpu_kernel_implIZZZNS0_15sin_kernel_cudaERNS_18TensorIteratorBaseEENKUlvE0_clEvENKUlvE_clEvEUldE_EEvS4_RKT_EUlibE_EEviT1_
                                        ; -- End function
	.set _ZN2at6native32elementwise_kernel_manual_unrollILi128ELi4EZNS0_15gpu_kernel_implIZZZNS0_15sin_kernel_cudaERNS_18TensorIteratorBaseEENKUlvE0_clEvENKUlvE_clEvEUldE_EEvS4_RKT_EUlibE_EEviT1_.num_vgpr, 56
	.set _ZN2at6native32elementwise_kernel_manual_unrollILi128ELi4EZNS0_15gpu_kernel_implIZZZNS0_15sin_kernel_cudaERNS_18TensorIteratorBaseEENKUlvE0_clEvENKUlvE_clEvEUldE_EEvS4_RKT_EUlibE_EEviT1_.num_agpr, 0
	.set _ZN2at6native32elementwise_kernel_manual_unrollILi128ELi4EZNS0_15gpu_kernel_implIZZZNS0_15sin_kernel_cudaERNS_18TensorIteratorBaseEENKUlvE0_clEvENKUlvE_clEvEUldE_EEvS4_RKT_EUlibE_EEviT1_.numbered_sgpr, 44
	.set _ZN2at6native32elementwise_kernel_manual_unrollILi128ELi4EZNS0_15gpu_kernel_implIZZZNS0_15sin_kernel_cudaERNS_18TensorIteratorBaseEENKUlvE0_clEvENKUlvE_clEvEUldE_EEvS4_RKT_EUlibE_EEviT1_.num_named_barrier, 0
	.set _ZN2at6native32elementwise_kernel_manual_unrollILi128ELi4EZNS0_15gpu_kernel_implIZZZNS0_15sin_kernel_cudaERNS_18TensorIteratorBaseEENKUlvE0_clEvENKUlvE_clEvEUldE_EEvS4_RKT_EUlibE_EEviT1_.private_seg_size, 0
	.set _ZN2at6native32elementwise_kernel_manual_unrollILi128ELi4EZNS0_15gpu_kernel_implIZZZNS0_15sin_kernel_cudaERNS_18TensorIteratorBaseEENKUlvE0_clEvENKUlvE_clEvEUldE_EEvS4_RKT_EUlibE_EEviT1_.uses_vcc, 1
	.set _ZN2at6native32elementwise_kernel_manual_unrollILi128ELi4EZNS0_15gpu_kernel_implIZZZNS0_15sin_kernel_cudaERNS_18TensorIteratorBaseEENKUlvE0_clEvENKUlvE_clEvEUldE_EEvS4_RKT_EUlibE_EEviT1_.uses_flat_scratch, 0
	.set _ZN2at6native32elementwise_kernel_manual_unrollILi128ELi4EZNS0_15gpu_kernel_implIZZZNS0_15sin_kernel_cudaERNS_18TensorIteratorBaseEENKUlvE0_clEvENKUlvE_clEvEUldE_EEvS4_RKT_EUlibE_EEviT1_.has_dyn_sized_stack, 0
	.set _ZN2at6native32elementwise_kernel_manual_unrollILi128ELi4EZNS0_15gpu_kernel_implIZZZNS0_15sin_kernel_cudaERNS_18TensorIteratorBaseEENKUlvE0_clEvENKUlvE_clEvEUldE_EEvS4_RKT_EUlibE_EEviT1_.has_recursion, 0
	.set _ZN2at6native32elementwise_kernel_manual_unrollILi128ELi4EZNS0_15gpu_kernel_implIZZZNS0_15sin_kernel_cudaERNS_18TensorIteratorBaseEENKUlvE0_clEvENKUlvE_clEvEUldE_EEvS4_RKT_EUlibE_EEviT1_.has_indirect_call, 0
	.section	.AMDGPU.csdata,"",@progbits
; Kernel info:
; codeLenInByte = 45900
; TotalNumSgprs: 48
; NumVgprs: 56
; ScratchSize: 0
; MemoryBound: 1
; FloatMode: 240
; IeeeMode: 1
; LDSByteSize: 0 bytes/workgroup (compile time only)
; SGPRBlocks: 5
; VGPRBlocks: 13
; NumSGPRsForWavesPerEU: 48
; NumVGPRsForWavesPerEU: 56
; Occupancy: 4
; WaveLimiterHint : 0
; COMPUTE_PGM_RSRC2:SCRATCH_EN: 0
; COMPUTE_PGM_RSRC2:USER_SGPR: 6
; COMPUTE_PGM_RSRC2:TRAP_HANDLER: 0
; COMPUTE_PGM_RSRC2:TGID_X_EN: 1
; COMPUTE_PGM_RSRC2:TGID_Y_EN: 0
; COMPUTE_PGM_RSRC2:TGID_Z_EN: 0
; COMPUTE_PGM_RSRC2:TIDIG_COMP_CNT: 0
	.section	.text._ZN2at6native32elementwise_kernel_manual_unrollILi128ELi4EZNS0_15gpu_kernel_implIZZZNS0_15sin_kernel_cudaERNS_18TensorIteratorBaseEENKUlvE0_clEvENKUlvE_clEvEUldE_EEvS4_RKT_EUlibE0_EEviT1_,"axG",@progbits,_ZN2at6native32elementwise_kernel_manual_unrollILi128ELi4EZNS0_15gpu_kernel_implIZZZNS0_15sin_kernel_cudaERNS_18TensorIteratorBaseEENKUlvE0_clEvENKUlvE_clEvEUldE_EEvS4_RKT_EUlibE0_EEviT1_,comdat
	.globl	_ZN2at6native32elementwise_kernel_manual_unrollILi128ELi4EZNS0_15gpu_kernel_implIZZZNS0_15sin_kernel_cudaERNS_18TensorIteratorBaseEENKUlvE0_clEvENKUlvE_clEvEUldE_EEvS4_RKT_EUlibE0_EEviT1_ ; -- Begin function _ZN2at6native32elementwise_kernel_manual_unrollILi128ELi4EZNS0_15gpu_kernel_implIZZZNS0_15sin_kernel_cudaERNS_18TensorIteratorBaseEENKUlvE0_clEvENKUlvE_clEvEUldE_EEvS4_RKT_EUlibE0_EEviT1_
	.p2align	8
	.type	_ZN2at6native32elementwise_kernel_manual_unrollILi128ELi4EZNS0_15gpu_kernel_implIZZZNS0_15sin_kernel_cudaERNS_18TensorIteratorBaseEENKUlvE0_clEvENKUlvE_clEvEUldE_EEvS4_RKT_EUlibE0_EEviT1_,@function
_ZN2at6native32elementwise_kernel_manual_unrollILi128ELi4EZNS0_15gpu_kernel_implIZZZNS0_15sin_kernel_cudaERNS_18TensorIteratorBaseEENKUlvE0_clEvENKUlvE_clEvEUldE_EEvS4_RKT_EUlibE0_EEviT1_: ; @_ZN2at6native32elementwise_kernel_manual_unrollILi128ELi4EZNS0_15gpu_kernel_implIZZZNS0_15sin_kernel_cudaERNS_18TensorIteratorBaseEENKUlvE0_clEvENKUlvE_clEvEUldE_EEvS4_RKT_EUlibE0_EEviT1_
; %bb.0:
	s_load_dword s70, s[4:5], 0x0
	s_load_dword s33, s[4:5], 0x8
	s_add_u32 s34, s4, 8
	s_addc_u32 s35, s5, 0
	v_lshl_or_b32 v7, s6, 9, v0
	v_or_b32_e32 v12, 0x180, v7
	s_waitcnt lgkmcnt(0)
	s_add_i32 s72, s33, -1
	s_cmp_gt_u32 s72, 1
	v_cmp_le_i32_e32 vcc, s70, v12
	s_cselect_b64 s[40:41], -1, 0
	s_mov_b64 s[6:7], 0
	s_mov_b64 s[28:29], 0
	s_and_saveexec_b64 s[0:1], vcc
	s_xor_b64 s[42:43], exec, s[0:1]
	s_cbranch_execz .LBB7_1102
; %bb.1:
	v_mov_b32_e32 v0, 0
	global_load_ushort v0, v0, s[34:35] offset:345
	s_load_dwordx4 s[36:39], s[34:35], 0x4
	s_load_dwordx2 s[44:45], s[34:35], 0x14
	s_load_dwordx4 s[28:31], s[34:35], 0xc4
	s_load_dwordx4 s[24:27], s[34:35], 0x148
	s_cmp_lg_u32 s33, 0
	s_cselect_b64 s[50:51], -1, 0
	s_add_u32 s48, s34, 0xc4
	s_addc_u32 s49, s35, 0
	s_min_u32 s75, s72, 15
	s_cmp_gt_u32 s33, 1
	s_cselect_b64 s[46:47], -1, 0
	v_cmp_gt_i32_e32 vcc, s70, v7
	s_mov_b64 s[2:3], -1
	s_mov_b64 s[60:61], 0
	s_mov_b64 s[54:55], 0
	;; [unrolled: 1-line block ×3, first 2 shown]
	s_waitcnt vmcnt(0)
	v_readfirstlane_b32 s73, v0
	s_and_b32 s0, 0xffff, s73
	s_lshr_b32 s74, s0, 8
	s_and_saveexec_b64 s[56:57], vcc
	s_cbranch_execz .LBB7_270
; %bb.2:
	s_andn2_b64 vcc, exec, s[40:41]
	s_cbranch_vccnz .LBB7_7
; %bb.3:
	s_andn2_b64 vcc, exec, s[50:51]
	s_cbranch_vccnz .LBB7_8
; %bb.4:
	s_add_i32 s59, s75, 1
	s_cmp_eq_u32 s72, 2
	s_cbranch_scc1 .LBB7_9
; %bb.5:
	s_and_b32 s58, s59, 28
	v_mov_b32_e32 v0, 0
	s_mov_b32 s62, 0
	s_mov_b64 s[52:53], s[34:35]
	s_mov_b64 s[54:55], s[48:49]
	v_mov_b32_e32 v2, 0
	v_mov_b32_e32 v1, v7
.LBB7_6:                                ; =>This Inner Loop Header: Depth=1
	s_load_dwordx8 s[16:23], s[52:53], 0x4
	s_load_dwordx4 s[0:3], s[52:53], 0x24
	s_load_dwordx8 s[8:15], s[54:55], 0x0
	s_add_u32 s52, s52, 48
	s_addc_u32 s53, s53, 0
	s_waitcnt lgkmcnt(0)
	v_mul_hi_u32 v3, s17, v1
	s_add_i32 s62, s62, 4
	s_add_u32 s54, s54, 32
	s_addc_u32 s55, s55, 0
	v_add_u32_e32 v3, v1, v3
	v_lshrrev_b32_e32 v3, s18, v3
	v_mul_lo_u32 v4, v3, s16
	v_mul_hi_u32 v5, s20, v3
	s_cmp_lg_u32 s58, s62
	v_sub_u32_e32 v1, v1, v4
	v_add_u32_e32 v4, v3, v5
	v_mul_lo_u32 v5, v1, s8
	v_mul_lo_u32 v6, v1, s9
	v_lshrrev_b32_e32 v1, s21, v4
	v_mul_lo_u32 v4, v1, s19
	v_mul_hi_u32 v8, s23, v1
	v_sub_u32_e32 v3, v3, v4
	v_add_u32_e32 v4, v1, v8
	v_lshrrev_b32_e32 v4, s0, v4
	v_mul_hi_u32 v9, s2, v4
	v_mul_lo_u32 v10, v4, s22
	v_mul_lo_u32 v8, v3, s10
	;; [unrolled: 1-line block ×3, first 2 shown]
	v_sub_u32_e32 v10, v1, v10
	v_add_u32_e32 v1, v4, v9
	v_lshrrev_b32_e32 v1, s3, v1
	v_mul_lo_u32 v9, v1, s1
	v_mul_lo_u32 v11, v10, s12
	;; [unrolled: 1-line block ×3, first 2 shown]
	v_add3_u32 v2, v5, v2, v8
	v_sub_u32_e32 v4, v4, v9
	v_mul_lo_u32 v9, v4, s14
	v_mul_lo_u32 v4, v4, s15
	v_add3_u32 v0, v6, v0, v3
	v_add3_u32 v2, v11, v2, v9
	;; [unrolled: 1-line block ×3, first 2 shown]
	s_cbranch_scc1 .LBB7_6
	s_branch .LBB7_10
.LBB7_7:
                                        ; implicit-def: $vgpr2
                                        ; implicit-def: $vgpr0
	s_branch .LBB7_14
.LBB7_8:
	v_mov_b32_e32 v2, 0
	v_mov_b32_e32 v0, 0
	s_branch .LBB7_13
.LBB7_9:
	s_mov_b32 s58, 0
	v_mov_b32_e32 v2, 0
	v_mov_b32_e32 v0, 0
	;; [unrolled: 1-line block ×3, first 2 shown]
.LBB7_10:
	s_and_b32 s8, s59, 3
	s_cmp_eq_u32 s8, 0
	s_cbranch_scc1 .LBB7_13
; %bb.11:
	s_lshl_b32 s0, s58, 3
	s_add_u32 s0, s34, s0
	s_addc_u32 s1, s35, 0
	s_add_u32 s0, s0, 0xc4
	s_addc_u32 s1, s1, 0
	s_mul_i32 s2, s58, 12
	s_add_u32 s2, s34, s2
	s_addc_u32 s3, s35, 0
.LBB7_12:                               ; =>This Inner Loop Header: Depth=1
	s_load_dwordx2 s[10:11], s[2:3], 0x4
	s_load_dword s9, s[2:3], 0xc
	s_load_dwordx2 s[12:13], s[0:1], 0x0
	s_add_u32 s2, s2, 12
	s_addc_u32 s3, s3, 0
	s_waitcnt lgkmcnt(0)
	v_mul_hi_u32 v3, s11, v1
	s_add_u32 s0, s0, 8
	s_addc_u32 s1, s1, 0
	s_add_i32 s8, s8, -1
	v_add_u32_e32 v3, v1, v3
	v_lshrrev_b32_e32 v4, s9, v3
	v_mul_lo_u32 v3, v4, s10
	s_cmp_lg_u32 s8, 0
	v_sub_u32_e32 v1, v1, v3
	v_mad_u64_u32 v[2:3], s[10:11], v1, s12, v[2:3]
	v_mad_u64_u32 v[0:1], s[10:11], v1, s13, v[0:1]
	v_mov_b32_e32 v1, v4
	s_cbranch_scc1 .LBB7_12
.LBB7_13:
	s_cbranch_execnz .LBB7_16
.LBB7_14:
	s_waitcnt lgkmcnt(0)
	v_mul_hi_u32 v0, s37, v7
	s_andn2_b64 vcc, exec, s[46:47]
	v_add_u32_e32 v0, v7, v0
	v_lshrrev_b32_e32 v1, s38, v0
	v_mul_lo_u32 v0, v1, s36
	v_sub_u32_e32 v0, v7, v0
	v_mul_lo_u32 v2, v0, s28
	v_mul_lo_u32 v0, v0, s29
	s_cbranch_vccnz .LBB7_16
; %bb.15:
	v_mul_hi_u32 v3, s44, v1
	v_add_u32_e32 v3, v1, v3
	v_lshrrev_b32_e32 v3, s45, v3
	v_mul_lo_u32 v3, v3, s39
	v_sub_u32_e32 v1, v1, v3
	v_mad_u64_u32 v[2:3], s[0:1], v1, s30, v[2:3]
	v_mad_u64_u32 v[0:1], s[0:1], v1, s31, v[0:1]
.LBB7_16:
	s_waitcnt lgkmcnt(0)
	v_mov_b32_e32 v1, s27
	s_and_b32 s12, 0xffff, s74
	v_add_co_u32_e32 v0, vcc, s26, v0
	s_cmp_lt_i32 s12, 11
	v_addc_co_u32_e32 v1, vcc, 0, v1, vcc
	s_cbranch_scc1 .LBB7_23
; %bb.17:
	s_cmp_gt_i32 s12, 25
	s_cbranch_scc0 .LBB7_36
; %bb.18:
	s_cmp_gt_i32 s12, 28
	s_cbranch_scc0 .LBB7_39
	;; [unrolled: 3-line block ×4, first 2 shown]
; %bb.21:
	s_cmp_eq_u32 s12, 46
	s_mov_b64 s[8:9], 0
	s_cbranch_scc0 .LBB7_45
; %bb.22:
	global_load_dword v3, v[0:1], off
	s_mov_b64 s[0:1], -1
	s_mov_b64 s[2:3], 0
	s_waitcnt vmcnt(0)
	v_lshlrev_b32_e32 v3, 16, v3
	v_cvt_f64_f32_e32 v[3:4], v3
	s_branch .LBB7_47
.LBB7_23:
	s_mov_b64 s[2:3], 0
                                        ; implicit-def: $vgpr3_vgpr4
	s_mov_b64 s[0:1], 0
	s_cbranch_execnz .LBB7_220
.LBB7_24:
	s_andn2_b64 vcc, exec, s[0:1]
	s_cbranch_vccnz .LBB7_267
.LBB7_25:
	s_mov_b32 s0, 0
	s_mov_b32 s1, 0x41d00000
	s_waitcnt vmcnt(0)
	v_cmp_nlt_f64_e64 s[0:1], |v[3:4]|, s[0:1]
                                        ; implicit-def: $vgpr8
                                        ; implicit-def: $vgpr0_vgpr1
                                        ; implicit-def: $vgpr5_vgpr6
	s_and_saveexec_b64 s[8:9], s[0:1]
	s_xor_b64 s[8:9], exec, s[8:9]
	s_cbranch_execz .LBB7_27
; %bb.26:
	v_trig_preop_f64 v[0:1], |v[3:4]|, 0
	s_mov_b32 s0, 0
	s_mov_b32 s1, 0x7b000000
	s_movk_i32 s10, 0xff80
	v_ldexp_f64 v[8:9], |v[3:4]|, s10
	v_cmp_ge_f64_e64 vcc, |v[3:4]|, s[0:1]
	v_trig_preop_f64 v[5:6], |v[3:4]|, 1
	v_and_b32_e32 v10, 0x7fffffff, v4
	v_trig_preop_f64 v[16:17], |v[3:4]|, 2
	s_mov_b32 s0, 0
	s_mov_b32 s1, 0x7ff00000
	v_mov_b32_e32 v27, 0x40100000
	v_mov_b32_e32 v26, 0
	v_cndmask_b32_e32 v9, v10, v9, vcc
	v_cndmask_b32_e32 v8, v3, v8, vcc
	s_mov_b32 s10, 0x33145c07
	v_mul_f64 v[10:11], v[0:1], v[8:9]
	s_mov_b32 s11, 0x3c91a626
	v_mul_f64 v[12:13], v[5:6], v[8:9]
	v_mul_f64 v[22:23], v[16:17], v[8:9]
	v_fma_f64 v[0:1], v[0:1], v[8:9], -v[10:11]
	v_fma_f64 v[5:6], v[5:6], v[8:9], -v[12:13]
	;; [unrolled: 1-line block ×3, first 2 shown]
	v_add_f64 v[14:15], v[12:13], v[0:1]
	v_add_f64 v[18:19], v[14:15], -v[12:13]
	v_add_f64 v[24:25], v[10:11], v[14:15]
	v_add_f64 v[20:21], v[14:15], -v[18:19]
	v_add_f64 v[0:1], v[0:1], -v[18:19]
	v_add_f64 v[18:19], v[22:23], v[5:6]
	v_add_f64 v[10:11], v[24:25], -v[10:11]
	v_add_f64 v[12:13], v[12:13], -v[20:21]
	v_ldexp_f64 v[20:21], v[24:25], -2
	v_add_f64 v[28:29], v[18:19], -v[22:23]
	v_add_f64 v[10:11], v[14:15], -v[10:11]
	v_add_f64 v[0:1], v[0:1], v[12:13]
	v_fract_f64_e32 v[12:13], v[20:21]
	v_cmp_neq_f64_e64 vcc, |v[20:21]|, s[0:1]
	v_add_f64 v[5:6], v[5:6], -v[28:29]
	v_add_f64 v[14:15], v[18:19], v[0:1]
	v_ldexp_f64 v[12:13], v[12:13], 2
	v_add_f64 v[20:21], v[10:11], v[14:15]
	v_cndmask_b32_e32 v13, 0, v13, vcc
	v_cndmask_b32_e32 v12, 0, v12, vcc
	v_add_f64 v[30:31], v[14:15], -v[18:19]
	v_add_f64 v[24:25], v[20:21], v[12:13]
	v_add_f64 v[10:11], v[20:21], -v[10:11]
	v_add_f64 v[32:33], v[14:15], -v[30:31]
	;; [unrolled: 1-line block ×3, first 2 shown]
	v_cmp_gt_f64_e32 vcc, 0, v[24:25]
	v_add_f64 v[24:25], v[18:19], -v[28:29]
	v_add_f64 v[10:11], v[14:15], -v[10:11]
	;; [unrolled: 1-line block ×3, first 2 shown]
	v_cndmask_b32_e32 v27, 0, v27, vcc
	v_add_f64 v[12:13], v[12:13], v[26:27]
	v_add_f64 v[24:25], v[22:23], -v[24:25]
	v_add_f64 v[0:1], v[0:1], v[18:19]
	v_add_f64 v[34:35], v[20:21], v[12:13]
	v_add_f64 v[5:6], v[5:6], v[24:25]
	v_cvt_i32_f64_e32 v29, v[34:35]
	v_add_f64 v[0:1], v[5:6], v[0:1]
	v_cvt_f64_i32_e32 v[27:28], v29
	v_add_f64 v[12:13], v[12:13], -v[27:28]
	v_add_f64 v[0:1], v[8:9], v[0:1]
	v_add_f64 v[5:6], v[20:21], v[12:13]
	;; [unrolled: 1-line block ×3, first 2 shown]
	v_mov_b32_e32 v11, 0x3ff00000
	v_add_f64 v[8:9], v[5:6], -v[12:13]
	v_cmp_le_f64_e32 vcc, 0.5, v[5:6]
	v_add_f64 v[9:10], v[20:21], -v[8:9]
	v_cndmask_b32_e32 v27, 0, v11, vcc
	v_add_f64 v[5:6], v[5:6], -v[26:27]
	v_addc_co_u32_e64 v8, s[0:1], 0, v29, vcc
	s_mov_b32 s0, 0x54442d18
	s_mov_b32 s1, 0x3ff921fb
	v_add_f64 v[0:1], v[0:1], v[9:10]
	v_add_f64 v[9:10], v[5:6], v[0:1]
	v_mul_f64 v[11:12], v[9:10], s[0:1]
	v_add_f64 v[5:6], v[9:10], -v[5:6]
	v_fma_f64 v[13:14], v[9:10], s[0:1], -v[11:12]
	v_add_f64 v[0:1], v[0:1], -v[5:6]
	v_fma_f64 v[5:6], v[9:10], s[10:11], v[13:14]
	v_fma_f64 v[5:6], v[0:1], s[0:1], v[5:6]
	v_add_f64 v[0:1], v[11:12], v[5:6]
	v_add_f64 v[9:10], v[0:1], -v[11:12]
	v_add_f64 v[5:6], v[5:6], -v[9:10]
.LBB7_27:
	s_andn2_saveexec_b64 s[0:1], s[8:9]
	s_cbranch_execz .LBB7_29
; %bb.28:
	s_mov_b32 s8, 0x6dc9c883
	s_mov_b32 s9, 0x3fe45f30
	v_mul_f64 v[0:1], |v[3:4]|, s[8:9]
	s_mov_b32 s8, 0x54442d18
	s_mov_b32 s9, 0xbff921fb
	s_mov_b32 s11, 0xbc91a626
	s_mov_b32 s10, 0x33145c00
	v_rndne_f64_e32 v[8:9], v[0:1]
	v_fma_f64 v[0:1], v[8:9], s[8:9], |v[3:4]|
	v_mul_f64 v[5:6], v[8:9], s[10:11]
	s_mov_b32 s8, 0x252049c0
	s_mov_b32 s9, 0xb97b839a
	v_fma_f64 v[14:15], v[8:9], s[10:11], v[0:1]
	v_add_f64 v[10:11], v[0:1], v[5:6]
	s_mov_b32 s11, 0x3c91a626
	v_add_f64 v[12:13], v[0:1], -v[10:11]
	v_add_f64 v[10:11], v[10:11], -v[14:15]
	v_add_f64 v[0:1], v[12:13], v[5:6]
	v_fma_f64 v[5:6], v[8:9], s[10:11], v[5:6]
	v_add_f64 v[0:1], v[10:11], v[0:1]
	v_add_f64 v[0:1], v[0:1], -v[5:6]
	v_fma_f64 v[5:6], v[8:9], s[8:9], v[0:1]
	v_cvt_i32_f64_e32 v8, v[8:9]
	v_add_f64 v[0:1], v[14:15], v[5:6]
	v_add_f64 v[10:11], v[0:1], -v[14:15]
	v_add_f64 v[5:6], v[5:6], -v[10:11]
.LBB7_29:
	s_or_b64 exec, exec, s[0:1]
	v_mul_f64 v[9:10], v[0:1], v[0:1]
	s_mov_b32 s0, 0xf9a43bb8
	v_mov_b32_e32 v12, 0xb42fdfa7
	v_mov_b32_e32 v13, 0xbe5ae600
	s_mov_b32 s1, 0x3de5e0b2
	s_mov_b32 s8, 0x796cde01
	v_mov_b32_e32 v11, 0x9037ab78
	s_mov_b32 s9, 0x3ec71de3
	v_fma_f64 v[13:14], v[9:10], s[0:1], v[12:13]
	s_mov_b32 s0, 0x46cc5e42
	v_mov_b32_e32 v12, 0x3e21eeb6
	s_mov_b32 s1, 0xbda907db
	v_fma_f64 v[11:12], v[9:10], s[0:1], v[11:12]
	v_mul_f64 v[15:16], v[9:10], 0.5
	s_mov_b32 s0, 0xa17f65f6
	s_mov_b32 s10, 0x19e83e5c
	v_fma_f64 v[13:14], v[9:10], v[13:14], s[8:9]
	s_mov_b32 s1, 0xbe927e4f
	s_mov_b32 s11, 0xbf2a01a0
	;; [unrolled: 1-line block ×3, first 2 shown]
	v_fma_f64 v[11:12], v[9:10], v[11:12], s[0:1]
	v_add_f64 v[17:18], -v[15:16], 1.0
	s_mov_b32 s0, 0x11110bb3
	s_mov_b32 s9, 0x3efa01a0
	v_fma_f64 v[13:14], v[9:10], v[13:14], s[10:11]
	s_mov_b32 s1, 0x3f811111
	v_mul_f64 v[19:20], v[5:6], 0.5
	v_mul_f64 v[21:22], v[0:1], -v[9:10]
	v_fma_f64 v[11:12], v[9:10], v[11:12], s[8:9]
	v_add_f64 v[23:24], -v[17:18], 1.0
	s_and_b32 s14, s73, 0xff
	s_cmp_lt_i32 s14, 11
	v_fma_f64 v[13:14], v[9:10], v[13:14], s[0:1]
	s_mov_b32 s0, 0x16c16967
	s_mov_b32 s1, 0xbf56c16c
	v_fma_f64 v[11:12], v[9:10], v[11:12], s[0:1]
	v_add_f64 v[15:16], v[23:24], -v[15:16]
	s_mov_b32 s1, 0x3fa55555
	s_mov_b32 s0, 0x55555555
	v_fma_f64 v[13:14], v[21:22], v[13:14], v[19:20]
	v_mul_f64 v[19:20], v[9:10], v[9:10]
	v_fma_f64 v[11:12], v[9:10], v[11:12], s[0:1]
	v_fma_f64 v[15:16], v[0:1], -v[5:6], v[15:16]
	s_mov_b32 s1, 0xbfc55555
	v_fma_f64 v[5:6], v[9:10], v[13:14], -v[5:6]
	v_fma_f64 v[9:10], v[19:20], v[11:12], v[15:16]
	v_mov_b32_e32 v11, s25
	v_fma_f64 v[5:6], v[21:22], s[0:1], v[5:6]
	s_movk_i32 s0, 0x1f8
	v_cmp_class_f64_e64 s[0:1], v[3:4], s0
	v_add_f64 v[9:10], v[17:18], v[9:10]
	v_add_f64 v[0:1], v[0:1], -v[5:6]
	v_and_b32_e32 v5, 1, v8
	v_lshlrev_b32_e32 v6, 30, v8
	v_cmp_eq_u32_e32 vcc, 0, v5
	v_xor_b32_e32 v3, v6, v4
	v_and_b32_e32 v3, 0x80000000, v3
	v_mov_b32_e32 v8, 0x7ff80000
	v_cndmask_b32_e32 v1, v10, v1, vcc
	v_cndmask_b32_e32 v0, v9, v0, vcc
	v_xor_b32_e32 v1, v1, v3
	v_add_co_u32_e32 v4, vcc, s24, v2
	v_cndmask_b32_e64 v0, 0, v0, s[0:1]
	v_cndmask_b32_e64 v1, v8, v1, s[0:1]
	v_addc_co_u32_e32 v5, vcc, 0, v11, vcc
	s_cbranch_scc1 .LBB7_37
; %bb.30:
	s_and_b32 s15, 0xffff, s14
	s_cmp_gt_i32 s15, 25
	s_cbranch_scc0 .LBB7_40
; %bb.31:
	s_cmp_gt_i32 s15, 28
	s_cbranch_scc0 .LBB7_42
; %bb.32:
	;; [unrolled: 3-line block ×4, first 2 shown]
	s_mov_b64 s[10:11], 0
	s_mov_b64 s[0:1], -1
	s_cmp_eq_u32 s15, 46
	s_mov_b64 s[8:9], 0
	s_cbranch_scc0 .LBB7_51
; %bb.35:
	v_cvt_f32_f64_e32 v2, v[0:1]
	s_movk_i32 s0, 0x7fff
	v_mov_b32_e32 v3, 0x7fc0
	s_mov_b64 s[8:9], -1
	v_bfe_u32 v6, v2, 16, 1
	v_cmp_o_f32_e32 vcc, v2, v2
	v_add3_u32 v2, v2, v6, s0
	v_cndmask_b32_sdwa v2, v3, v2, vcc dst_sel:DWORD dst_unused:UNUSED_PAD src0_sel:DWORD src1_sel:WORD_1
	global_store_dword v[4:5], v2, off
	s_mov_b64 s[0:1], 0
	s_branch .LBB7_51
.LBB7_36:
	s_mov_b64 s[2:3], 0
	s_mov_b64 s[0:1], 0
                                        ; implicit-def: $vgpr3_vgpr4
	s_cbranch_execnz .LBB7_187
	s_branch .LBB7_219
.LBB7_37:
	s_mov_b64 s[0:1], 0
	s_mov_b64 s[8:9], 0
	s_cbranch_execnz .LBB7_120
.LBB7_38:
	s_andn2_b64 vcc, exec, s[8:9]
	s_cbranch_vccnz .LBB7_268
	s_branch .LBB7_158
.LBB7_39:
	s_mov_b64 s[8:9], -1
	s_mov_b64 s[2:3], 0
	s_mov_b64 s[0:1], 0
                                        ; implicit-def: $vgpr3_vgpr4
	s_branch .LBB7_166
.LBB7_40:
	s_mov_b64 s[10:11], -1
	s_mov_b64 s[0:1], 0
	s_mov_b64 s[8:9], 0
	s_branch .LBB7_78
.LBB7_41:
	s_mov_b64 s[8:9], -1
	s_mov_b64 s[2:3], 0
	s_mov_b64 s[0:1], 0
                                        ; implicit-def: $vgpr3_vgpr4
	s_branch .LBB7_161
.LBB7_42:
	s_mov_b64 s[10:11], -1
	s_mov_b64 s[0:1], 0
	s_mov_b64 s[8:9], 0
	s_branch .LBB7_61
.LBB7_43:
	s_mov_b64 s[8:9], -1
	s_mov_b64 s[2:3], 0
	s_branch .LBB7_46
.LBB7_44:
	s_mov_b64 s[10:11], -1
	s_mov_b64 s[0:1], 0
	s_mov_b64 s[8:9], 0
	s_branch .LBB7_57
.LBB7_45:
	s_mov_b64 s[2:3], -1
.LBB7_46:
	s_mov_b64 s[0:1], 0
                                        ; implicit-def: $vgpr3_vgpr4
.LBB7_47:
	s_and_b64 vcc, exec, s[8:9]
	s_cbranch_vccz .LBB7_160
; %bb.48:
	s_cmp_eq_u32 s12, 44
	s_cbranch_scc0 .LBB7_159
; %bb.49:
	global_load_ubyte v5, v[0:1], off
	s_movk_i32 s2, 0xff
	v_bfrev_b32_e32 v6, 4
	v_mov_b32_e32 v8, 0x7ff80000
	v_bfrev_b32_e32 v9, 28
	s_mov_b64 s[0:1], -1
	s_waitcnt vmcnt(0)
	v_lshlrev_b32_e32 v3, 23, v5
	v_cvt_f64_f32_e32 v[3:4], v3
	v_cmp_ne_u32_e32 vcc, s2, v5
	s_mov_b64 s[2:3], 0
	v_cndmask_b32_e32 v3, v6, v3, vcc
	v_cndmask_b32_e32 v4, v8, v4, vcc
	v_cmp_ne_u32_e32 vcc, 0, v5
	v_cndmask_b32_e32 v4, v9, v4, vcc
	v_cndmask_b32_e32 v3, 0, v3, vcc
	s_branch .LBB7_160
.LBB7_50:
	s_mov_b64 s[10:11], -1
	s_mov_b64 s[0:1], 0
	s_mov_b64 s[8:9], 0
.LBB7_51:
	s_and_b64 vcc, exec, s[10:11]
	s_cbranch_vccz .LBB7_56
; %bb.52:
	s_cmp_eq_u32 s15, 44
	s_mov_b64 s[0:1], -1
	s_cbranch_scc0 .LBB7_56
; %bb.53:
	v_cvt_f32_f64_e32 v2, v[0:1]
	s_movk_i32 s0, 0xff
	v_mov_b32_e32 v6, 0xff
	v_bfe_u32 v3, v2, 23, 8
	v_cmp_ne_u32_e32 vcc, s0, v3
	s_and_saveexec_b64 s[8:9], vcc
; %bb.54:
	s_mov_b32 s0, 0x3fffff
	v_lshrrev_b32_e32 v6, 23, v2
	v_and_b32_e32 v8, 0x400000, v2
	v_and_or_b32 v2, v2, s0, v3
	v_cmp_ne_u32_e32 vcc, 0, v8
	v_cmp_ne_u32_e64 s[0:1], 0, v2
	s_and_b64 s[0:1], vcc, s[0:1]
	v_cndmask_b32_e64 v2, 0, 1, s[0:1]
	v_add_u32_e32 v6, v6, v2
; %bb.55:
	s_or_b64 exec, exec, s[8:9]
	s_mov_b64 s[8:9], -1
	s_mov_b64 s[0:1], 0
	global_store_byte v[4:5], v6, off
.LBB7_56:
	s_mov_b64 s[10:11], 0
.LBB7_57:
	s_and_b64 vcc, exec, s[10:11]
	s_cbranch_vccz .LBB7_60
; %bb.58:
	s_cmp_eq_u32 s15, 29
	s_mov_b64 s[0:1], -1
	s_cbranch_scc0 .LBB7_60
; %bb.59:
	v_trunc_f64_e32 v[2:3], v[0:1]
	s_movk_i32 s0, 0xffe0
	s_mov_b64 s[8:9], -1
	s_mov_b64 s[10:11], 0
	v_ldexp_f64 v[8:9], v[2:3], s0
	s_mov_b32 s0, 0
	s_mov_b32 s1, 0xc1f00000
	v_floor_f64_e32 v[8:9], v[8:9]
	v_fma_f64 v[2:3], v[8:9], s[0:1], v[2:3]
	v_cvt_u32_f64_e32 v9, v[8:9]
	s_mov_b64 s[0:1], 0
	v_cvt_u32_f64_e32 v8, v[2:3]
	global_store_dwordx2 v[4:5], v[8:9], off
	s_branch .LBB7_61
.LBB7_60:
	s_mov_b64 s[10:11], 0
.LBB7_61:
	s_and_b64 vcc, exec, s[10:11]
	s_cbranch_vccz .LBB7_77
; %bb.62:
	s_cmp_lt_i32 s15, 27
	s_mov_b64 s[8:9], -1
	s_cbranch_scc1 .LBB7_68
; %bb.63:
	v_cvt_u32_f64_e32 v2, v[0:1]
	s_cmp_gt_i32 s15, 27
	s_cbranch_scc0 .LBB7_65
; %bb.64:
	s_mov_b64 s[8:9], 0
	global_store_dword v[4:5], v2, off
.LBB7_65:
	s_andn2_b64 vcc, exec, s[8:9]
	s_cbranch_vccnz .LBB7_67
; %bb.66:
	global_store_short v[4:5], v2, off
.LBB7_67:
	s_mov_b64 s[8:9], 0
.LBB7_68:
	s_andn2_b64 vcc, exec, s[8:9]
	s_cbranch_vccnz .LBB7_76
; %bb.69:
	v_cvt_f32_f64_e32 v2, v[0:1]
	s_mov_b32 s8, 0x43800000
	v_mov_b32_e32 v6, 0x80
	v_and_b32_e32 v3, 0x7fffffff, v2
	v_cmp_gt_u32_e32 vcc, s8, v3
	s_and_saveexec_b64 s[8:9], vcc
	s_cbranch_execz .LBB7_75
; %bb.70:
	s_mov_b32 s10, 0x3bffffff
	v_cmp_lt_u32_e32 vcc, s10, v3
	s_mov_b64 s[10:11], 0
                                        ; implicit-def: $vgpr3
	s_and_saveexec_b64 s[12:13], vcc
	s_xor_b64 s[12:13], exec, s[12:13]
	s_cbranch_execz .LBB7_315
; %bb.71:
	v_bfe_u32 v3, v2, 20, 1
	s_mov_b32 s16, 0x487ffff
	v_add3_u32 v3, v2, v3, s16
	s_mov_b64 s[10:11], exec
	v_lshrrev_b32_e32 v3, 20, v3
	s_andn2_saveexec_b64 s[12:13], s[12:13]
	s_cbranch_execnz .LBB7_316
.LBB7_72:
	s_or_b64 exec, exec, s[12:13]
	v_mov_b32_e32 v6, 0
	s_and_saveexec_b64 s[12:13], s[10:11]
.LBB7_73:
	v_lshrrev_b32_e32 v2, 24, v2
	s_movk_i32 s10, 0x80
	v_and_or_b32 v6, v2, s10, v3
.LBB7_74:
	s_or_b64 exec, exec, s[12:13]
.LBB7_75:
	s_or_b64 exec, exec, s[8:9]
	global_store_byte v[4:5], v6, off
.LBB7_76:
	s_mov_b64 s[8:9], -1
.LBB7_77:
	s_mov_b64 s[10:11], 0
.LBB7_78:
	s_and_b64 vcc, exec, s[10:11]
	s_cbranch_vccz .LBB7_119
; %bb.79:
	s_cmp_gt_i32 s15, 22
	s_mov_b64 s[10:11], -1
	s_cbranch_scc0 .LBB7_111
; %bb.80:
	s_cmp_lt_i32 s15, 24
	s_mov_b64 s[8:9], -1
	s_cbranch_scc1 .LBB7_100
; %bb.81:
	s_cmp_gt_i32 s15, 24
	s_cbranch_scc0 .LBB7_89
; %bb.82:
	v_cvt_f32_f64_e32 v2, v[0:1]
	s_mov_b32 s8, 0x47800000
	v_mov_b32_e32 v6, 0x80
	v_and_b32_e32 v3, 0x7fffffff, v2
	v_cmp_gt_u32_e32 vcc, s8, v3
	s_and_saveexec_b64 s[8:9], vcc
	s_cbranch_execz .LBB7_88
; %bb.83:
	s_mov_b32 s10, 0x37ffffff
	v_cmp_lt_u32_e32 vcc, s10, v3
	s_mov_b64 s[10:11], 0
                                        ; implicit-def: $vgpr3
	s_and_saveexec_b64 s[12:13], vcc
	s_xor_b64 s[12:13], exec, s[12:13]
	s_cbranch_execz .LBB7_319
; %bb.84:
	v_bfe_u32 v3, v2, 21, 1
	s_mov_b32 s16, 0x88fffff
	v_add3_u32 v3, v2, v3, s16
	s_mov_b64 s[10:11], exec
	v_lshrrev_b32_e32 v3, 21, v3
	s_andn2_saveexec_b64 s[12:13], s[12:13]
	s_cbranch_execnz .LBB7_320
.LBB7_85:
	s_or_b64 exec, exec, s[12:13]
	v_mov_b32_e32 v6, 0
	s_and_saveexec_b64 s[12:13], s[10:11]
.LBB7_86:
	v_lshrrev_b32_e32 v2, 24, v2
	s_movk_i32 s10, 0x80
	v_and_or_b32 v6, v2, s10, v3
.LBB7_87:
	s_or_b64 exec, exec, s[12:13]
.LBB7_88:
	s_or_b64 exec, exec, s[8:9]
	s_mov_b64 s[8:9], 0
	global_store_byte v[4:5], v6, off
.LBB7_89:
	s_and_b64 vcc, exec, s[8:9]
	s_cbranch_vccz .LBB7_99
; %bb.90:
	v_cvt_f32_f64_e32 v2, v[0:1]
	s_mov_b32 s8, 0x43f00000
                                        ; implicit-def: $vgpr3
	v_and_b32_e32 v6, 0x7fffffff, v2
	v_cmp_gt_u32_e32 vcc, s8, v6
	s_and_saveexec_b64 s[8:9], vcc
	s_xor_b64 s[8:9], exec, s[8:9]
	s_cbranch_execz .LBB7_96
; %bb.91:
	s_mov_b32 s10, 0x3c7fffff
	v_cmp_lt_u32_e32 vcc, s10, v6
                                        ; implicit-def: $vgpr3
	s_and_saveexec_b64 s[10:11], vcc
	s_xor_b64 s[10:11], exec, s[10:11]
; %bb.92:
	v_bfe_u32 v3, v2, 20, 1
	s_mov_b32 s12, 0x407ffff
	v_add3_u32 v3, v2, v3, s12
	v_lshrrev_b32_e32 v6, 20, v3
	v_and_b32_e32 v3, 0xff00000, v3
	s_mov_b32 s12, 0x7f00000
	v_mov_b32_e32 v8, 0x7e
	v_cmp_ne_u32_e32 vcc, s12, v3
	v_cndmask_b32_e32 v3, v8, v6, vcc
; %bb.93:
	s_andn2_saveexec_b64 s[10:11], s[10:11]
; %bb.94:
	s_mov_b32 s12, 0x46800000
	v_add_f32_e64 v3, |v2|, s12
; %bb.95:
	s_or_b64 exec, exec, s[10:11]
                                        ; implicit-def: $vgpr6
.LBB7_96:
	s_andn2_saveexec_b64 s[8:9], s[8:9]
; %bb.97:
	s_mov_b32 s10, 0x7f800000
	v_mov_b32_e32 v3, 0x7e
	v_mov_b32_e32 v8, 0x7f
	v_cmp_lt_u32_e32 vcc, s10, v6
	v_cndmask_b32_e32 v3, v3, v8, vcc
; %bb.98:
	s_or_b64 exec, exec, s[8:9]
	v_lshrrev_b32_e32 v2, 24, v2
	s_movk_i32 s8, 0x80
	v_and_or_b32 v2, v2, s8, v3
	global_store_byte v[4:5], v2, off
.LBB7_99:
	s_mov_b64 s[8:9], 0
.LBB7_100:
	s_andn2_b64 vcc, exec, s[8:9]
	s_cbranch_vccnz .LBB7_110
; %bb.101:
	v_cvt_f32_f64_e32 v2, v[0:1]
	s_mov_b32 s8, 0x47800000
                                        ; implicit-def: $vgpr3
	v_and_b32_e32 v6, 0x7fffffff, v2
	v_cmp_gt_u32_e32 vcc, s8, v6
	s_and_saveexec_b64 s[8:9], vcc
	s_xor_b64 s[8:9], exec, s[8:9]
	s_cbranch_execz .LBB7_107
; %bb.102:
	s_mov_b32 s10, 0x387fffff
	v_cmp_lt_u32_e32 vcc, s10, v6
                                        ; implicit-def: $vgpr3
	s_and_saveexec_b64 s[10:11], vcc
	s_xor_b64 s[10:11], exec, s[10:11]
; %bb.103:
	v_bfe_u32 v3, v2, 21, 1
	s_mov_b32 s12, 0x80fffff
	v_add3_u32 v3, v2, v3, s12
	v_lshrrev_b32_e32 v3, 21, v3
; %bb.104:
	s_andn2_saveexec_b64 s[10:11], s[10:11]
; %bb.105:
	s_mov_b32 s12, 0x43000000
	v_add_f32_e64 v3, |v2|, s12
; %bb.106:
	s_or_b64 exec, exec, s[10:11]
                                        ; implicit-def: $vgpr6
.LBB7_107:
	s_andn2_saveexec_b64 s[8:9], s[8:9]
; %bb.108:
	s_mov_b32 s10, 0x7f800000
	v_mov_b32_e32 v3, 0x7c
	v_mov_b32_e32 v8, 0x7f
	v_cmp_lt_u32_e32 vcc, s10, v6
	v_cndmask_b32_e32 v3, v3, v8, vcc
; %bb.109:
	s_or_b64 exec, exec, s[8:9]
	v_lshrrev_b32_e32 v2, 24, v2
	s_movk_i32 s8, 0x80
	v_and_or_b32 v2, v2, s8, v3
	global_store_byte v[4:5], v2, off
.LBB7_110:
	s_mov_b64 s[10:11], 0
	s_mov_b64 s[8:9], -1
.LBB7_111:
	s_andn2_b64 vcc, exec, s[10:11]
	s_cbranch_vccnz .LBB7_119
; %bb.112:
	s_cmp_gt_i32 s15, 14
	s_mov_b64 s[10:11], -1
	s_cbranch_scc0 .LBB7_116
; %bb.113:
	s_cmp_eq_u32 s15, 15
	s_mov_b64 s[0:1], -1
	s_cbranch_scc0 .LBB7_115
; %bb.114:
	v_cvt_f32_f64_e32 v2, v[0:1]
	s_movk_i32 s0, 0x7fff
	v_mov_b32_e32 v3, 0x7fc0
	s_mov_b64 s[8:9], -1
	v_bfe_u32 v6, v2, 16, 1
	v_cmp_o_f32_e32 vcc, v2, v2
	v_add3_u32 v2, v2, v6, s0
	v_cndmask_b32_sdwa v2, v3, v2, vcc dst_sel:DWORD dst_unused:UNUSED_PAD src0_sel:DWORD src1_sel:WORD_1
	global_store_short v[4:5], v2, off
	s_mov_b64 s[0:1], 0
.LBB7_115:
	s_mov_b64 s[10:11], 0
.LBB7_116:
	s_and_b64 vcc, exec, s[10:11]
	s_cbranch_vccz .LBB7_119
; %bb.117:
	s_cmp_eq_u32 s15, 11
	s_mov_b64 s[0:1], -1
	s_cbranch_scc0 .LBB7_119
; %bb.118:
	v_cmp_neq_f64_e32 vcc, 0, v[0:1]
	s_mov_b64 s[0:1], 0
	s_mov_b64 s[8:9], -1
	v_cndmask_b32_e64 v2, 0, 1, vcc
	global_store_byte v[4:5], v2, off
.LBB7_119:
	s_branch .LBB7_38
.LBB7_120:
	s_and_b32 s10, 0xffff, s14
	s_cmp_lt_i32 s10, 5
	s_mov_b64 s[8:9], -1
	s_cbranch_scc1 .LBB7_141
; %bb.121:
	s_cmp_lt_i32 s10, 8
	s_cbranch_scc1 .LBB7_131
; %bb.122:
	s_cmp_lt_i32 s10, 9
	s_cbranch_scc1 .LBB7_128
; %bb.123:
	s_cmp_gt_i32 s10, 9
	s_cbranch_scc0 .LBB7_125
; %bb.124:
	v_mov_b32_e32 v2, 0
	v_mov_b32_e32 v3, v2
	global_store_dwordx4 v[4:5], v[0:3], off
	s_mov_b64 s[8:9], 0
.LBB7_125:
	s_andn2_b64 vcc, exec, s[8:9]
	s_cbranch_vccnz .LBB7_127
; %bb.126:
	v_cvt_f32_f64_e32 v2, v[0:1]
	v_mov_b32_e32 v3, 0
	global_store_dwordx2 v[4:5], v[2:3], off
.LBB7_127:
	s_mov_b64 s[8:9], 0
.LBB7_128:
	s_andn2_b64 vcc, exec, s[8:9]
	s_cbranch_vccnz .LBB7_130
; %bb.129:
	s_movk_i32 s8, 0x1ff
	v_and_or_b32 v2, v1, s8, v0
	v_cmp_ne_u32_e32 vcc, 0, v2
	v_cndmask_b32_e64 v2, 0, 1, vcc
	v_lshrrev_b32_e32 v3, 8, v1
	s_movk_i32 s8, 0xffe
	v_bfe_u32 v6, v1, 20, 11
	v_and_or_b32 v2, v3, s8, v2
	v_sub_u32_e32 v8, 0x3f1, v6
	v_or_b32_e32 v3, 0x1000, v2
	v_med3_i32 v8, v8, 0, 13
	v_lshrrev_b32_e32 v9, v8, v3
	v_lshlrev_b32_e32 v8, v8, v9
	v_cmp_ne_u32_e32 vcc, v8, v3
	v_cndmask_b32_e64 v3, 0, 1, vcc
	v_add_u32_e32 v6, 0xfffffc10, v6
	v_or_b32_e32 v3, v9, v3
	v_lshl_or_b32 v8, v6, 12, v2
	v_cmp_gt_i32_e32 vcc, 1, v6
	v_cndmask_b32_e32 v3, v8, v3, vcc
	v_and_b32_e32 v8, 7, v3
	v_cmp_lt_i32_e32 vcc, 5, v8
	v_cndmask_b32_e64 v9, 0, 1, vcc
	v_cmp_eq_u32_e32 vcc, 3, v8
	v_cndmask_b32_e64 v8, 0, 1, vcc
	v_or_b32_e32 v8, v8, v9
	v_lshrrev_b32_e32 v3, 2, v3
	v_add_u32_e32 v3, v3, v8
	v_mov_b32_e32 v8, 0x7c00
	v_cmp_gt_i32_e32 vcc, 31, v6
	v_cndmask_b32_e32 v3, v8, v3, vcc
	v_mov_b32_e32 v9, 0x7e00
	v_cmp_ne_u32_e32 vcc, 0, v2
	s_movk_i32 s8, 0x40f
	v_cndmask_b32_e32 v2, v8, v9, vcc
	v_cmp_eq_u32_e32 vcc, s8, v6
	v_cndmask_b32_e32 v2, v3, v2, vcc
	v_lshrrev_b32_e32 v3, 16, v1
	s_mov_b32 s8, 0x8000
	v_and_or_b32 v2, v3, s8, v2
	v_and_b32_e32 v2, 0xffff, v2
	global_store_dword v[4:5], v2, off
.LBB7_130:
	s_mov_b64 s[8:9], 0
.LBB7_131:
	s_andn2_b64 vcc, exec, s[8:9]
	s_cbranch_vccnz .LBB7_140
; %bb.132:
	s_cmp_lt_i32 s10, 6
	s_mov_b64 s[8:9], -1
	s_cbranch_scc1 .LBB7_138
; %bb.133:
	s_cmp_gt_i32 s10, 6
	s_cbranch_scc0 .LBB7_135
; %bb.134:
	global_store_dwordx2 v[4:5], v[0:1], off
	s_mov_b64 s[8:9], 0
.LBB7_135:
	s_andn2_b64 vcc, exec, s[8:9]
	s_cbranch_vccnz .LBB7_137
; %bb.136:
	v_cvt_f32_f64_e32 v2, v[0:1]
	global_store_dword v[4:5], v2, off
.LBB7_137:
	s_mov_b64 s[8:9], 0
.LBB7_138:
	s_andn2_b64 vcc, exec, s[8:9]
	s_cbranch_vccnz .LBB7_140
; %bb.139:
	s_movk_i32 s8, 0x1ff
	v_and_or_b32 v2, v1, s8, v0
	v_cmp_ne_u32_e32 vcc, 0, v2
	v_cndmask_b32_e64 v2, 0, 1, vcc
	v_lshrrev_b32_e32 v3, 8, v1
	s_movk_i32 s8, 0xffe
	v_bfe_u32 v6, v1, 20, 11
	v_and_or_b32 v2, v3, s8, v2
	v_sub_u32_e32 v8, 0x3f1, v6
	v_or_b32_e32 v3, 0x1000, v2
	v_med3_i32 v8, v8, 0, 13
	v_lshrrev_b32_e32 v9, v8, v3
	v_lshlrev_b32_e32 v8, v8, v9
	v_cmp_ne_u32_e32 vcc, v8, v3
	v_cndmask_b32_e64 v3, 0, 1, vcc
	v_add_u32_e32 v6, 0xfffffc10, v6
	v_or_b32_e32 v3, v9, v3
	v_lshl_or_b32 v8, v6, 12, v2
	v_cmp_gt_i32_e32 vcc, 1, v6
	v_cndmask_b32_e32 v3, v8, v3, vcc
	v_and_b32_e32 v8, 7, v3
	v_cmp_lt_i32_e32 vcc, 5, v8
	v_cndmask_b32_e64 v9, 0, 1, vcc
	v_cmp_eq_u32_e32 vcc, 3, v8
	v_cndmask_b32_e64 v8, 0, 1, vcc
	v_or_b32_e32 v8, v8, v9
	v_lshrrev_b32_e32 v3, 2, v3
	v_add_u32_e32 v3, v3, v8
	v_mov_b32_e32 v8, 0x7c00
	v_cmp_gt_i32_e32 vcc, 31, v6
	v_cndmask_b32_e32 v3, v8, v3, vcc
	v_mov_b32_e32 v9, 0x7e00
	v_cmp_ne_u32_e32 vcc, 0, v2
	s_movk_i32 s8, 0x40f
	v_cndmask_b32_e32 v2, v8, v9, vcc
	v_cmp_eq_u32_e32 vcc, s8, v6
	v_cndmask_b32_e32 v2, v3, v2, vcc
	v_lshrrev_b32_e32 v3, 16, v1
	s_mov_b32 s8, 0x8000
	v_and_or_b32 v2, v3, s8, v2
	global_store_short v[4:5], v2, off
.LBB7_140:
	s_mov_b64 s[8:9], 0
.LBB7_141:
	s_andn2_b64 vcc, exec, s[8:9]
	s_cbranch_vccnz .LBB7_157
; %bb.142:
	s_cmp_lt_i32 s10, 2
	s_mov_b64 s[8:9], -1
	s_cbranch_scc1 .LBB7_152
; %bb.143:
	s_cmp_lt_i32 s10, 3
	s_cbranch_scc1 .LBB7_149
; %bb.144:
	s_cmp_gt_i32 s10, 3
	s_cbranch_scc0 .LBB7_146
; %bb.145:
	v_trunc_f64_e32 v[2:3], v[0:1]
	s_movk_i32 s8, 0xffe0
	v_ldexp_f64 v[8:9], v[2:3], s8
	s_mov_b32 s8, 0
	s_mov_b32 s9, 0xc1f00000
	v_floor_f64_e32 v[8:9], v[8:9]
	v_fma_f64 v[2:3], v[8:9], s[8:9], v[2:3]
	v_cvt_i32_f64_e32 v9, v[8:9]
	s_mov_b64 s[8:9], 0
	v_cvt_u32_f64_e32 v8, v[2:3]
	global_store_dwordx2 v[4:5], v[8:9], off
.LBB7_146:
	s_andn2_b64 vcc, exec, s[8:9]
	s_cbranch_vccnz .LBB7_148
; %bb.147:
	v_cvt_i32_f64_e32 v2, v[0:1]
	global_store_dword v[4:5], v2, off
.LBB7_148:
	s_mov_b64 s[8:9], 0
.LBB7_149:
	s_andn2_b64 vcc, exec, s[8:9]
	s_cbranch_vccnz .LBB7_151
; %bb.150:
	v_cvt_i32_f64_e32 v2, v[0:1]
	global_store_short v[4:5], v2, off
.LBB7_151:
	s_mov_b64 s[8:9], 0
.LBB7_152:
	s_andn2_b64 vcc, exec, s[8:9]
	s_cbranch_vccnz .LBB7_157
; %bb.153:
	s_cmp_gt_i32 s10, 0
	s_mov_b64 s[8:9], -1
	s_cbranch_scc0 .LBB7_155
; %bb.154:
	v_cvt_i32_f64_e32 v2, v[0:1]
	s_mov_b64 s[8:9], 0
	global_store_byte v[4:5], v2, off
.LBB7_155:
	s_andn2_b64 vcc, exec, s[8:9]
	s_cbranch_vccnz .LBB7_157
; %bb.156:
	v_trunc_f64_e32 v[0:1], v[0:1]
	s_movk_i32 s8, 0xffe0
	v_ldexp_f64 v[2:3], v[0:1], s8
	s_mov_b32 s8, 0
	s_mov_b32 s9, 0xc1f00000
	v_floor_f64_e32 v[2:3], v[2:3]
	v_fma_f64 v[0:1], v[2:3], s[8:9], v[0:1]
	v_cvt_u32_f64_e32 v0, v[0:1]
	global_store_byte v[4:5], v0, off
.LBB7_157:
.LBB7_158:
	v_add_u32_e32 v7, 0x80, v7
	s_mov_b64 s[8:9], -1
	s_branch .LBB7_269
.LBB7_159:
	s_mov_b64 s[2:3], -1
                                        ; implicit-def: $vgpr3_vgpr4
.LBB7_160:
	s_mov_b64 s[8:9], 0
.LBB7_161:
	s_and_b64 vcc, exec, s[8:9]
	s_cbranch_vccz .LBB7_165
; %bb.162:
	s_cmp_eq_u32 s12, 29
	s_cbranch_scc0 .LBB7_164
; %bb.163:
	global_load_dwordx2 v[3:4], v[0:1], off
	s_mov_b64 s[0:1], -1
	s_mov_b64 s[2:3], 0
	s_mov_b64 s[8:9], 0
	s_waitcnt vmcnt(0)
	v_cvt_f64_u32_e32 v[4:5], v4
	v_cvt_f64_u32_e32 v[8:9], v3
	v_ldexp_f64 v[4:5], v[4:5], 32
	v_add_f64 v[3:4], v[4:5], v[8:9]
	s_branch .LBB7_166
.LBB7_164:
	s_mov_b64 s[2:3], -1
                                        ; implicit-def: $vgpr3_vgpr4
.LBB7_165:
	s_mov_b64 s[8:9], 0
.LBB7_166:
	s_and_b64 vcc, exec, s[8:9]
	s_cbranch_vccz .LBB7_186
; %bb.167:
	s_cmp_lt_i32 s12, 27
	s_cbranch_scc1 .LBB7_170
; %bb.168:
	s_cmp_gt_i32 s12, 27
	s_cbranch_scc0 .LBB7_171
; %bb.169:
	global_load_dword v3, v[0:1], off
	s_mov_b64 s[0:1], 0
	s_waitcnt vmcnt(0)
	v_cvt_f64_u32_e32 v[3:4], v3
	s_branch .LBB7_172
.LBB7_170:
	s_mov_b64 s[0:1], -1
                                        ; implicit-def: $vgpr3_vgpr4
	s_branch .LBB7_175
.LBB7_171:
	s_mov_b64 s[0:1], -1
                                        ; implicit-def: $vgpr3_vgpr4
.LBB7_172:
	s_andn2_b64 vcc, exec, s[0:1]
	s_cbranch_vccnz .LBB7_174
; %bb.173:
	global_load_ushort v3, v[0:1], off
	s_waitcnt vmcnt(0)
	v_cvt_f64_u32_e32 v[3:4], v3
.LBB7_174:
	s_mov_b64 s[0:1], 0
.LBB7_175:
	s_andn2_b64 vcc, exec, s[0:1]
	s_cbranch_vccnz .LBB7_185
; %bb.176:
	global_load_ubyte v5, v[0:1], off
	s_movk_i32 s0, 0x7f
	s_waitcnt vmcnt(0)
	v_cmp_lt_i16_e32 vcc, s0, v5
	s_mov_b64 s[0:1], 0
	s_and_saveexec_b64 s[8:9], vcc
	s_xor_b64 s[8:9], exec, s[8:9]
	s_cbranch_execz .LBB7_180
; %bb.177:
	s_movk_i32 s0, 0x80
	v_cmp_eq_u16_e32 vcc, s0, v5
	s_mov_b64 s[0:1], -1
	s_and_saveexec_b64 s[10:11], vcc
; %bb.178:
	s_xor_b64 s[0:1], exec, -1
; %bb.179:
	s_or_b64 exec, exec, s[10:11]
	s_and_b64 s[0:1], s[0:1], exec
.LBB7_180:
	s_or_saveexec_b64 s[8:9], s[8:9]
	v_bfrev_b32_e32 v3, 4
	v_mov_b32_e32 v4, 0x7ff80000
	s_xor_b64 exec, exec, s[8:9]
; %bb.181:
	v_cmp_ne_u16_e32 vcc, 0, v5
	v_mov_b32_e32 v3, 0
	s_andn2_b64 s[0:1], s[0:1], exec
	s_and_b64 s[10:11], vcc, exec
	v_mov_b32_e32 v4, 0
	s_or_b64 s[0:1], s[0:1], s[10:11]
; %bb.182:
	s_or_b64 exec, exec, s[8:9]
	s_and_saveexec_b64 s[8:9], s[0:1]
	s_cbranch_execz .LBB7_184
; %bb.183:
	v_and_b32_e32 v4, 0xffff, v5
	v_lshlrev_b32_e32 v3, 24, v5
	v_and_b32_e32 v5, 7, v4
	v_ffbh_u32_e32 v8, v5
	v_min_u32_e32 v8, 32, v8
	v_subrev_u32_e32 v9, 28, v8
	v_bfe_u32 v6, v4, 3, 4
	v_lshlrev_b32_e32 v4, v9, v4
	v_sub_u32_e32 v8, 29, v8
	v_and_b32_e32 v4, 7, v4
	v_cmp_eq_u32_e32 vcc, 0, v6
	v_cndmask_b32_e32 v6, v6, v8, vcc
	v_cndmask_b32_e32 v4, v5, v4, vcc
	v_mov_b32_e32 v5, 0x3b800000
	v_lshlrev_b32_e32 v4, 20, v4
	v_and_b32_e32 v3, 0x80000000, v3
	v_lshl_add_u32 v5, v6, 23, v5
	v_or3_b32 v3, v3, v5, v4
	v_cvt_f64_f32_e32 v[3:4], v3
.LBB7_184:
	s_or_b64 exec, exec, s[8:9]
.LBB7_185:
	s_mov_b64 s[0:1], -1
.LBB7_186:
	s_branch .LBB7_219
.LBB7_187:
	s_cmp_gt_i32 s12, 22
	s_cbranch_scc0 .LBB7_199
; %bb.188:
	s_cmp_lt_i32 s12, 24
	s_cbranch_scc1 .LBB7_200
; %bb.189:
	s_cmp_gt_i32 s12, 24
	s_cbranch_scc0 .LBB7_201
; %bb.190:
	global_load_ubyte v5, v[0:1], off
	s_movk_i32 s0, 0x7f
	s_waitcnt vmcnt(0)
	v_cmp_lt_i16_e32 vcc, s0, v5
	s_mov_b64 s[0:1], 0
	s_and_saveexec_b64 s[8:9], vcc
	s_xor_b64 s[8:9], exec, s[8:9]
	s_cbranch_execz .LBB7_194
; %bb.191:
	s_movk_i32 s0, 0x80
	v_cmp_eq_u16_e32 vcc, s0, v5
	s_mov_b64 s[0:1], -1
	s_and_saveexec_b64 s[10:11], vcc
; %bb.192:
	s_xor_b64 s[0:1], exec, -1
; %bb.193:
	s_or_b64 exec, exec, s[10:11]
	s_and_b64 s[0:1], s[0:1], exec
.LBB7_194:
	s_or_saveexec_b64 s[8:9], s[8:9]
	v_bfrev_b32_e32 v3, 4
	v_mov_b32_e32 v4, 0x7ff80000
	s_xor_b64 exec, exec, s[8:9]
; %bb.195:
	v_cmp_ne_u16_e32 vcc, 0, v5
	v_mov_b32_e32 v3, 0
	s_andn2_b64 s[0:1], s[0:1], exec
	s_and_b64 s[10:11], vcc, exec
	v_mov_b32_e32 v4, 0
	s_or_b64 s[0:1], s[0:1], s[10:11]
; %bb.196:
	s_or_b64 exec, exec, s[8:9]
	s_and_saveexec_b64 s[8:9], s[0:1]
	s_cbranch_execz .LBB7_198
; %bb.197:
	v_and_b32_e32 v4, 0xffff, v5
	v_lshlrev_b32_e32 v3, 24, v5
	v_and_b32_e32 v5, 3, v4
	v_ffbh_u32_e32 v8, v5
	v_min_u32_e32 v8, 32, v8
	v_subrev_u32_e32 v9, 29, v8
	v_bfe_u32 v6, v4, 2, 5
	v_lshlrev_b32_e32 v4, v9, v4
	v_sub_u32_e32 v8, 30, v8
	v_and_b32_e32 v4, 3, v4
	v_cmp_eq_u32_e32 vcc, 0, v6
	v_cndmask_b32_e32 v6, v6, v8, vcc
	v_cndmask_b32_e32 v4, v5, v4, vcc
	v_mov_b32_e32 v5, 0x37800000
	v_lshlrev_b32_e32 v4, 21, v4
	v_and_b32_e32 v3, 0x80000000, v3
	v_lshl_add_u32 v5, v6, 23, v5
	v_or3_b32 v3, v3, v5, v4
	v_cvt_f64_f32_e32 v[3:4], v3
.LBB7_198:
	s_or_b64 exec, exec, s[8:9]
	s_mov_b64 s[0:1], 0
	s_branch .LBB7_202
.LBB7_199:
	s_mov_b64 s[8:9], -1
                                        ; implicit-def: $vgpr3_vgpr4
	s_branch .LBB7_208
.LBB7_200:
	s_mov_b64 s[0:1], -1
                                        ; implicit-def: $vgpr3_vgpr4
	s_branch .LBB7_205
.LBB7_201:
	s_mov_b64 s[0:1], -1
                                        ; implicit-def: $vgpr3_vgpr4
.LBB7_202:
	s_and_b64 vcc, exec, s[0:1]
	s_cbranch_vccz .LBB7_204
; %bb.203:
	global_load_ubyte v3, v[0:1], off
	s_mov_b32 s0, 0x7f800000
	s_waitcnt vmcnt(0)
	v_lshlrev_b32_e32 v3, 24, v3
	v_and_b32_e32 v4, 0x7f000000, v3
	v_ffbh_u32_e32 v5, v4
	v_min_u32_e32 v5, 32, v5
	v_sub_u32_e64 v5, v5, 4 clamp
	v_lshlrev_b32_e32 v8, v5, v4
	v_lshlrev_b32_e32 v5, 23, v5
	v_lshrrev_b32_e32 v8, 4, v8
	v_add_u32_e32 v6, 0x1000000, v4
	v_sub_u32_e32 v5, v8, v5
	v_ashrrev_i32_e32 v6, 8, v6
	v_add_u32_e32 v5, 0x3c000000, v5
	v_and_or_b32 v5, v6, s0, v5
	v_cmp_ne_u32_e32 vcc, 0, v4
	v_cndmask_b32_e32 v4, 0, v5, vcc
	s_brev_b32 s0, 1
	v_and_or_b32 v3, v3, s0, v4
	v_cvt_f64_f32_e32 v[3:4], v3
.LBB7_204:
	s_mov_b64 s[0:1], 0
.LBB7_205:
	s_andn2_b64 vcc, exec, s[0:1]
	s_cbranch_vccnz .LBB7_207
; %bb.206:
	global_load_ubyte v3, v[0:1], off
	s_movk_i32 s0, 0x7f00
	s_brev_b32 s1, 16
	s_waitcnt vmcnt(0)
	v_lshlrev_b16_e32 v4, 8, v3
	v_lshlrev_b32_e32 v3, 25, v3
	v_lshrrev_b32_e32 v5, 4, v3
	v_and_or_b32 v6, v4, s0, 0.5
	v_or_b32_e32 v5, 0x70000000, v5
	v_add_f32_e32 v6, -0.5, v6
	v_mul_f32_e32 v5, 0x7800000, v5
	v_cmp_gt_u32_e32 vcc, s1, v3
	v_bfe_i32 v4, v4, 0, 16
	v_cndmask_b32_e32 v3, v5, v6, vcc
	s_brev_b32 s0, 1
	v_and_or_b32 v3, v4, s0, v3
	v_cvt_f64_f32_e32 v[3:4], v3
.LBB7_207:
	s_mov_b64 s[8:9], 0
	s_mov_b64 s[0:1], -1
.LBB7_208:
	s_andn2_b64 vcc, exec, s[8:9]
	s_cbranch_vccnz .LBB7_219
; %bb.209:
	s_cmp_gt_i32 s12, 14
	s_cbranch_scc0 .LBB7_212
; %bb.210:
	s_cmp_eq_u32 s12, 15
	s_cbranch_scc0 .LBB7_213
; %bb.211:
	global_load_ushort v3, v[0:1], off
	s_mov_b64 s[0:1], -1
	s_mov_b64 s[2:3], 0
	s_waitcnt vmcnt(0)
	v_lshlrev_b32_e32 v3, 16, v3
	v_cvt_f64_f32_e32 v[3:4], v3
	s_branch .LBB7_214
.LBB7_212:
	s_mov_b64 s[8:9], -1
                                        ; implicit-def: $vgpr3_vgpr4
	s_branch .LBB7_215
.LBB7_213:
	s_mov_b64 s[2:3], -1
                                        ; implicit-def: $vgpr3_vgpr4
.LBB7_214:
	s_mov_b64 s[8:9], 0
.LBB7_215:
	s_and_b64 vcc, exec, s[8:9]
	s_cbranch_vccz .LBB7_219
; %bb.216:
	s_cmp_eq_u32 s12, 11
	s_cbranch_scc0 .LBB7_218
; %bb.217:
	global_load_ubyte v4, v[0:1], off
	v_mov_b32_e32 v5, 0x3ff00000
	v_mov_b32_e32 v3, 0
	s_mov_b64 s[0:1], -1
	s_mov_b64 s[2:3], 0
	s_waitcnt vmcnt(0)
	v_cmp_ne_u16_e32 vcc, 0, v4
	v_cndmask_b32_e32 v4, 0, v5, vcc
	s_branch .LBB7_219
.LBB7_218:
	s_mov_b64 s[2:3], -1
                                        ; implicit-def: $vgpr3_vgpr4
.LBB7_219:
	s_branch .LBB7_24
.LBB7_220:
	s_cmp_lt_i32 s12, 5
	s_cbranch_scc1 .LBB7_225
; %bb.221:
	s_cmp_lt_i32 s12, 8
	s_cbranch_scc1 .LBB7_226
; %bb.222:
	;; [unrolled: 3-line block ×3, first 2 shown]
	s_cmp_gt_i32 s12, 9
	s_cbranch_scc0 .LBB7_228
; %bb.224:
	global_load_dwordx2 v[3:4], v[0:1], off
	s_mov_b64 s[0:1], 0
	s_branch .LBB7_229
.LBB7_225:
                                        ; implicit-def: $vgpr3_vgpr4
	s_branch .LBB7_247
.LBB7_226:
	s_mov_b64 s[0:1], -1
                                        ; implicit-def: $vgpr3_vgpr4
	s_branch .LBB7_235
.LBB7_227:
	s_mov_b64 s[0:1], -1
                                        ; implicit-def: $vgpr3_vgpr4
	s_branch .LBB7_232
.LBB7_228:
	s_mov_b64 s[0:1], -1
                                        ; implicit-def: $vgpr3_vgpr4
.LBB7_229:
	s_andn2_b64 vcc, exec, s[0:1]
	s_cbranch_vccnz .LBB7_231
; %bb.230:
	global_load_dword v3, v[0:1], off
	s_waitcnt vmcnt(0)
	v_cvt_f64_f32_e32 v[3:4], v3
.LBB7_231:
	s_mov_b64 s[0:1], 0
.LBB7_232:
	s_andn2_b64 vcc, exec, s[0:1]
	s_cbranch_vccnz .LBB7_234
; %bb.233:
	global_load_dword v3, v[0:1], off
	s_waitcnt vmcnt(0)
	v_cvt_f32_f16_e32 v3, v3
	v_cvt_f64_f32_e32 v[3:4], v3
.LBB7_234:
	s_mov_b64 s[0:1], 0
.LBB7_235:
	s_andn2_b64 vcc, exec, s[0:1]
	s_cbranch_vccnz .LBB7_246
; %bb.236:
	s_cmp_lt_i32 s12, 6
	s_cbranch_scc1 .LBB7_239
; %bb.237:
	s_cmp_gt_i32 s12, 6
	s_cbranch_scc0 .LBB7_240
; %bb.238:
	global_load_dwordx2 v[3:4], v[0:1], off
	s_mov_b64 s[0:1], 0
	s_branch .LBB7_241
.LBB7_239:
	s_mov_b64 s[0:1], -1
                                        ; implicit-def: $vgpr3_vgpr4
	s_branch .LBB7_244
.LBB7_240:
	s_mov_b64 s[0:1], -1
                                        ; implicit-def: $vgpr3_vgpr4
.LBB7_241:
	s_andn2_b64 vcc, exec, s[0:1]
	s_cbranch_vccnz .LBB7_243
; %bb.242:
	global_load_dword v3, v[0:1], off
	s_waitcnt vmcnt(0)
	v_cvt_f64_f32_e32 v[3:4], v3
.LBB7_243:
	s_mov_b64 s[0:1], 0
.LBB7_244:
	s_andn2_b64 vcc, exec, s[0:1]
	s_cbranch_vccnz .LBB7_246
; %bb.245:
	global_load_ushort v3, v[0:1], off
	s_waitcnt vmcnt(0)
	v_cvt_f32_f16_e32 v3, v3
	v_cvt_f64_f32_e32 v[3:4], v3
.LBB7_246:
	s_cbranch_execnz .LBB7_266
.LBB7_247:
	s_cmp_lt_i32 s12, 2
	s_cbranch_scc1 .LBB7_251
; %bb.248:
	s_cmp_lt_i32 s12, 3
	s_cbranch_scc1 .LBB7_252
; %bb.249:
	s_cmp_gt_i32 s12, 3
	s_cbranch_scc0 .LBB7_253
; %bb.250:
	global_load_dwordx2 v[3:4], v[0:1], off
	s_mov_b64 s[0:1], 0
	s_waitcnt vmcnt(0)
	v_cvt_f64_i32_e32 v[4:5], v4
	v_cvt_f64_u32_e32 v[8:9], v3
	v_ldexp_f64 v[4:5], v[4:5], 32
	v_add_f64 v[3:4], v[4:5], v[8:9]
	s_branch .LBB7_254
.LBB7_251:
	s_mov_b64 s[0:1], -1
                                        ; implicit-def: $vgpr3_vgpr4
	s_branch .LBB7_260
.LBB7_252:
	s_mov_b64 s[0:1], -1
                                        ; implicit-def: $vgpr3_vgpr4
	s_branch .LBB7_257
.LBB7_253:
	s_mov_b64 s[0:1], -1
                                        ; implicit-def: $vgpr3_vgpr4
.LBB7_254:
	s_andn2_b64 vcc, exec, s[0:1]
	s_cbranch_vccnz .LBB7_256
; %bb.255:
	global_load_dword v3, v[0:1], off
	s_waitcnt vmcnt(0)
	v_cvt_f64_i32_e32 v[3:4], v3
.LBB7_256:
	s_mov_b64 s[0:1], 0
.LBB7_257:
	s_andn2_b64 vcc, exec, s[0:1]
	s_cbranch_vccnz .LBB7_259
; %bb.258:
	global_load_sshort v3, v[0:1], off
	s_waitcnt vmcnt(0)
	v_cvt_f64_i32_e32 v[3:4], v3
.LBB7_259:
	s_mov_b64 s[0:1], 0
.LBB7_260:
	s_andn2_b64 vcc, exec, s[0:1]
	s_cbranch_vccnz .LBB7_266
; %bb.261:
	s_cmp_gt_i32 s12, 0
	s_cbranch_scc0 .LBB7_263
; %bb.262:
	global_load_sbyte v3, v[0:1], off
	s_mov_b64 s[0:1], 0
	s_waitcnt vmcnt(0)
	v_cvt_f64_i32_e32 v[3:4], v3
	s_branch .LBB7_264
.LBB7_263:
	s_mov_b64 s[0:1], -1
                                        ; implicit-def: $vgpr3_vgpr4
.LBB7_264:
	s_andn2_b64 vcc, exec, s[0:1]
	s_cbranch_vccnz .LBB7_266
; %bb.265:
	global_load_ubyte v0, v[0:1], off
	s_waitcnt vmcnt(0)
	v_cvt_f64_u32_e32 v[3:4], v0
.LBB7_266:
	s_branch .LBB7_25
.LBB7_267:
	s_mov_b64 s[0:1], 0
.LBB7_268:
	s_mov_b64 s[8:9], 0
                                        ; implicit-def: $vgpr7
.LBB7_269:
	s_and_b64 s[52:53], s[0:1], exec
	s_and_b64 s[54:55], s[2:3], exec
	s_orn2_b64 s[2:3], s[8:9], exec
.LBB7_270:
	s_or_b64 exec, exec, s[56:57]
	s_mov_b64 s[10:11], 0
	s_mov_b64 s[0:1], 0
                                        ; implicit-def: $vgpr0_vgpr1
                                        ; implicit-def: $vgpr2
                                        ; implicit-def: $vgpr3_vgpr4
	s_and_saveexec_b64 s[56:57], s[2:3]
	s_cbranch_execz .LBB7_277
; %bb.271:
	v_cmp_gt_i32_e32 vcc, s70, v7
	s_mov_b64 s[0:1], -1
	s_mov_b64 s[58:59], s[54:55]
	s_mov_b64 s[60:61], s[52:53]
	s_and_saveexec_b64 s[62:63], vcc
	s_cbranch_execz .LBB7_550
; %bb.272:
	s_andn2_b64 vcc, exec, s[40:41]
	s_cbranch_vccnz .LBB7_280
; %bb.273:
	s_andn2_b64 vcc, exec, s[50:51]
	s_cbranch_vccnz .LBB7_281
; %bb.274:
	s_add_i32 s65, s75, 1
	s_cmp_eq_u32 s72, 2
	s_cbranch_scc1 .LBB7_282
; %bb.275:
	s_and_b32 s64, s65, 28
	v_mov_b32_e32 v0, 0
	s_mov_b32 s66, 0
	s_mov_b64 s[58:59], s[34:35]
	s_mov_b64 s[60:61], s[48:49]
	v_mov_b32_e32 v2, 0
	v_mov_b32_e32 v1, v7
.LBB7_276:                              ; =>This Inner Loop Header: Depth=1
	s_load_dwordx8 s[16:23], s[58:59], 0x4
	s_load_dwordx4 s[0:3], s[58:59], 0x24
	s_load_dwordx8 s[8:15], s[60:61], 0x0
	s_add_u32 s58, s58, 48
	s_addc_u32 s59, s59, 0
	s_waitcnt vmcnt(0) lgkmcnt(0)
	v_mul_hi_u32 v3, s17, v1
	s_add_i32 s66, s66, 4
	s_add_u32 s60, s60, 32
	s_addc_u32 s61, s61, 0
	v_add_u32_e32 v3, v1, v3
	v_lshrrev_b32_e32 v3, s18, v3
	v_mul_lo_u32 v4, v3, s16
	v_mul_hi_u32 v5, s20, v3
	s_cmp_eq_u32 s64, s66
	v_sub_u32_e32 v1, v1, v4
	v_add_u32_e32 v4, v3, v5
	v_mul_lo_u32 v5, v1, s8
	v_mul_lo_u32 v6, v1, s9
	v_lshrrev_b32_e32 v1, s21, v4
	v_mul_lo_u32 v4, v1, s19
	v_mul_hi_u32 v8, s23, v1
	v_sub_u32_e32 v3, v3, v4
	v_add_u32_e32 v4, v1, v8
	v_lshrrev_b32_e32 v4, s0, v4
	v_mul_hi_u32 v9, s2, v4
	v_mul_lo_u32 v10, v4, s22
	v_mul_lo_u32 v8, v3, s10
	v_mul_lo_u32 v3, v3, s11
	v_sub_u32_e32 v10, v1, v10
	v_add_u32_e32 v1, v4, v9
	v_lshrrev_b32_e32 v1, s3, v1
	v_mul_lo_u32 v9, v1, s1
	v_mul_lo_u32 v11, v10, s12
	;; [unrolled: 1-line block ×3, first 2 shown]
	v_add3_u32 v2, v5, v2, v8
	v_sub_u32_e32 v4, v4, v9
	v_mul_lo_u32 v9, v4, s14
	v_mul_lo_u32 v4, v4, s15
	v_add3_u32 v0, v6, v0, v3
	v_add3_u32 v2, v11, v2, v9
	;; [unrolled: 1-line block ×3, first 2 shown]
	s_cbranch_scc0 .LBB7_276
	s_branch .LBB7_283
.LBB7_277:
	s_or_b64 exec, exec, s[56:57]
	s_mov_b64 s[2:3], 0
	s_and_saveexec_b64 s[8:9], s[54:55]
	s_cbranch_execnz .LBB7_930
.LBB7_278:
	s_or_b64 exec, exec, s[8:9]
	s_and_saveexec_b64 s[8:9], s[60:61]
	s_xor_b64 s[8:9], exec, s[8:9]
	s_cbranch_execz .LBB7_931
.LBB7_279:
	global_load_ubyte v4, v[0:1], off
	v_mov_b32_e32 v5, 0x3ff00000
	s_waitcnt vmcnt(1)
	v_mov_b32_e32 v3, 0
	s_or_b64 s[0:1], s[0:1], exec
	s_waitcnt vmcnt(0)
	v_cmp_ne_u16_e32 vcc, 0, v4
	v_cndmask_b32_e32 v4, 0, v5, vcc
	s_or_b64 exec, exec, s[8:9]
	s_and_saveexec_b64 s[8:9], s[10:11]
	s_cbranch_execz .LBB7_977
	s_branch .LBB7_932
.LBB7_280:
                                        ; implicit-def: $vgpr2
                                        ; implicit-def: $vgpr0
	s_andn2_b64 vcc, exec, s[0:1]
	s_cbranch_vccz .LBB7_287
	s_branch .LBB7_289
.LBB7_281:
	v_mov_b32_e32 v2, 0
	v_mov_b32_e32 v0, 0
	s_branch .LBB7_286
.LBB7_282:
	s_mov_b32 s64, 0
	v_mov_b32_e32 v2, 0
	v_mov_b32_e32 v0, 0
	v_mov_b32_e32 v1, v7
.LBB7_283:
	s_and_b32 s8, s65, 3
	s_cmp_eq_u32 s8, 0
	s_cbranch_scc1 .LBB7_286
; %bb.284:
	s_lshl_b32 s0, s64, 3
	s_add_u32 s0, s34, s0
	s_addc_u32 s1, s35, 0
	s_add_u32 s0, s0, 0xc4
	s_addc_u32 s1, s1, 0
	s_mul_i32 s2, s64, 12
	s_add_u32 s2, s34, s2
	s_addc_u32 s3, s35, 0
.LBB7_285:                              ; =>This Inner Loop Header: Depth=1
	s_load_dwordx2 s[10:11], s[2:3], 0x4
	s_load_dword s9, s[2:3], 0xc
	s_load_dwordx2 s[12:13], s[0:1], 0x0
	s_add_u32 s2, s2, 12
	s_addc_u32 s3, s3, 0
	s_waitcnt vmcnt(0) lgkmcnt(0)
	v_mul_hi_u32 v3, s11, v1
	s_add_u32 s0, s0, 8
	s_addc_u32 s1, s1, 0
	s_add_i32 s8, s8, -1
	v_add_u32_e32 v3, v1, v3
	v_lshrrev_b32_e32 v4, s9, v3
	v_mul_lo_u32 v3, v4, s10
	s_cmp_lg_u32 s8, 0
	v_sub_u32_e32 v1, v1, v3
	v_mad_u64_u32 v[2:3], s[10:11], v1, s12, v[2:3]
	v_mad_u64_u32 v[0:1], s[10:11], v1, s13, v[0:1]
	v_mov_b32_e32 v1, v4
	s_cbranch_scc1 .LBB7_285
.LBB7_286:
	s_cbranch_execnz .LBB7_289
.LBB7_287:
	s_waitcnt lgkmcnt(0)
	v_mul_hi_u32 v0, s37, v7
	s_andn2_b64 vcc, exec, s[46:47]
	v_add_u32_e32 v0, v7, v0
	v_lshrrev_b32_e32 v1, s38, v0
	v_mul_lo_u32 v0, v1, s36
	v_sub_u32_e32 v0, v7, v0
	v_mul_lo_u32 v2, v0, s28
	v_mul_lo_u32 v0, v0, s29
	s_cbranch_vccnz .LBB7_289
; %bb.288:
	s_waitcnt vmcnt(0)
	v_mul_hi_u32 v3, s44, v1
	v_add_u32_e32 v3, v1, v3
	v_lshrrev_b32_e32 v3, s45, v3
	v_mul_lo_u32 v3, v3, s39
	v_sub_u32_e32 v1, v1, v3
	v_mad_u64_u32 v[2:3], s[0:1], v1, s30, v[2:3]
	v_mad_u64_u32 v[0:1], s[0:1], v1, s31, v[0:1]
.LBB7_289:
	s_waitcnt lgkmcnt(0)
	v_mov_b32_e32 v1, s27
	s_and_b32 s12, 0xffff, s74
	v_add_co_u32_e32 v0, vcc, s26, v0
	s_cmp_lt_i32 s12, 11
	v_addc_co_u32_e32 v1, vcc, 0, v1, vcc
	s_cbranch_scc1 .LBB7_296
; %bb.290:
	s_cmp_gt_i32 s12, 25
	s_cbranch_scc0 .LBB7_309
; %bb.291:
	s_cmp_gt_i32 s12, 28
	s_cbranch_scc0 .LBB7_311
	;; [unrolled: 3-line block ×4, first 2 shown]
; %bb.294:
	s_cmp_eq_u32 s12, 46
	s_mov_b64 s[8:9], 0
	s_cbranch_scc0 .LBB7_321
; %bb.295:
	global_load_dword v3, v[0:1], off
	s_mov_b64 s[0:1], -1
	s_mov_b64 s[2:3], 0
	s_waitcnt vmcnt(0)
	v_lshlrev_b32_e32 v3, 16, v3
	v_cvt_f64_f32_e32 v[3:4], v3
	s_branch .LBB7_322
.LBB7_296:
	s_mov_b64 s[0:1], 0
                                        ; implicit-def: $vgpr3_vgpr4
	s_mov_b64 s[2:3], s[54:55]
	s_cbranch_execnz .LBB7_499
.LBB7_297:
	s_andn2_b64 vcc, exec, s[0:1]
	s_cbranch_vccnz .LBB7_547
.LBB7_298:
	s_mov_b32 s0, 0
	s_mov_b32 s1, 0x41d00000
	s_waitcnt vmcnt(0)
	v_cmp_nlt_f64_e64 s[0:1], |v[3:4]|, s[0:1]
                                        ; implicit-def: $vgpr8
                                        ; implicit-def: $vgpr0_vgpr1
                                        ; implicit-def: $vgpr5_vgpr6
	s_and_saveexec_b64 s[8:9], s[0:1]
	s_xor_b64 s[8:9], exec, s[8:9]
	s_cbranch_execz .LBB7_300
; %bb.299:
	v_trig_preop_f64 v[0:1], |v[3:4]|, 0
	s_mov_b32 s0, 0
	s_mov_b32 s1, 0x7b000000
	s_movk_i32 s10, 0xff80
	v_ldexp_f64 v[8:9], |v[3:4]|, s10
	v_cmp_ge_f64_e64 vcc, |v[3:4]|, s[0:1]
	v_trig_preop_f64 v[5:6], |v[3:4]|, 1
	v_and_b32_e32 v10, 0x7fffffff, v4
	v_trig_preop_f64 v[16:17], |v[3:4]|, 2
	s_mov_b32 s0, 0
	s_mov_b32 s1, 0x7ff00000
	v_mov_b32_e32 v27, 0x40100000
	v_mov_b32_e32 v26, 0
	v_cndmask_b32_e32 v9, v10, v9, vcc
	v_cndmask_b32_e32 v8, v3, v8, vcc
	s_mov_b32 s10, 0x33145c07
	v_mul_f64 v[10:11], v[0:1], v[8:9]
	s_mov_b32 s11, 0x3c91a626
	v_mul_f64 v[12:13], v[5:6], v[8:9]
	v_mul_f64 v[22:23], v[16:17], v[8:9]
	v_fma_f64 v[0:1], v[0:1], v[8:9], -v[10:11]
	v_fma_f64 v[5:6], v[5:6], v[8:9], -v[12:13]
	v_fma_f64 v[8:9], v[16:17], v[8:9], -v[22:23]
	v_add_f64 v[14:15], v[12:13], v[0:1]
	v_add_f64 v[18:19], v[14:15], -v[12:13]
	v_add_f64 v[24:25], v[10:11], v[14:15]
	v_add_f64 v[20:21], v[14:15], -v[18:19]
	v_add_f64 v[0:1], v[0:1], -v[18:19]
	v_add_f64 v[18:19], v[22:23], v[5:6]
	v_add_f64 v[10:11], v[24:25], -v[10:11]
	v_add_f64 v[12:13], v[12:13], -v[20:21]
	v_ldexp_f64 v[20:21], v[24:25], -2
	v_add_f64 v[28:29], v[18:19], -v[22:23]
	v_add_f64 v[10:11], v[14:15], -v[10:11]
	v_add_f64 v[0:1], v[0:1], v[12:13]
	v_fract_f64_e32 v[12:13], v[20:21]
	v_cmp_neq_f64_e64 vcc, |v[20:21]|, s[0:1]
	v_add_f64 v[5:6], v[5:6], -v[28:29]
	v_add_f64 v[14:15], v[18:19], v[0:1]
	v_ldexp_f64 v[12:13], v[12:13], 2
	v_add_f64 v[20:21], v[10:11], v[14:15]
	v_cndmask_b32_e32 v13, 0, v13, vcc
	v_cndmask_b32_e32 v12, 0, v12, vcc
	v_add_f64 v[30:31], v[14:15], -v[18:19]
	v_add_f64 v[24:25], v[20:21], v[12:13]
	v_add_f64 v[10:11], v[20:21], -v[10:11]
	v_add_f64 v[32:33], v[14:15], -v[30:31]
	;; [unrolled: 1-line block ×3, first 2 shown]
	v_cmp_gt_f64_e32 vcc, 0, v[24:25]
	v_add_f64 v[24:25], v[18:19], -v[28:29]
	v_add_f64 v[10:11], v[14:15], -v[10:11]
	v_add_f64 v[18:19], v[18:19], -v[32:33]
	v_cndmask_b32_e32 v27, 0, v27, vcc
	v_add_f64 v[12:13], v[12:13], v[26:27]
	v_add_f64 v[24:25], v[22:23], -v[24:25]
	v_add_f64 v[0:1], v[0:1], v[18:19]
	v_add_f64 v[34:35], v[20:21], v[12:13]
	;; [unrolled: 1-line block ×3, first 2 shown]
	v_cvt_i32_f64_e32 v29, v[34:35]
	v_add_f64 v[0:1], v[5:6], v[0:1]
	v_cvt_f64_i32_e32 v[27:28], v29
	v_add_f64 v[12:13], v[12:13], -v[27:28]
	v_add_f64 v[0:1], v[8:9], v[0:1]
	v_add_f64 v[5:6], v[20:21], v[12:13]
	;; [unrolled: 1-line block ×3, first 2 shown]
	v_mov_b32_e32 v11, 0x3ff00000
	v_add_f64 v[8:9], v[5:6], -v[12:13]
	v_cmp_le_f64_e32 vcc, 0.5, v[5:6]
	v_add_f64 v[9:10], v[20:21], -v[8:9]
	v_cndmask_b32_e32 v27, 0, v11, vcc
	v_add_f64 v[5:6], v[5:6], -v[26:27]
	v_addc_co_u32_e64 v8, s[0:1], 0, v29, vcc
	s_mov_b32 s0, 0x54442d18
	s_mov_b32 s1, 0x3ff921fb
	v_add_f64 v[0:1], v[0:1], v[9:10]
	v_add_f64 v[9:10], v[5:6], v[0:1]
	v_mul_f64 v[11:12], v[9:10], s[0:1]
	v_add_f64 v[5:6], v[9:10], -v[5:6]
	v_fma_f64 v[13:14], v[9:10], s[0:1], -v[11:12]
	v_add_f64 v[0:1], v[0:1], -v[5:6]
	v_fma_f64 v[5:6], v[9:10], s[10:11], v[13:14]
	v_fma_f64 v[5:6], v[0:1], s[0:1], v[5:6]
	v_add_f64 v[0:1], v[11:12], v[5:6]
	v_add_f64 v[9:10], v[0:1], -v[11:12]
	v_add_f64 v[5:6], v[5:6], -v[9:10]
.LBB7_300:
	s_andn2_saveexec_b64 s[0:1], s[8:9]
	s_cbranch_execz .LBB7_302
; %bb.301:
	s_mov_b32 s8, 0x6dc9c883
	s_mov_b32 s9, 0x3fe45f30
	v_mul_f64 v[0:1], |v[3:4]|, s[8:9]
	s_mov_b32 s8, 0x54442d18
	s_mov_b32 s9, 0xbff921fb
	;; [unrolled: 1-line block ×4, first 2 shown]
	v_rndne_f64_e32 v[8:9], v[0:1]
	v_fma_f64 v[0:1], v[8:9], s[8:9], |v[3:4]|
	v_mul_f64 v[5:6], v[8:9], s[10:11]
	s_mov_b32 s8, 0x252049c0
	s_mov_b32 s9, 0xb97b839a
	v_fma_f64 v[14:15], v[8:9], s[10:11], v[0:1]
	v_add_f64 v[10:11], v[0:1], v[5:6]
	s_mov_b32 s11, 0x3c91a626
	v_add_f64 v[12:13], v[0:1], -v[10:11]
	v_add_f64 v[10:11], v[10:11], -v[14:15]
	v_add_f64 v[0:1], v[12:13], v[5:6]
	v_fma_f64 v[5:6], v[8:9], s[10:11], v[5:6]
	v_add_f64 v[0:1], v[10:11], v[0:1]
	v_add_f64 v[0:1], v[0:1], -v[5:6]
	v_fma_f64 v[5:6], v[8:9], s[8:9], v[0:1]
	v_cvt_i32_f64_e32 v8, v[8:9]
	v_add_f64 v[0:1], v[14:15], v[5:6]
	v_add_f64 v[10:11], v[0:1], -v[14:15]
	v_add_f64 v[5:6], v[5:6], -v[10:11]
.LBB7_302:
	s_or_b64 exec, exec, s[0:1]
	v_mul_f64 v[9:10], v[0:1], v[0:1]
	s_mov_b32 s0, 0xf9a43bb8
	v_mov_b32_e32 v12, 0xb42fdfa7
	v_mov_b32_e32 v13, 0xbe5ae600
	s_mov_b32 s1, 0x3de5e0b2
	s_mov_b32 s8, 0x796cde01
	v_mov_b32_e32 v11, 0x9037ab78
	s_mov_b32 s9, 0x3ec71de3
	v_fma_f64 v[13:14], v[9:10], s[0:1], v[12:13]
	s_mov_b32 s0, 0x46cc5e42
	v_mov_b32_e32 v12, 0x3e21eeb6
	s_mov_b32 s1, 0xbda907db
	v_fma_f64 v[11:12], v[9:10], s[0:1], v[11:12]
	v_mul_f64 v[15:16], v[9:10], 0.5
	s_mov_b32 s0, 0xa17f65f6
	s_mov_b32 s10, 0x19e83e5c
	v_fma_f64 v[13:14], v[9:10], v[13:14], s[8:9]
	s_mov_b32 s1, 0xbe927e4f
	s_mov_b32 s11, 0xbf2a01a0
	;; [unrolled: 1-line block ×3, first 2 shown]
	v_fma_f64 v[11:12], v[9:10], v[11:12], s[0:1]
	v_add_f64 v[17:18], -v[15:16], 1.0
	s_mov_b32 s0, 0x11110bb3
	s_mov_b32 s9, 0x3efa01a0
	v_fma_f64 v[13:14], v[9:10], v[13:14], s[10:11]
	s_mov_b32 s1, 0x3f811111
	v_mul_f64 v[19:20], v[5:6], 0.5
	v_mul_f64 v[21:22], v[0:1], -v[9:10]
	v_fma_f64 v[11:12], v[9:10], v[11:12], s[8:9]
	v_add_f64 v[23:24], -v[17:18], 1.0
	s_and_b32 s14, s73, 0xff
	s_cmp_lt_i32 s14, 11
	v_fma_f64 v[13:14], v[9:10], v[13:14], s[0:1]
	s_mov_b32 s0, 0x16c16967
	s_mov_b32 s1, 0xbf56c16c
	v_fma_f64 v[11:12], v[9:10], v[11:12], s[0:1]
	v_add_f64 v[15:16], v[23:24], -v[15:16]
	s_mov_b32 s1, 0x3fa55555
	s_mov_b32 s0, 0x55555555
	v_fma_f64 v[13:14], v[21:22], v[13:14], v[19:20]
	v_mul_f64 v[19:20], v[9:10], v[9:10]
	v_fma_f64 v[11:12], v[9:10], v[11:12], s[0:1]
	v_fma_f64 v[15:16], v[0:1], -v[5:6], v[15:16]
	s_mov_b32 s1, 0xbfc55555
	v_fma_f64 v[5:6], v[9:10], v[13:14], -v[5:6]
	v_fma_f64 v[9:10], v[19:20], v[11:12], v[15:16]
	v_mov_b32_e32 v11, s25
	v_fma_f64 v[5:6], v[21:22], s[0:1], v[5:6]
	s_movk_i32 s0, 0x1f8
	v_cmp_class_f64_e64 s[0:1], v[3:4], s0
	v_add_f64 v[9:10], v[17:18], v[9:10]
	v_add_f64 v[0:1], v[0:1], -v[5:6]
	v_and_b32_e32 v5, 1, v8
	v_lshlrev_b32_e32 v6, 30, v8
	v_cmp_eq_u32_e32 vcc, 0, v5
	v_xor_b32_e32 v3, v6, v4
	v_and_b32_e32 v3, 0x80000000, v3
	v_mov_b32_e32 v8, 0x7ff80000
	v_cndmask_b32_e32 v1, v10, v1, vcc
	v_cndmask_b32_e32 v0, v9, v0, vcc
	v_xor_b32_e32 v1, v1, v3
	v_add_co_u32_e32 v4, vcc, s24, v2
	v_cndmask_b32_e64 v0, 0, v0, s[0:1]
	v_cndmask_b32_e64 v1, v8, v1, s[0:1]
	v_addc_co_u32_e32 v5, vcc, 0, v11, vcc
	s_cbranch_scc1 .LBB7_310
; %bb.303:
	s_and_b32 s15, 0xffff, s14
	s_cmp_gt_i32 s15, 25
	s_cbranch_scc0 .LBB7_312
; %bb.304:
	s_cmp_gt_i32 s15, 28
	s_cbranch_scc0 .LBB7_314
; %bb.305:
	;; [unrolled: 3-line block ×4, first 2 shown]
	s_mov_b64 s[10:11], 0
	s_mov_b64 s[0:1], -1
	s_cmp_eq_u32 s15, 46
	s_mov_b64 s[8:9], 0
	s_cbranch_scc0 .LBB7_326
; %bb.308:
	v_cvt_f32_f64_e32 v2, v[0:1]
	s_movk_i32 s0, 0x7fff
	v_mov_b32_e32 v3, 0x7fc0
	s_mov_b64 s[8:9], -1
	v_bfe_u32 v6, v2, 16, 1
	v_cmp_o_f32_e32 vcc, v2, v2
	v_add3_u32 v2, v2, v6, s0
	v_cndmask_b32_sdwa v2, v3, v2, vcc dst_sel:DWORD dst_unused:UNUSED_PAD src0_sel:DWORD src1_sel:WORD_1
	global_store_dword v[4:5], v2, off
	s_mov_b64 s[0:1], 0
	s_branch .LBB7_326
.LBB7_309:
	s_mov_b64 s[8:9], -1
	s_mov_b64 s[0:1], 0
	s_mov_b64 s[2:3], s[54:55]
                                        ; implicit-def: $vgpr3_vgpr4
	s_branch .LBB7_465
.LBB7_310:
	s_mov_b64 s[10:11], -1
	s_mov_b64 s[8:9], 0
	s_mov_b64 s[0:1], s[52:53]
	s_branch .LBB7_395
.LBB7_311:
	s_mov_b64 s[8:9], -1
	s_mov_b64 s[0:1], 0
	s_mov_b64 s[2:3], s[54:55]
                                        ; implicit-def: $vgpr3_vgpr4
	s_branch .LBB7_444
.LBB7_312:
	s_mov_b64 s[10:11], -1
	s_mov_b64 s[8:9], 0
	s_mov_b64 s[0:1], s[52:53]
	s_branch .LBB7_353
.LBB7_313:
	s_mov_b64 s[8:9], -1
	s_mov_b64 s[0:1], 0
	s_mov_b64 s[2:3], s[54:55]
                                        ; implicit-def: $vgpr3_vgpr4
	s_branch .LBB7_439
.LBB7_314:
	s_mov_b64 s[10:11], -1
	s_mov_b64 s[8:9], 0
	s_mov_b64 s[0:1], s[52:53]
	s_branch .LBB7_336
.LBB7_315:
	s_andn2_saveexec_b64 s[12:13], s[12:13]
	s_cbranch_execz .LBB7_72
.LBB7_316:
	s_mov_b32 s16, 0x46000000
	v_add_f32_e64 v3, |v2|, s16
	v_and_b32_e32 v3, 0xff, v3
	v_cmp_ne_u32_e32 vcc, 0, v3
	s_andn2_b64 s[10:11], s[10:11], exec
	s_and_b64 s[16:17], vcc, exec
	s_or_b64 s[10:11], s[10:11], s[16:17]
	s_or_b64 exec, exec, s[12:13]
	v_mov_b32_e32 v6, 0
	s_and_saveexec_b64 s[12:13], s[10:11]
	s_cbranch_execnz .LBB7_73
	s_branch .LBB7_74
.LBB7_317:
	s_mov_b64 s[8:9], -1
	s_mov_b64 s[0:1], 0
	s_mov_b64 s[2:3], s[54:55]
                                        ; implicit-def: $vgpr3_vgpr4
	s_branch .LBB7_322
.LBB7_318:
	s_mov_b64 s[10:11], -1
	s_mov_b64 s[8:9], 0
	s_mov_b64 s[0:1], s[52:53]
	s_branch .LBB7_332
.LBB7_319:
	s_andn2_saveexec_b64 s[12:13], s[12:13]
	s_cbranch_execz .LBB7_85
.LBB7_320:
	s_mov_b32 s16, 0x42800000
	v_add_f32_e64 v3, |v2|, s16
	v_and_b32_e32 v3, 0xff, v3
	v_cmp_ne_u32_e32 vcc, 0, v3
	s_andn2_b64 s[10:11], s[10:11], exec
	s_and_b64 s[16:17], vcc, exec
	s_or_b64 s[10:11], s[10:11], s[16:17]
	s_or_b64 exec, exec, s[12:13]
	v_mov_b32_e32 v6, 0
	s_and_saveexec_b64 s[12:13], s[10:11]
	s_cbranch_execnz .LBB7_86
	s_branch .LBB7_87
.LBB7_321:
	s_mov_b64 s[2:3], -1
                                        ; implicit-def: $vgpr3_vgpr4
	s_mov_b64 s[0:1], 0
.LBB7_322:
	s_and_b64 vcc, exec, s[8:9]
	s_cbranch_vccz .LBB7_438
; %bb.323:
	s_cmp_eq_u32 s12, 44
	s_cbranch_scc0 .LBB7_437
; %bb.324:
	global_load_ubyte v5, v[0:1], off
	s_movk_i32 s2, 0xff
	v_bfrev_b32_e32 v6, 4
	v_mov_b32_e32 v8, 0x7ff80000
	v_bfrev_b32_e32 v9, 28
	s_mov_b64 s[0:1], -1
	s_waitcnt vmcnt(0)
	v_lshlrev_b32_e32 v3, 23, v5
	v_cvt_f64_f32_e32 v[3:4], v3
	v_cmp_ne_u32_e32 vcc, s2, v5
	s_mov_b64 s[2:3], 0
	v_cndmask_b32_e32 v3, v6, v3, vcc
	v_cndmask_b32_e32 v4, v8, v4, vcc
	v_cmp_ne_u32_e32 vcc, 0, v5
	v_cndmask_b32_e32 v4, v9, v4, vcc
	v_cndmask_b32_e32 v3, 0, v3, vcc
	s_branch .LBB7_438
.LBB7_325:
	s_mov_b64 s[10:11], -1
	s_mov_b64 s[8:9], 0
	s_mov_b64 s[0:1], s[52:53]
.LBB7_326:
	s_and_b64 vcc, exec, s[10:11]
	s_cbranch_vccz .LBB7_331
; %bb.327:
	s_cmp_eq_u32 s15, 44
	s_mov_b64 s[0:1], -1
	s_cbranch_scc0 .LBB7_331
; %bb.328:
	v_cvt_f32_f64_e32 v2, v[0:1]
	s_movk_i32 s0, 0xff
	v_mov_b32_e32 v6, 0xff
	v_bfe_u32 v3, v2, 23, 8
	v_cmp_ne_u32_e32 vcc, s0, v3
	s_and_saveexec_b64 s[8:9], vcc
; %bb.329:
	s_mov_b32 s0, 0x3fffff
	v_lshrrev_b32_e32 v6, 23, v2
	v_and_b32_e32 v8, 0x400000, v2
	v_and_or_b32 v2, v2, s0, v3
	v_cmp_ne_u32_e32 vcc, 0, v8
	v_cmp_ne_u32_e64 s[0:1], 0, v2
	s_and_b64 s[0:1], vcc, s[0:1]
	v_cndmask_b32_e64 v2, 0, 1, s[0:1]
	v_add_u32_e32 v6, v6, v2
; %bb.330:
	s_or_b64 exec, exec, s[8:9]
	s_mov_b64 s[8:9], -1
	s_mov_b64 s[0:1], 0
	global_store_byte v[4:5], v6, off
.LBB7_331:
	s_mov_b64 s[10:11], 0
.LBB7_332:
	s_and_b64 vcc, exec, s[10:11]
	s_cbranch_vccz .LBB7_335
; %bb.333:
	s_cmp_eq_u32 s15, 29
	s_mov_b64 s[0:1], -1
	s_cbranch_scc0 .LBB7_335
; %bb.334:
	v_trunc_f64_e32 v[2:3], v[0:1]
	s_movk_i32 s0, 0xffe0
	s_mov_b64 s[8:9], -1
	s_mov_b64 s[10:11], 0
	v_ldexp_f64 v[8:9], v[2:3], s0
	s_mov_b32 s0, 0
	s_mov_b32 s1, 0xc1f00000
	v_floor_f64_e32 v[8:9], v[8:9]
	v_fma_f64 v[2:3], v[8:9], s[0:1], v[2:3]
	v_cvt_u32_f64_e32 v9, v[8:9]
	s_mov_b64 s[0:1], 0
	v_cvt_u32_f64_e32 v8, v[2:3]
	global_store_dwordx2 v[4:5], v[8:9], off
	s_branch .LBB7_336
.LBB7_335:
	s_mov_b64 s[10:11], 0
.LBB7_336:
	s_and_b64 vcc, exec, s[10:11]
	s_cbranch_vccz .LBB7_352
; %bb.337:
	s_cmp_lt_i32 s15, 27
	s_mov_b64 s[8:9], -1
	s_cbranch_scc1 .LBB7_343
; %bb.338:
	v_cvt_u32_f64_e32 v2, v[0:1]
	s_cmp_gt_i32 s15, 27
	s_cbranch_scc0 .LBB7_340
; %bb.339:
	s_mov_b64 s[8:9], 0
	global_store_dword v[4:5], v2, off
.LBB7_340:
	s_andn2_b64 vcc, exec, s[8:9]
	s_cbranch_vccnz .LBB7_342
; %bb.341:
	global_store_short v[4:5], v2, off
.LBB7_342:
	s_mov_b64 s[8:9], 0
.LBB7_343:
	s_andn2_b64 vcc, exec, s[8:9]
	s_cbranch_vccnz .LBB7_351
; %bb.344:
	v_cvt_f32_f64_e32 v2, v[0:1]
	s_mov_b32 s8, 0x43800000
	v_mov_b32_e32 v6, 0x80
	v_and_b32_e32 v3, 0x7fffffff, v2
	v_cmp_gt_u32_e32 vcc, s8, v3
	s_and_saveexec_b64 s[8:9], vcc
	s_cbranch_execz .LBB7_350
; %bb.345:
	s_mov_b32 s10, 0x3bffffff
	v_cmp_lt_u32_e32 vcc, s10, v3
	s_mov_b64 s[10:11], 0
                                        ; implicit-def: $vgpr3
	s_and_saveexec_b64 s[12:13], vcc
	s_xor_b64 s[12:13], exec, s[12:13]
	s_cbranch_execz .LBB7_578
; %bb.346:
	v_bfe_u32 v3, v2, 20, 1
	s_mov_b32 s16, 0x487ffff
	v_add3_u32 v3, v2, v3, s16
	s_mov_b64 s[10:11], exec
	v_lshrrev_b32_e32 v3, 20, v3
	s_andn2_saveexec_b64 s[12:13], s[12:13]
	s_cbranch_execnz .LBB7_579
.LBB7_347:
	s_or_b64 exec, exec, s[12:13]
	v_mov_b32_e32 v6, 0
	s_and_saveexec_b64 s[12:13], s[10:11]
.LBB7_348:
	v_lshrrev_b32_e32 v2, 24, v2
	s_movk_i32 s10, 0x80
	v_and_or_b32 v6, v2, s10, v3
.LBB7_349:
	s_or_b64 exec, exec, s[12:13]
.LBB7_350:
	s_or_b64 exec, exec, s[8:9]
	global_store_byte v[4:5], v6, off
.LBB7_351:
	s_mov_b64 s[8:9], -1
.LBB7_352:
	s_mov_b64 s[10:11], 0
.LBB7_353:
	s_and_b64 vcc, exec, s[10:11]
	s_cbranch_vccz .LBB7_394
; %bb.354:
	s_cmp_gt_i32 s15, 22
	s_mov_b64 s[10:11], -1
	s_cbranch_scc0 .LBB7_386
; %bb.355:
	s_cmp_lt_i32 s15, 24
	s_mov_b64 s[8:9], -1
	s_cbranch_scc1 .LBB7_375
; %bb.356:
	s_cmp_gt_i32 s15, 24
	s_cbranch_scc0 .LBB7_364
; %bb.357:
	v_cvt_f32_f64_e32 v2, v[0:1]
	s_mov_b32 s8, 0x47800000
	v_mov_b32_e32 v6, 0x80
	v_and_b32_e32 v3, 0x7fffffff, v2
	v_cmp_gt_u32_e32 vcc, s8, v3
	s_and_saveexec_b64 s[8:9], vcc
	s_cbranch_execz .LBB7_363
; %bb.358:
	s_mov_b32 s10, 0x37ffffff
	v_cmp_lt_u32_e32 vcc, s10, v3
	s_mov_b64 s[10:11], 0
                                        ; implicit-def: $vgpr3
	s_and_saveexec_b64 s[12:13], vcc
	s_xor_b64 s[12:13], exec, s[12:13]
	s_cbranch_execz .LBB7_581
; %bb.359:
	v_bfe_u32 v3, v2, 21, 1
	s_mov_b32 s16, 0x88fffff
	v_add3_u32 v3, v2, v3, s16
	s_mov_b64 s[10:11], exec
	v_lshrrev_b32_e32 v3, 21, v3
	s_andn2_saveexec_b64 s[12:13], s[12:13]
	s_cbranch_execnz .LBB7_582
.LBB7_360:
	s_or_b64 exec, exec, s[12:13]
	v_mov_b32_e32 v6, 0
	s_and_saveexec_b64 s[12:13], s[10:11]
.LBB7_361:
	v_lshrrev_b32_e32 v2, 24, v2
	s_movk_i32 s10, 0x80
	v_and_or_b32 v6, v2, s10, v3
.LBB7_362:
	s_or_b64 exec, exec, s[12:13]
.LBB7_363:
	s_or_b64 exec, exec, s[8:9]
	s_mov_b64 s[8:9], 0
	global_store_byte v[4:5], v6, off
.LBB7_364:
	s_and_b64 vcc, exec, s[8:9]
	s_cbranch_vccz .LBB7_374
; %bb.365:
	v_cvt_f32_f64_e32 v2, v[0:1]
	s_mov_b32 s8, 0x43f00000
                                        ; implicit-def: $vgpr3
	v_and_b32_e32 v6, 0x7fffffff, v2
	v_cmp_gt_u32_e32 vcc, s8, v6
	s_and_saveexec_b64 s[8:9], vcc
	s_xor_b64 s[8:9], exec, s[8:9]
	s_cbranch_execz .LBB7_371
; %bb.366:
	s_mov_b32 s10, 0x3c7fffff
	v_cmp_lt_u32_e32 vcc, s10, v6
                                        ; implicit-def: $vgpr3
	s_and_saveexec_b64 s[10:11], vcc
	s_xor_b64 s[10:11], exec, s[10:11]
; %bb.367:
	v_bfe_u32 v3, v2, 20, 1
	s_mov_b32 s12, 0x407ffff
	v_add3_u32 v3, v2, v3, s12
	v_lshrrev_b32_e32 v6, 20, v3
	v_and_b32_e32 v3, 0xff00000, v3
	s_mov_b32 s12, 0x7f00000
	v_mov_b32_e32 v8, 0x7e
	v_cmp_ne_u32_e32 vcc, s12, v3
	v_cndmask_b32_e32 v3, v8, v6, vcc
; %bb.368:
	s_andn2_saveexec_b64 s[10:11], s[10:11]
; %bb.369:
	s_mov_b32 s12, 0x46800000
	v_add_f32_e64 v3, |v2|, s12
; %bb.370:
	s_or_b64 exec, exec, s[10:11]
                                        ; implicit-def: $vgpr6
.LBB7_371:
	s_andn2_saveexec_b64 s[8:9], s[8:9]
; %bb.372:
	s_mov_b32 s10, 0x7f800000
	v_mov_b32_e32 v3, 0x7e
	v_mov_b32_e32 v8, 0x7f
	v_cmp_lt_u32_e32 vcc, s10, v6
	v_cndmask_b32_e32 v3, v3, v8, vcc
; %bb.373:
	s_or_b64 exec, exec, s[8:9]
	v_lshrrev_b32_e32 v2, 24, v2
	s_movk_i32 s8, 0x80
	v_and_or_b32 v2, v2, s8, v3
	global_store_byte v[4:5], v2, off
.LBB7_374:
	s_mov_b64 s[8:9], 0
.LBB7_375:
	s_andn2_b64 vcc, exec, s[8:9]
	s_cbranch_vccnz .LBB7_385
; %bb.376:
	v_cvt_f32_f64_e32 v2, v[0:1]
	s_mov_b32 s8, 0x47800000
                                        ; implicit-def: $vgpr3
	v_and_b32_e32 v6, 0x7fffffff, v2
	v_cmp_gt_u32_e32 vcc, s8, v6
	s_and_saveexec_b64 s[8:9], vcc
	s_xor_b64 s[8:9], exec, s[8:9]
	s_cbranch_execz .LBB7_382
; %bb.377:
	s_mov_b32 s10, 0x387fffff
	v_cmp_lt_u32_e32 vcc, s10, v6
                                        ; implicit-def: $vgpr3
	s_and_saveexec_b64 s[10:11], vcc
	s_xor_b64 s[10:11], exec, s[10:11]
; %bb.378:
	v_bfe_u32 v3, v2, 21, 1
	s_mov_b32 s12, 0x80fffff
	v_add3_u32 v3, v2, v3, s12
	v_lshrrev_b32_e32 v3, 21, v3
; %bb.379:
	s_andn2_saveexec_b64 s[10:11], s[10:11]
; %bb.380:
	s_mov_b32 s12, 0x43000000
	v_add_f32_e64 v3, |v2|, s12
; %bb.381:
	s_or_b64 exec, exec, s[10:11]
                                        ; implicit-def: $vgpr6
.LBB7_382:
	s_andn2_saveexec_b64 s[8:9], s[8:9]
; %bb.383:
	s_mov_b32 s10, 0x7f800000
	v_mov_b32_e32 v3, 0x7c
	v_mov_b32_e32 v8, 0x7f
	v_cmp_lt_u32_e32 vcc, s10, v6
	v_cndmask_b32_e32 v3, v3, v8, vcc
; %bb.384:
	s_or_b64 exec, exec, s[8:9]
	v_lshrrev_b32_e32 v2, 24, v2
	s_movk_i32 s8, 0x80
	v_and_or_b32 v2, v2, s8, v3
	global_store_byte v[4:5], v2, off
.LBB7_385:
	s_mov_b64 s[10:11], 0
	s_mov_b64 s[8:9], -1
.LBB7_386:
	s_andn2_b64 vcc, exec, s[10:11]
	s_cbranch_vccnz .LBB7_394
; %bb.387:
	s_cmp_gt_i32 s15, 14
	s_mov_b64 s[10:11], -1
	s_cbranch_scc0 .LBB7_391
; %bb.388:
	s_cmp_eq_u32 s15, 15
	s_mov_b64 s[0:1], -1
	s_cbranch_scc0 .LBB7_390
; %bb.389:
	v_cvt_f32_f64_e32 v2, v[0:1]
	s_movk_i32 s0, 0x7fff
	v_mov_b32_e32 v3, 0x7fc0
	s_mov_b64 s[8:9], -1
	v_bfe_u32 v6, v2, 16, 1
	v_cmp_o_f32_e32 vcc, v2, v2
	v_add3_u32 v2, v2, v6, s0
	v_cndmask_b32_sdwa v2, v3, v2, vcc dst_sel:DWORD dst_unused:UNUSED_PAD src0_sel:DWORD src1_sel:WORD_1
	global_store_short v[4:5], v2, off
	s_mov_b64 s[0:1], 0
.LBB7_390:
	s_mov_b64 s[10:11], 0
.LBB7_391:
	s_and_b64 vcc, exec, s[10:11]
	s_cbranch_vccz .LBB7_394
; %bb.392:
	s_cmp_eq_u32 s15, 11
	s_mov_b64 s[0:1], -1
	s_cbranch_scc0 .LBB7_394
; %bb.393:
	v_cmp_neq_f64_e32 vcc, 0, v[0:1]
	s_mov_b64 s[0:1], 0
	s_mov_b64 s[8:9], -1
	v_cndmask_b32_e64 v2, 0, 1, vcc
	global_store_byte v[4:5], v2, off
.LBB7_394:
	s_mov_b64 s[10:11], 0
.LBB7_395:
	s_and_b64 vcc, exec, s[10:11]
	s_cbranch_vccz .LBB7_434
; %bb.396:
	s_and_b32 s10, 0xffff, s14
	s_cmp_lt_i32 s10, 5
	s_mov_b64 s[8:9], -1
	s_cbranch_scc1 .LBB7_417
; %bb.397:
	s_cmp_lt_i32 s10, 8
	s_cbranch_scc1 .LBB7_407
; %bb.398:
	s_cmp_lt_i32 s10, 9
	s_cbranch_scc1 .LBB7_404
; %bb.399:
	s_cmp_gt_i32 s10, 9
	s_cbranch_scc0 .LBB7_401
; %bb.400:
	v_mov_b32_e32 v2, 0
	v_mov_b32_e32 v3, v2
	s_mov_b64 s[8:9], 0
	global_store_dwordx4 v[4:5], v[0:3], off
.LBB7_401:
	s_andn2_b64 vcc, exec, s[8:9]
	s_cbranch_vccnz .LBB7_403
; %bb.402:
	v_cvt_f32_f64_e32 v2, v[0:1]
	v_mov_b32_e32 v3, 0
	global_store_dwordx2 v[4:5], v[2:3], off
.LBB7_403:
	s_mov_b64 s[8:9], 0
.LBB7_404:
	s_andn2_b64 vcc, exec, s[8:9]
	s_cbranch_vccnz .LBB7_406
; %bb.405:
	s_movk_i32 s8, 0x1ff
	v_and_or_b32 v2, v1, s8, v0
	v_cmp_ne_u32_e32 vcc, 0, v2
	v_cndmask_b32_e64 v2, 0, 1, vcc
	v_lshrrev_b32_e32 v3, 8, v1
	s_movk_i32 s8, 0xffe
	v_bfe_u32 v6, v1, 20, 11
	v_and_or_b32 v2, v3, s8, v2
	v_sub_u32_e32 v8, 0x3f1, v6
	v_or_b32_e32 v3, 0x1000, v2
	v_med3_i32 v8, v8, 0, 13
	v_lshrrev_b32_e32 v9, v8, v3
	v_lshlrev_b32_e32 v8, v8, v9
	v_cmp_ne_u32_e32 vcc, v8, v3
	v_cndmask_b32_e64 v3, 0, 1, vcc
	v_add_u32_e32 v6, 0xfffffc10, v6
	v_or_b32_e32 v3, v9, v3
	v_lshl_or_b32 v8, v6, 12, v2
	v_cmp_gt_i32_e32 vcc, 1, v6
	v_cndmask_b32_e32 v3, v8, v3, vcc
	v_and_b32_e32 v8, 7, v3
	v_cmp_lt_i32_e32 vcc, 5, v8
	v_cndmask_b32_e64 v9, 0, 1, vcc
	v_cmp_eq_u32_e32 vcc, 3, v8
	v_cndmask_b32_e64 v8, 0, 1, vcc
	v_or_b32_e32 v8, v8, v9
	v_lshrrev_b32_e32 v3, 2, v3
	v_add_u32_e32 v3, v3, v8
	v_mov_b32_e32 v8, 0x7c00
	v_cmp_gt_i32_e32 vcc, 31, v6
	v_cndmask_b32_e32 v3, v8, v3, vcc
	v_mov_b32_e32 v9, 0x7e00
	v_cmp_ne_u32_e32 vcc, 0, v2
	s_movk_i32 s8, 0x40f
	v_cndmask_b32_e32 v2, v8, v9, vcc
	v_cmp_eq_u32_e32 vcc, s8, v6
	v_cndmask_b32_e32 v2, v3, v2, vcc
	v_lshrrev_b32_e32 v3, 16, v1
	s_mov_b32 s8, 0x8000
	v_and_or_b32 v2, v3, s8, v2
	v_and_b32_e32 v2, 0xffff, v2
	global_store_dword v[4:5], v2, off
.LBB7_406:
	s_mov_b64 s[8:9], 0
.LBB7_407:
	s_andn2_b64 vcc, exec, s[8:9]
	s_cbranch_vccnz .LBB7_416
; %bb.408:
	s_cmp_lt_i32 s10, 6
	s_mov_b64 s[8:9], -1
	s_cbranch_scc1 .LBB7_414
; %bb.409:
	s_cmp_gt_i32 s10, 6
	s_cbranch_scc0 .LBB7_411
; %bb.410:
	s_mov_b64 s[8:9], 0
	global_store_dwordx2 v[4:5], v[0:1], off
.LBB7_411:
	s_andn2_b64 vcc, exec, s[8:9]
	s_cbranch_vccnz .LBB7_413
; %bb.412:
	v_cvt_f32_f64_e32 v2, v[0:1]
	global_store_dword v[4:5], v2, off
.LBB7_413:
	s_mov_b64 s[8:9], 0
.LBB7_414:
	s_andn2_b64 vcc, exec, s[8:9]
	s_cbranch_vccnz .LBB7_416
; %bb.415:
	s_movk_i32 s8, 0x1ff
	v_and_or_b32 v2, v1, s8, v0
	v_cmp_ne_u32_e32 vcc, 0, v2
	v_cndmask_b32_e64 v2, 0, 1, vcc
	v_lshrrev_b32_e32 v3, 8, v1
	s_movk_i32 s8, 0xffe
	v_bfe_u32 v6, v1, 20, 11
	v_and_or_b32 v2, v3, s8, v2
	v_sub_u32_e32 v8, 0x3f1, v6
	v_or_b32_e32 v3, 0x1000, v2
	v_med3_i32 v8, v8, 0, 13
	v_lshrrev_b32_e32 v9, v8, v3
	v_lshlrev_b32_e32 v8, v8, v9
	v_cmp_ne_u32_e32 vcc, v8, v3
	v_cndmask_b32_e64 v3, 0, 1, vcc
	v_add_u32_e32 v6, 0xfffffc10, v6
	v_or_b32_e32 v3, v9, v3
	v_lshl_or_b32 v8, v6, 12, v2
	v_cmp_gt_i32_e32 vcc, 1, v6
	v_cndmask_b32_e32 v3, v8, v3, vcc
	v_and_b32_e32 v8, 7, v3
	v_cmp_lt_i32_e32 vcc, 5, v8
	v_cndmask_b32_e64 v9, 0, 1, vcc
	v_cmp_eq_u32_e32 vcc, 3, v8
	v_cndmask_b32_e64 v8, 0, 1, vcc
	v_or_b32_e32 v8, v8, v9
	v_lshrrev_b32_e32 v3, 2, v3
	v_add_u32_e32 v3, v3, v8
	v_mov_b32_e32 v8, 0x7c00
	v_cmp_gt_i32_e32 vcc, 31, v6
	v_cndmask_b32_e32 v3, v8, v3, vcc
	v_mov_b32_e32 v9, 0x7e00
	v_cmp_ne_u32_e32 vcc, 0, v2
	s_movk_i32 s8, 0x40f
	v_cndmask_b32_e32 v2, v8, v9, vcc
	v_cmp_eq_u32_e32 vcc, s8, v6
	v_cndmask_b32_e32 v2, v3, v2, vcc
	v_lshrrev_b32_e32 v3, 16, v1
	s_mov_b32 s8, 0x8000
	v_and_or_b32 v2, v3, s8, v2
	global_store_short v[4:5], v2, off
.LBB7_416:
	s_mov_b64 s[8:9], 0
.LBB7_417:
	s_andn2_b64 vcc, exec, s[8:9]
	s_cbranch_vccnz .LBB7_433
; %bb.418:
	s_cmp_lt_i32 s10, 2
	s_mov_b64 s[8:9], -1
	s_cbranch_scc1 .LBB7_428
; %bb.419:
	s_cmp_lt_i32 s10, 3
	s_cbranch_scc1 .LBB7_425
; %bb.420:
	s_cmp_gt_i32 s10, 3
	s_cbranch_scc0 .LBB7_422
; %bb.421:
	v_trunc_f64_e32 v[2:3], v[0:1]
	s_movk_i32 s8, 0xffe0
	v_ldexp_f64 v[8:9], v[2:3], s8
	s_mov_b32 s8, 0
	s_mov_b32 s9, 0xc1f00000
	v_floor_f64_e32 v[8:9], v[8:9]
	v_fma_f64 v[2:3], v[8:9], s[8:9], v[2:3]
	v_cvt_i32_f64_e32 v9, v[8:9]
	s_mov_b64 s[8:9], 0
	v_cvt_u32_f64_e32 v8, v[2:3]
	global_store_dwordx2 v[4:5], v[8:9], off
.LBB7_422:
	s_andn2_b64 vcc, exec, s[8:9]
	s_cbranch_vccnz .LBB7_424
; %bb.423:
	v_cvt_i32_f64_e32 v2, v[0:1]
	global_store_dword v[4:5], v2, off
.LBB7_424:
	s_mov_b64 s[8:9], 0
.LBB7_425:
	s_andn2_b64 vcc, exec, s[8:9]
	s_cbranch_vccnz .LBB7_427
; %bb.426:
	v_cvt_i32_f64_e32 v2, v[0:1]
	global_store_short v[4:5], v2, off
.LBB7_427:
	s_mov_b64 s[8:9], 0
.LBB7_428:
	s_andn2_b64 vcc, exec, s[8:9]
	s_cbranch_vccnz .LBB7_433
; %bb.429:
	s_cmp_gt_i32 s10, 0
	s_mov_b64 s[8:9], -1
	s_cbranch_scc0 .LBB7_431
; %bb.430:
	v_cvt_i32_f64_e32 v2, v[0:1]
	s_mov_b64 s[8:9], 0
	global_store_byte v[4:5], v2, off
.LBB7_431:
	s_andn2_b64 vcc, exec, s[8:9]
	s_cbranch_vccnz .LBB7_433
; %bb.432:
	v_trunc_f64_e32 v[0:1], v[0:1]
	s_movk_i32 s8, 0xffe0
	v_ldexp_f64 v[2:3], v[0:1], s8
	s_mov_b32 s8, 0
	s_mov_b32 s9, 0xc1f00000
	v_floor_f64_e32 v[2:3], v[2:3]
	v_fma_f64 v[0:1], v[2:3], s[8:9], v[0:1]
	v_cvt_u32_f64_e32 v0, v[0:1]
	global_store_byte v[4:5], v0, off
.LBB7_433:
	s_mov_b64 s[8:9], -1
.LBB7_434:
	s_andn2_b64 vcc, exec, s[8:9]
	s_cbranch_vccnz .LBB7_436
; %bb.435:
	v_add_u32_e32 v7, 0x80, v7
	s_mov_b64 s[8:9], -1
	s_branch .LBB7_549
.LBB7_436:
	s_mov_b64 s[8:9], 0
	s_branch .LBB7_548
.LBB7_437:
	s_mov_b64 s[2:3], -1
                                        ; implicit-def: $vgpr3_vgpr4
.LBB7_438:
	s_mov_b64 s[8:9], 0
.LBB7_439:
	s_and_b64 vcc, exec, s[8:9]
	s_cbranch_vccz .LBB7_443
; %bb.440:
	s_cmp_eq_u32 s12, 29
	s_cbranch_scc0 .LBB7_442
; %bb.441:
	global_load_dwordx2 v[3:4], v[0:1], off
	s_mov_b64 s[0:1], -1
	s_mov_b64 s[2:3], 0
	s_mov_b64 s[8:9], 0
	s_waitcnt vmcnt(0)
	v_cvt_f64_u32_e32 v[4:5], v4
	v_cvt_f64_u32_e32 v[8:9], v3
	v_ldexp_f64 v[4:5], v[4:5], 32
	v_add_f64 v[3:4], v[4:5], v[8:9]
	s_branch .LBB7_444
.LBB7_442:
	s_mov_b64 s[2:3], -1
                                        ; implicit-def: $vgpr3_vgpr4
.LBB7_443:
	s_mov_b64 s[8:9], 0
.LBB7_444:
	s_and_b64 vcc, exec, s[8:9]
	s_cbranch_vccz .LBB7_464
; %bb.445:
	s_cmp_lt_i32 s12, 27
	s_cbranch_scc1 .LBB7_448
; %bb.446:
	s_cmp_gt_i32 s12, 27
	s_cbranch_scc0 .LBB7_449
; %bb.447:
	global_load_dword v3, v[0:1], off
	s_mov_b64 s[0:1], 0
	s_waitcnt vmcnt(0)
	v_cvt_f64_u32_e32 v[3:4], v3
	s_branch .LBB7_450
.LBB7_448:
	s_mov_b64 s[0:1], -1
                                        ; implicit-def: $vgpr3_vgpr4
	s_branch .LBB7_453
.LBB7_449:
	s_mov_b64 s[0:1], -1
                                        ; implicit-def: $vgpr3_vgpr4
.LBB7_450:
	s_andn2_b64 vcc, exec, s[0:1]
	s_cbranch_vccnz .LBB7_452
; %bb.451:
	global_load_ushort v3, v[0:1], off
	s_waitcnt vmcnt(0)
	v_cvt_f64_u32_e32 v[3:4], v3
.LBB7_452:
	s_mov_b64 s[0:1], 0
.LBB7_453:
	s_andn2_b64 vcc, exec, s[0:1]
	s_cbranch_vccnz .LBB7_463
; %bb.454:
	global_load_ubyte v5, v[0:1], off
	s_movk_i32 s0, 0x7f
	s_waitcnt vmcnt(0)
	v_cmp_lt_i16_e32 vcc, s0, v5
	s_mov_b64 s[0:1], 0
	s_and_saveexec_b64 s[8:9], vcc
	s_xor_b64 s[8:9], exec, s[8:9]
	s_cbranch_execz .LBB7_458
; %bb.455:
	s_movk_i32 s0, 0x80
	v_cmp_eq_u16_e32 vcc, s0, v5
	s_mov_b64 s[0:1], -1
	s_and_saveexec_b64 s[10:11], vcc
; %bb.456:
	s_xor_b64 s[0:1], exec, -1
; %bb.457:
	s_or_b64 exec, exec, s[10:11]
	s_and_b64 s[0:1], s[0:1], exec
.LBB7_458:
	s_or_saveexec_b64 s[8:9], s[8:9]
	v_bfrev_b32_e32 v3, 4
	v_mov_b32_e32 v4, 0x7ff80000
	s_xor_b64 exec, exec, s[8:9]
; %bb.459:
	v_cmp_ne_u16_e32 vcc, 0, v5
	v_mov_b32_e32 v3, 0
	s_andn2_b64 s[0:1], s[0:1], exec
	s_and_b64 s[10:11], vcc, exec
	v_mov_b32_e32 v4, 0
	s_or_b64 s[0:1], s[0:1], s[10:11]
; %bb.460:
	s_or_b64 exec, exec, s[8:9]
	s_and_saveexec_b64 s[8:9], s[0:1]
	s_cbranch_execz .LBB7_462
; %bb.461:
	v_and_b32_e32 v4, 0xffff, v5
	v_lshlrev_b32_e32 v3, 24, v5
	v_and_b32_e32 v5, 7, v4
	v_ffbh_u32_e32 v8, v5
	v_min_u32_e32 v8, 32, v8
	v_subrev_u32_e32 v9, 28, v8
	v_bfe_u32 v6, v4, 3, 4
	v_lshlrev_b32_e32 v4, v9, v4
	v_sub_u32_e32 v8, 29, v8
	v_and_b32_e32 v4, 7, v4
	v_cmp_eq_u32_e32 vcc, 0, v6
	v_cndmask_b32_e32 v6, v6, v8, vcc
	v_cndmask_b32_e32 v4, v5, v4, vcc
	v_mov_b32_e32 v5, 0x3b800000
	v_lshlrev_b32_e32 v4, 20, v4
	v_and_b32_e32 v3, 0x80000000, v3
	v_lshl_add_u32 v5, v6, 23, v5
	v_or3_b32 v3, v3, v5, v4
	v_cvt_f64_f32_e32 v[3:4], v3
.LBB7_462:
	s_or_b64 exec, exec, s[8:9]
.LBB7_463:
	s_mov_b64 s[0:1], -1
.LBB7_464:
	s_mov_b64 s[8:9], 0
.LBB7_465:
	s_and_b64 vcc, exec, s[8:9]
	s_cbranch_vccz .LBB7_498
; %bb.466:
	s_cmp_gt_i32 s12, 22
	s_cbranch_scc0 .LBB7_478
; %bb.467:
	s_cmp_lt_i32 s12, 24
	s_cbranch_scc1 .LBB7_479
; %bb.468:
	s_cmp_gt_i32 s12, 24
	s_cbranch_scc0 .LBB7_480
; %bb.469:
	global_load_ubyte v5, v[0:1], off
	s_movk_i32 s0, 0x7f
	s_waitcnt vmcnt(0)
	v_cmp_lt_i16_e32 vcc, s0, v5
	s_mov_b64 s[0:1], 0
	s_and_saveexec_b64 s[8:9], vcc
	s_xor_b64 s[8:9], exec, s[8:9]
	s_cbranch_execz .LBB7_473
; %bb.470:
	s_movk_i32 s0, 0x80
	v_cmp_eq_u16_e32 vcc, s0, v5
	s_mov_b64 s[0:1], -1
	s_and_saveexec_b64 s[10:11], vcc
; %bb.471:
	s_xor_b64 s[0:1], exec, -1
; %bb.472:
	s_or_b64 exec, exec, s[10:11]
	s_and_b64 s[0:1], s[0:1], exec
.LBB7_473:
	s_or_saveexec_b64 s[8:9], s[8:9]
	v_bfrev_b32_e32 v3, 4
	v_mov_b32_e32 v4, 0x7ff80000
	s_xor_b64 exec, exec, s[8:9]
; %bb.474:
	v_cmp_ne_u16_e32 vcc, 0, v5
	v_mov_b32_e32 v3, 0
	s_andn2_b64 s[0:1], s[0:1], exec
	s_and_b64 s[10:11], vcc, exec
	v_mov_b32_e32 v4, 0
	s_or_b64 s[0:1], s[0:1], s[10:11]
; %bb.475:
	s_or_b64 exec, exec, s[8:9]
	s_and_saveexec_b64 s[8:9], s[0:1]
	s_cbranch_execz .LBB7_477
; %bb.476:
	v_and_b32_e32 v4, 0xffff, v5
	v_lshlrev_b32_e32 v3, 24, v5
	v_and_b32_e32 v5, 3, v4
	v_ffbh_u32_e32 v8, v5
	v_min_u32_e32 v8, 32, v8
	v_subrev_u32_e32 v9, 29, v8
	v_bfe_u32 v6, v4, 2, 5
	v_lshlrev_b32_e32 v4, v9, v4
	v_sub_u32_e32 v8, 30, v8
	v_and_b32_e32 v4, 3, v4
	v_cmp_eq_u32_e32 vcc, 0, v6
	v_cndmask_b32_e32 v6, v6, v8, vcc
	v_cndmask_b32_e32 v4, v5, v4, vcc
	v_mov_b32_e32 v5, 0x37800000
	v_lshlrev_b32_e32 v4, 21, v4
	v_and_b32_e32 v3, 0x80000000, v3
	v_lshl_add_u32 v5, v6, 23, v5
	v_or3_b32 v3, v3, v5, v4
	v_cvt_f64_f32_e32 v[3:4], v3
.LBB7_477:
	s_or_b64 exec, exec, s[8:9]
	s_mov_b64 s[0:1], 0
	s_branch .LBB7_481
.LBB7_478:
	s_mov_b64 s[8:9], -1
                                        ; implicit-def: $vgpr3_vgpr4
	s_branch .LBB7_487
.LBB7_479:
	s_mov_b64 s[0:1], -1
                                        ; implicit-def: $vgpr3_vgpr4
	s_branch .LBB7_484
.LBB7_480:
	s_mov_b64 s[0:1], -1
                                        ; implicit-def: $vgpr3_vgpr4
.LBB7_481:
	s_and_b64 vcc, exec, s[0:1]
	s_cbranch_vccz .LBB7_483
; %bb.482:
	global_load_ubyte v3, v[0:1], off
	s_mov_b32 s0, 0x7f800000
	s_waitcnt vmcnt(0)
	v_lshlrev_b32_e32 v3, 24, v3
	v_and_b32_e32 v4, 0x7f000000, v3
	v_ffbh_u32_e32 v5, v4
	v_min_u32_e32 v5, 32, v5
	v_sub_u32_e64 v5, v5, 4 clamp
	v_lshlrev_b32_e32 v8, v5, v4
	v_lshlrev_b32_e32 v5, 23, v5
	v_lshrrev_b32_e32 v8, 4, v8
	v_add_u32_e32 v6, 0x1000000, v4
	v_sub_u32_e32 v5, v8, v5
	v_ashrrev_i32_e32 v6, 8, v6
	v_add_u32_e32 v5, 0x3c000000, v5
	v_and_or_b32 v5, v6, s0, v5
	v_cmp_ne_u32_e32 vcc, 0, v4
	v_cndmask_b32_e32 v4, 0, v5, vcc
	s_brev_b32 s0, 1
	v_and_or_b32 v3, v3, s0, v4
	v_cvt_f64_f32_e32 v[3:4], v3
.LBB7_483:
	s_mov_b64 s[0:1], 0
.LBB7_484:
	s_andn2_b64 vcc, exec, s[0:1]
	s_cbranch_vccnz .LBB7_486
; %bb.485:
	global_load_ubyte v3, v[0:1], off
	s_movk_i32 s0, 0x7f00
	s_brev_b32 s1, 16
	s_waitcnt vmcnt(0)
	v_lshlrev_b16_e32 v4, 8, v3
	v_lshlrev_b32_e32 v3, 25, v3
	v_lshrrev_b32_e32 v5, 4, v3
	v_and_or_b32 v6, v4, s0, 0.5
	v_or_b32_e32 v5, 0x70000000, v5
	v_add_f32_e32 v6, -0.5, v6
	v_mul_f32_e32 v5, 0x7800000, v5
	v_cmp_gt_u32_e32 vcc, s1, v3
	v_bfe_i32 v4, v4, 0, 16
	v_cndmask_b32_e32 v3, v5, v6, vcc
	s_brev_b32 s0, 1
	v_and_or_b32 v3, v4, s0, v3
	v_cvt_f64_f32_e32 v[3:4], v3
.LBB7_486:
	s_mov_b64 s[8:9], 0
	s_mov_b64 s[0:1], -1
.LBB7_487:
	s_andn2_b64 vcc, exec, s[8:9]
	s_cbranch_vccnz .LBB7_498
; %bb.488:
	s_cmp_gt_i32 s12, 14
	s_cbranch_scc0 .LBB7_491
; %bb.489:
	s_cmp_eq_u32 s12, 15
	s_cbranch_scc0 .LBB7_492
; %bb.490:
	global_load_ushort v3, v[0:1], off
	s_mov_b64 s[0:1], -1
	s_mov_b64 s[2:3], 0
	s_waitcnt vmcnt(0)
	v_lshlrev_b32_e32 v3, 16, v3
	v_cvt_f64_f32_e32 v[3:4], v3
	s_branch .LBB7_493
.LBB7_491:
	s_mov_b64 s[8:9], -1
                                        ; implicit-def: $vgpr3_vgpr4
	s_branch .LBB7_494
.LBB7_492:
	s_mov_b64 s[2:3], -1
                                        ; implicit-def: $vgpr3_vgpr4
.LBB7_493:
	s_mov_b64 s[8:9], 0
.LBB7_494:
	s_and_b64 vcc, exec, s[8:9]
	s_cbranch_vccz .LBB7_498
; %bb.495:
	s_cmp_eq_u32 s12, 11
	s_cbranch_scc0 .LBB7_497
; %bb.496:
	global_load_ubyte v4, v[0:1], off
	v_mov_b32_e32 v5, 0x3ff00000
	s_waitcnt vmcnt(1)
	v_mov_b32_e32 v3, 0
	s_mov_b64 s[0:1], -1
	s_mov_b64 s[2:3], 0
	s_waitcnt vmcnt(0)
	v_cmp_ne_u16_e32 vcc, 0, v4
	v_cndmask_b32_e32 v4, 0, v5, vcc
	s_branch .LBB7_498
.LBB7_497:
	s_mov_b64 s[2:3], -1
                                        ; implicit-def: $vgpr3_vgpr4
.LBB7_498:
	s_branch .LBB7_297
.LBB7_499:
	s_cmp_lt_i32 s12, 5
	s_cbranch_scc1 .LBB7_504
; %bb.500:
	s_cmp_lt_i32 s12, 8
	s_cbranch_scc1 .LBB7_505
; %bb.501:
	;; [unrolled: 3-line block ×3, first 2 shown]
	s_cmp_gt_i32 s12, 9
	s_cbranch_scc0 .LBB7_507
; %bb.503:
	global_load_dwordx2 v[3:4], v[0:1], off
	s_mov_b64 s[0:1], 0
	s_branch .LBB7_508
.LBB7_504:
	s_mov_b64 s[0:1], -1
                                        ; implicit-def: $vgpr3_vgpr4
	s_branch .LBB7_526
.LBB7_505:
	s_mov_b64 s[0:1], -1
                                        ; implicit-def: $vgpr3_vgpr4
	s_branch .LBB7_514
.LBB7_506:
	s_mov_b64 s[0:1], -1
                                        ; implicit-def: $vgpr3_vgpr4
	s_branch .LBB7_511
.LBB7_507:
	s_mov_b64 s[0:1], -1
                                        ; implicit-def: $vgpr3_vgpr4
.LBB7_508:
	s_andn2_b64 vcc, exec, s[0:1]
	s_cbranch_vccnz .LBB7_510
; %bb.509:
	global_load_dword v3, v[0:1], off
	s_waitcnt vmcnt(0)
	v_cvt_f64_f32_e32 v[3:4], v3
.LBB7_510:
	s_mov_b64 s[0:1], 0
.LBB7_511:
	s_andn2_b64 vcc, exec, s[0:1]
	s_cbranch_vccnz .LBB7_513
; %bb.512:
	global_load_dword v3, v[0:1], off
	s_waitcnt vmcnt(0)
	v_cvt_f32_f16_e32 v3, v3
	v_cvt_f64_f32_e32 v[3:4], v3
.LBB7_513:
	s_mov_b64 s[0:1], 0
.LBB7_514:
	s_andn2_b64 vcc, exec, s[0:1]
	s_cbranch_vccnz .LBB7_525
; %bb.515:
	s_cmp_lt_i32 s12, 6
	s_cbranch_scc1 .LBB7_518
; %bb.516:
	s_cmp_gt_i32 s12, 6
	s_cbranch_scc0 .LBB7_519
; %bb.517:
	global_load_dwordx2 v[3:4], v[0:1], off
	s_mov_b64 s[0:1], 0
	s_branch .LBB7_520
.LBB7_518:
	s_mov_b64 s[0:1], -1
                                        ; implicit-def: $vgpr3_vgpr4
	s_branch .LBB7_523
.LBB7_519:
	s_mov_b64 s[0:1], -1
                                        ; implicit-def: $vgpr3_vgpr4
.LBB7_520:
	s_andn2_b64 vcc, exec, s[0:1]
	s_cbranch_vccnz .LBB7_522
; %bb.521:
	global_load_dword v3, v[0:1], off
	s_waitcnt vmcnt(0)
	v_cvt_f64_f32_e32 v[3:4], v3
.LBB7_522:
	s_mov_b64 s[0:1], 0
.LBB7_523:
	s_andn2_b64 vcc, exec, s[0:1]
	s_cbranch_vccnz .LBB7_525
; %bb.524:
	global_load_ushort v3, v[0:1], off
	s_waitcnt vmcnt(0)
	v_cvt_f32_f16_e32 v3, v3
	v_cvt_f64_f32_e32 v[3:4], v3
.LBB7_525:
	s_mov_b64 s[0:1], 0
.LBB7_526:
	s_andn2_b64 vcc, exec, s[0:1]
	s_cbranch_vccnz .LBB7_546
; %bb.527:
	s_cmp_lt_i32 s12, 2
	s_cbranch_scc1 .LBB7_531
; %bb.528:
	s_cmp_lt_i32 s12, 3
	s_cbranch_scc1 .LBB7_532
; %bb.529:
	s_cmp_gt_i32 s12, 3
	s_cbranch_scc0 .LBB7_533
; %bb.530:
	global_load_dwordx2 v[3:4], v[0:1], off
	s_mov_b64 s[0:1], 0
	s_waitcnt vmcnt(0)
	v_cvt_f64_i32_e32 v[4:5], v4
	v_cvt_f64_u32_e32 v[8:9], v3
	v_ldexp_f64 v[4:5], v[4:5], 32
	v_add_f64 v[3:4], v[4:5], v[8:9]
	s_branch .LBB7_534
.LBB7_531:
	s_mov_b64 s[0:1], -1
                                        ; implicit-def: $vgpr3_vgpr4
	s_branch .LBB7_540
.LBB7_532:
	s_mov_b64 s[0:1], -1
                                        ; implicit-def: $vgpr3_vgpr4
	s_branch .LBB7_537
.LBB7_533:
	s_mov_b64 s[0:1], -1
                                        ; implicit-def: $vgpr3_vgpr4
.LBB7_534:
	s_andn2_b64 vcc, exec, s[0:1]
	s_cbranch_vccnz .LBB7_536
; %bb.535:
	global_load_dword v3, v[0:1], off
	s_waitcnt vmcnt(0)
	v_cvt_f64_i32_e32 v[3:4], v3
.LBB7_536:
	s_mov_b64 s[0:1], 0
.LBB7_537:
	s_andn2_b64 vcc, exec, s[0:1]
	s_cbranch_vccnz .LBB7_539
; %bb.538:
	global_load_sshort v3, v[0:1], off
	s_waitcnt vmcnt(0)
	v_cvt_f64_i32_e32 v[3:4], v3
.LBB7_539:
	s_mov_b64 s[0:1], 0
.LBB7_540:
	s_andn2_b64 vcc, exec, s[0:1]
	s_cbranch_vccnz .LBB7_546
; %bb.541:
	s_cmp_gt_i32 s12, 0
	s_cbranch_scc0 .LBB7_543
; %bb.542:
	global_load_sbyte v3, v[0:1], off
	s_mov_b64 s[0:1], 0
	s_waitcnt vmcnt(0)
	v_cvt_f64_i32_e32 v[3:4], v3
	s_branch .LBB7_544
.LBB7_543:
	s_mov_b64 s[0:1], -1
                                        ; implicit-def: $vgpr3_vgpr4
.LBB7_544:
	s_andn2_b64 vcc, exec, s[0:1]
	s_cbranch_vccnz .LBB7_546
; %bb.545:
	global_load_ubyte v0, v[0:1], off
	s_waitcnt vmcnt(0)
	v_cvt_f64_u32_e32 v[3:4], v0
.LBB7_546:
	s_branch .LBB7_298
.LBB7_547:
	s_mov_b64 s[8:9], 0
	s_mov_b64 s[0:1], s[52:53]
.LBB7_548:
                                        ; implicit-def: $vgpr7
.LBB7_549:
	s_andn2_b64 s[10:11], s[52:53], exec
	s_and_b64 s[0:1], s[0:1], exec
	s_or_b64 s[60:61], s[10:11], s[0:1]
	s_andn2_b64 s[0:1], s[54:55], exec
	s_and_b64 s[2:3], s[2:3], exec
	s_or_b64 s[58:59], s[0:1], s[2:3]
	s_orn2_b64 s[0:1], s[8:9], exec
.LBB7_550:
	s_or_b64 exec, exec, s[62:63]
	s_mov_b64 s[2:3], 0
	s_mov_b64 s[8:9], 0
	;; [unrolled: 1-line block ×3, first 2 shown]
                                        ; implicit-def: $vgpr0_vgpr1
                                        ; implicit-def: $vgpr2
                                        ; implicit-def: $vgpr3_vgpr4
	s_and_saveexec_b64 s[62:63], s[0:1]
	s_cbranch_execz .LBB7_929
; %bb.551:
	v_cmp_gt_i32_e32 vcc, s70, v7
	s_mov_b64 s[2:3], -1
	s_mov_b64 s[66:67], s[58:59]
	s_mov_b64 s[68:69], s[60:61]
	s_and_saveexec_b64 s[64:65], vcc
	s_cbranch_execz .LBB7_829
; %bb.552:
	s_andn2_b64 vcc, exec, s[40:41]
	s_cbranch_vccnz .LBB7_557
; %bb.553:
	s_andn2_b64 vcc, exec, s[50:51]
	s_cbranch_vccnz .LBB7_558
; %bb.554:
	s_add_i32 s76, s75, 1
	s_cmp_eq_u32 s72, 2
	s_cbranch_scc1 .LBB7_559
; %bb.555:
	s_and_b32 s71, s76, 28
	v_mov_b32_e32 v0, 0
	s_mov_b32 s77, 0
	s_mov_b64 s[66:67], s[34:35]
	s_mov_b64 s[68:69], s[48:49]
	v_mov_b32_e32 v2, 0
	v_mov_b32_e32 v1, v7
.LBB7_556:                              ; =>This Inner Loop Header: Depth=1
	s_load_dwordx8 s[16:23], s[66:67], 0x4
	s_load_dwordx4 s[0:3], s[66:67], 0x24
	s_load_dwordx8 s[8:15], s[68:69], 0x0
	s_add_u32 s66, s66, 48
	s_addc_u32 s67, s67, 0
	s_waitcnt vmcnt(0) lgkmcnt(0)
	v_mul_hi_u32 v3, s17, v1
	s_add_i32 s77, s77, 4
	s_add_u32 s68, s68, 32
	s_addc_u32 s69, s69, 0
	v_add_u32_e32 v3, v1, v3
	v_lshrrev_b32_e32 v3, s18, v3
	v_mul_lo_u32 v4, v3, s16
	v_mul_hi_u32 v5, s20, v3
	s_cmp_eq_u32 s71, s77
	v_sub_u32_e32 v1, v1, v4
	v_add_u32_e32 v4, v3, v5
	v_mul_lo_u32 v5, v1, s8
	v_mul_lo_u32 v6, v1, s9
	v_lshrrev_b32_e32 v1, s21, v4
	v_mul_lo_u32 v4, v1, s19
	v_mul_hi_u32 v8, s23, v1
	v_sub_u32_e32 v3, v3, v4
	v_add_u32_e32 v4, v1, v8
	v_lshrrev_b32_e32 v4, s0, v4
	v_mul_hi_u32 v9, s2, v4
	v_mul_lo_u32 v10, v4, s22
	v_mul_lo_u32 v8, v3, s10
	;; [unrolled: 1-line block ×3, first 2 shown]
	v_sub_u32_e32 v10, v1, v10
	v_add_u32_e32 v1, v4, v9
	v_lshrrev_b32_e32 v1, s3, v1
	v_mul_lo_u32 v9, v1, s1
	v_mul_lo_u32 v11, v10, s12
	;; [unrolled: 1-line block ×3, first 2 shown]
	v_add3_u32 v2, v5, v2, v8
	v_sub_u32_e32 v4, v4, v9
	v_mul_lo_u32 v9, v4, s14
	v_mul_lo_u32 v4, v4, s15
	v_add3_u32 v0, v6, v0, v3
	v_add3_u32 v2, v11, v2, v9
	;; [unrolled: 1-line block ×3, first 2 shown]
	s_cbranch_scc0 .LBB7_556
	s_branch .LBB7_560
.LBB7_557:
	s_mov_b64 s[0:1], -1
                                        ; implicit-def: $vgpr2
                                        ; implicit-def: $vgpr0
	s_branch .LBB7_564
.LBB7_558:
	v_mov_b32_e32 v2, 0
	v_mov_b32_e32 v0, 0
	s_branch .LBB7_563
.LBB7_559:
	s_mov_b32 s71, 0
	v_mov_b32_e32 v2, 0
	v_mov_b32_e32 v0, 0
	;; [unrolled: 1-line block ×3, first 2 shown]
.LBB7_560:
	s_and_b32 s8, s76, 3
	s_cmp_eq_u32 s8, 0
	s_cbranch_scc1 .LBB7_563
; %bb.561:
	s_lshl_b32 s0, s71, 3
	s_add_u32 s0, s34, s0
	s_addc_u32 s1, s35, 0
	s_add_u32 s0, s0, 0xc4
	s_addc_u32 s1, s1, 0
	s_mul_i32 s2, s71, 12
	s_add_u32 s2, s34, s2
	s_addc_u32 s3, s35, 0
.LBB7_562:                              ; =>This Inner Loop Header: Depth=1
	s_load_dwordx2 s[10:11], s[2:3], 0x4
	s_load_dword s9, s[2:3], 0xc
	s_load_dwordx2 s[12:13], s[0:1], 0x0
	s_add_u32 s2, s2, 12
	s_addc_u32 s3, s3, 0
	s_waitcnt vmcnt(0) lgkmcnt(0)
	v_mul_hi_u32 v3, s11, v1
	s_add_u32 s0, s0, 8
	s_addc_u32 s1, s1, 0
	s_add_i32 s8, s8, -1
	v_add_u32_e32 v3, v1, v3
	v_lshrrev_b32_e32 v4, s9, v3
	v_mul_lo_u32 v3, v4, s10
	s_cmp_lg_u32 s8, 0
	v_sub_u32_e32 v1, v1, v3
	v_mad_u64_u32 v[2:3], s[10:11], v1, s12, v[2:3]
	v_mad_u64_u32 v[0:1], s[10:11], v1, s13, v[0:1]
	v_mov_b32_e32 v1, v4
	s_cbranch_scc1 .LBB7_562
.LBB7_563:
	s_mov_b64 s[0:1], 0
.LBB7_564:
	s_andn2_b64 vcc, exec, s[0:1]
	s_cbranch_vccnz .LBB7_567
; %bb.565:
	s_waitcnt lgkmcnt(0)
	v_mul_hi_u32 v0, s37, v7
	s_andn2_b64 vcc, exec, s[46:47]
	v_add_u32_e32 v0, v7, v0
	v_lshrrev_b32_e32 v1, s38, v0
	v_mul_lo_u32 v0, v1, s36
	v_sub_u32_e32 v0, v7, v0
	v_mul_lo_u32 v2, v0, s28
	v_mul_lo_u32 v0, v0, s29
	s_cbranch_vccnz .LBB7_567
; %bb.566:
	s_waitcnt vmcnt(0)
	v_mul_hi_u32 v3, s44, v1
	v_add_u32_e32 v3, v1, v3
	v_lshrrev_b32_e32 v3, s45, v3
	v_mul_lo_u32 v3, v3, s39
	v_sub_u32_e32 v1, v1, v3
	v_mad_u64_u32 v[2:3], s[0:1], v1, s30, v[2:3]
	v_mad_u64_u32 v[0:1], s[0:1], v1, s31, v[0:1]
.LBB7_567:
	s_waitcnt lgkmcnt(0)
	v_mov_b32_e32 v1, s27
	s_and_b32 s12, 0xffff, s74
	v_add_co_u32_e32 v0, vcc, s26, v0
	s_cmp_lt_i32 s12, 11
	v_addc_co_u32_e32 v1, vcc, 0, v1, vcc
	s_cbranch_scc1 .LBB7_574
; %bb.568:
	s_cmp_gt_i32 s12, 25
	s_cbranch_scc0 .LBB7_575
; %bb.569:
	s_cmp_gt_i32 s12, 28
	s_cbranch_scc0 .LBB7_576
	;; [unrolled: 3-line block ×4, first 2 shown]
; %bb.572:
	s_cmp_eq_u32 s12, 46
	s_mov_b64 s[8:9], 0
	s_cbranch_scc0 .LBB7_583
; %bb.573:
	global_load_dword v3, v[0:1], off
	s_mov_b64 s[0:1], -1
	s_mov_b64 s[2:3], 0
	s_waitcnt vmcnt(0)
	v_lshlrev_b32_e32 v3, 16, v3
	v_cvt_f64_f32_e32 v[3:4], v3
	s_branch .LBB7_584
.LBB7_574:
	s_mov_b64 s[8:9], -1
	s_mov_b64 s[0:1], 0
                                        ; implicit-def: $vgpr3_vgpr4
	s_mov_b64 s[2:3], s[58:59]
	s_branch .LBB7_649
.LBB7_575:
	s_mov_b64 s[8:9], -1
	s_mov_b64 s[0:1], 0
	s_mov_b64 s[2:3], s[58:59]
                                        ; implicit-def: $vgpr3_vgpr4
	s_branch .LBB7_615
.LBB7_576:
	s_mov_b64 s[8:9], -1
	s_mov_b64 s[0:1], 0
	s_mov_b64 s[2:3], s[58:59]
                                        ; implicit-def: $vgpr3_vgpr4
	s_branch .LBB7_594
.LBB7_577:
	s_mov_b64 s[8:9], -1
	s_mov_b64 s[0:1], 0
	s_mov_b64 s[2:3], s[58:59]
                                        ; implicit-def: $vgpr3_vgpr4
	s_branch .LBB7_589
.LBB7_578:
	s_andn2_saveexec_b64 s[12:13], s[12:13]
	s_cbranch_execz .LBB7_347
.LBB7_579:
	s_mov_b32 s16, 0x46000000
	v_add_f32_e64 v3, |v2|, s16
	v_and_b32_e32 v3, 0xff, v3
	v_cmp_ne_u32_e32 vcc, 0, v3
	s_andn2_b64 s[10:11], s[10:11], exec
	s_and_b64 s[16:17], vcc, exec
	s_or_b64 s[10:11], s[10:11], s[16:17]
	s_or_b64 exec, exec, s[12:13]
	v_mov_b32_e32 v6, 0
	s_and_saveexec_b64 s[12:13], s[10:11]
	s_cbranch_execnz .LBB7_348
	s_branch .LBB7_349
.LBB7_580:
	s_mov_b64 s[8:9], -1
	s_mov_b64 s[0:1], 0
	s_mov_b64 s[2:3], s[58:59]
                                        ; implicit-def: $vgpr3_vgpr4
	s_branch .LBB7_584
.LBB7_581:
	s_andn2_saveexec_b64 s[12:13], s[12:13]
	s_cbranch_execz .LBB7_360
.LBB7_582:
	s_mov_b32 s16, 0x42800000
	v_add_f32_e64 v3, |v2|, s16
	v_and_b32_e32 v3, 0xff, v3
	v_cmp_ne_u32_e32 vcc, 0, v3
	s_andn2_b64 s[10:11], s[10:11], exec
	s_and_b64 s[16:17], vcc, exec
	s_or_b64 s[10:11], s[10:11], s[16:17]
	s_or_b64 exec, exec, s[12:13]
	v_mov_b32_e32 v6, 0
	s_and_saveexec_b64 s[12:13], s[10:11]
	s_cbranch_execnz .LBB7_361
	s_branch .LBB7_362
.LBB7_583:
	s_mov_b64 s[2:3], -1
                                        ; implicit-def: $vgpr3_vgpr4
	s_mov_b64 s[0:1], 0
.LBB7_584:
	s_and_b64 vcc, exec, s[8:9]
	s_cbranch_vccz .LBB7_588
; %bb.585:
	s_cmp_eq_u32 s12, 44
	s_cbranch_scc0 .LBB7_587
; %bb.586:
	global_load_ubyte v5, v[0:1], off
	s_movk_i32 s2, 0xff
	v_bfrev_b32_e32 v6, 4
	v_mov_b32_e32 v8, 0x7ff80000
	v_bfrev_b32_e32 v9, 28
	s_mov_b64 s[0:1], -1
	s_waitcnt vmcnt(0)
	v_lshlrev_b32_e32 v3, 23, v5
	v_cvt_f64_f32_e32 v[3:4], v3
	v_cmp_ne_u32_e32 vcc, s2, v5
	s_mov_b64 s[2:3], 0
	v_cndmask_b32_e32 v3, v6, v3, vcc
	v_cndmask_b32_e32 v4, v8, v4, vcc
	v_cmp_ne_u32_e32 vcc, 0, v5
	v_cndmask_b32_e32 v4, v9, v4, vcc
	v_cndmask_b32_e32 v3, 0, v3, vcc
	s_branch .LBB7_588
.LBB7_587:
	s_mov_b64 s[2:3], -1
                                        ; implicit-def: $vgpr3_vgpr4
.LBB7_588:
	s_mov_b64 s[8:9], 0
.LBB7_589:
	s_and_b64 vcc, exec, s[8:9]
	s_cbranch_vccz .LBB7_593
; %bb.590:
	s_cmp_eq_u32 s12, 29
	s_cbranch_scc0 .LBB7_592
; %bb.591:
	global_load_dwordx2 v[3:4], v[0:1], off
	s_mov_b64 s[0:1], -1
	s_mov_b64 s[2:3], 0
	s_mov_b64 s[8:9], 0
	s_waitcnt vmcnt(0)
	v_cvt_f64_u32_e32 v[4:5], v4
	v_cvt_f64_u32_e32 v[8:9], v3
	v_ldexp_f64 v[4:5], v[4:5], 32
	v_add_f64 v[3:4], v[4:5], v[8:9]
	s_branch .LBB7_594
.LBB7_592:
	s_mov_b64 s[2:3], -1
                                        ; implicit-def: $vgpr3_vgpr4
.LBB7_593:
	s_mov_b64 s[8:9], 0
.LBB7_594:
	s_and_b64 vcc, exec, s[8:9]
	s_cbranch_vccz .LBB7_614
; %bb.595:
	s_cmp_lt_i32 s12, 27
	s_cbranch_scc1 .LBB7_598
; %bb.596:
	s_cmp_gt_i32 s12, 27
	s_cbranch_scc0 .LBB7_599
; %bb.597:
	global_load_dword v3, v[0:1], off
	s_mov_b64 s[0:1], 0
	s_waitcnt vmcnt(0)
	v_cvt_f64_u32_e32 v[3:4], v3
	s_branch .LBB7_600
.LBB7_598:
	s_mov_b64 s[0:1], -1
                                        ; implicit-def: $vgpr3_vgpr4
	s_branch .LBB7_603
.LBB7_599:
	s_mov_b64 s[0:1], -1
                                        ; implicit-def: $vgpr3_vgpr4
.LBB7_600:
	s_andn2_b64 vcc, exec, s[0:1]
	s_cbranch_vccnz .LBB7_602
; %bb.601:
	global_load_ushort v3, v[0:1], off
	s_waitcnt vmcnt(0)
	v_cvt_f64_u32_e32 v[3:4], v3
.LBB7_602:
	s_mov_b64 s[0:1], 0
.LBB7_603:
	s_andn2_b64 vcc, exec, s[0:1]
	s_cbranch_vccnz .LBB7_613
; %bb.604:
	global_load_ubyte v5, v[0:1], off
	s_movk_i32 s0, 0x7f
	s_waitcnt vmcnt(0)
	v_cmp_lt_i16_e32 vcc, s0, v5
	s_mov_b64 s[0:1], 0
	s_and_saveexec_b64 s[8:9], vcc
	s_xor_b64 s[8:9], exec, s[8:9]
	s_cbranch_execz .LBB7_608
; %bb.605:
	s_movk_i32 s0, 0x80
	v_cmp_eq_u16_e32 vcc, s0, v5
	s_mov_b64 s[0:1], -1
	s_and_saveexec_b64 s[10:11], vcc
; %bb.606:
	s_xor_b64 s[0:1], exec, -1
; %bb.607:
	s_or_b64 exec, exec, s[10:11]
	s_and_b64 s[0:1], s[0:1], exec
.LBB7_608:
	s_or_saveexec_b64 s[8:9], s[8:9]
	v_bfrev_b32_e32 v3, 4
	v_mov_b32_e32 v4, 0x7ff80000
	s_xor_b64 exec, exec, s[8:9]
; %bb.609:
	v_cmp_ne_u16_e32 vcc, 0, v5
	v_mov_b32_e32 v3, 0
	s_andn2_b64 s[0:1], s[0:1], exec
	s_and_b64 s[10:11], vcc, exec
	v_mov_b32_e32 v4, 0
	s_or_b64 s[0:1], s[0:1], s[10:11]
; %bb.610:
	s_or_b64 exec, exec, s[8:9]
	s_and_saveexec_b64 s[8:9], s[0:1]
	s_cbranch_execz .LBB7_612
; %bb.611:
	v_and_b32_e32 v4, 0xffff, v5
	v_lshlrev_b32_e32 v3, 24, v5
	v_and_b32_e32 v5, 7, v4
	v_ffbh_u32_e32 v8, v5
	v_min_u32_e32 v8, 32, v8
	v_subrev_u32_e32 v9, 28, v8
	v_bfe_u32 v6, v4, 3, 4
	v_lshlrev_b32_e32 v4, v9, v4
	v_sub_u32_e32 v8, 29, v8
	v_and_b32_e32 v4, 7, v4
	v_cmp_eq_u32_e32 vcc, 0, v6
	v_cndmask_b32_e32 v6, v6, v8, vcc
	v_cndmask_b32_e32 v4, v5, v4, vcc
	v_mov_b32_e32 v5, 0x3b800000
	v_lshlrev_b32_e32 v4, 20, v4
	v_and_b32_e32 v3, 0x80000000, v3
	v_lshl_add_u32 v5, v6, 23, v5
	v_or3_b32 v3, v3, v5, v4
	v_cvt_f64_f32_e32 v[3:4], v3
.LBB7_612:
	s_or_b64 exec, exec, s[8:9]
.LBB7_613:
	s_mov_b64 s[0:1], -1
.LBB7_614:
	s_mov_b64 s[8:9], 0
.LBB7_615:
	s_and_b64 vcc, exec, s[8:9]
	s_cbranch_vccz .LBB7_648
; %bb.616:
	s_cmp_gt_i32 s12, 22
	s_cbranch_scc0 .LBB7_628
; %bb.617:
	s_cmp_lt_i32 s12, 24
	s_cbranch_scc1 .LBB7_629
; %bb.618:
	s_cmp_gt_i32 s12, 24
	s_cbranch_scc0 .LBB7_630
; %bb.619:
	global_load_ubyte v5, v[0:1], off
	s_movk_i32 s0, 0x7f
	s_waitcnt vmcnt(0)
	v_cmp_lt_i16_e32 vcc, s0, v5
	s_mov_b64 s[0:1], 0
	s_and_saveexec_b64 s[8:9], vcc
	s_xor_b64 s[8:9], exec, s[8:9]
	s_cbranch_execz .LBB7_623
; %bb.620:
	s_movk_i32 s0, 0x80
	v_cmp_eq_u16_e32 vcc, s0, v5
	s_mov_b64 s[0:1], -1
	s_and_saveexec_b64 s[10:11], vcc
; %bb.621:
	s_xor_b64 s[0:1], exec, -1
; %bb.622:
	s_or_b64 exec, exec, s[10:11]
	s_and_b64 s[0:1], s[0:1], exec
.LBB7_623:
	s_or_saveexec_b64 s[8:9], s[8:9]
	v_bfrev_b32_e32 v3, 4
	v_mov_b32_e32 v4, 0x7ff80000
	s_xor_b64 exec, exec, s[8:9]
; %bb.624:
	v_cmp_ne_u16_e32 vcc, 0, v5
	v_mov_b32_e32 v3, 0
	s_andn2_b64 s[0:1], s[0:1], exec
	s_and_b64 s[10:11], vcc, exec
	v_mov_b32_e32 v4, 0
	s_or_b64 s[0:1], s[0:1], s[10:11]
; %bb.625:
	s_or_b64 exec, exec, s[8:9]
	s_and_saveexec_b64 s[8:9], s[0:1]
	s_cbranch_execz .LBB7_627
; %bb.626:
	v_and_b32_e32 v4, 0xffff, v5
	v_lshlrev_b32_e32 v3, 24, v5
	v_and_b32_e32 v5, 3, v4
	v_ffbh_u32_e32 v8, v5
	v_min_u32_e32 v8, 32, v8
	v_subrev_u32_e32 v9, 29, v8
	v_bfe_u32 v6, v4, 2, 5
	v_lshlrev_b32_e32 v4, v9, v4
	v_sub_u32_e32 v8, 30, v8
	v_and_b32_e32 v4, 3, v4
	v_cmp_eq_u32_e32 vcc, 0, v6
	v_cndmask_b32_e32 v6, v6, v8, vcc
	v_cndmask_b32_e32 v4, v5, v4, vcc
	v_mov_b32_e32 v5, 0x37800000
	v_lshlrev_b32_e32 v4, 21, v4
	v_and_b32_e32 v3, 0x80000000, v3
	v_lshl_add_u32 v5, v6, 23, v5
	v_or3_b32 v3, v3, v5, v4
	v_cvt_f64_f32_e32 v[3:4], v3
.LBB7_627:
	s_or_b64 exec, exec, s[8:9]
	s_mov_b64 s[0:1], 0
	s_branch .LBB7_631
.LBB7_628:
	s_mov_b64 s[8:9], -1
                                        ; implicit-def: $vgpr3_vgpr4
	s_branch .LBB7_637
.LBB7_629:
	s_mov_b64 s[0:1], -1
                                        ; implicit-def: $vgpr3_vgpr4
	s_branch .LBB7_634
.LBB7_630:
	s_mov_b64 s[0:1], -1
                                        ; implicit-def: $vgpr3_vgpr4
.LBB7_631:
	s_and_b64 vcc, exec, s[0:1]
	s_cbranch_vccz .LBB7_633
; %bb.632:
	global_load_ubyte v3, v[0:1], off
	s_mov_b32 s0, 0x7f800000
	s_waitcnt vmcnt(0)
	v_lshlrev_b32_e32 v3, 24, v3
	v_and_b32_e32 v4, 0x7f000000, v3
	v_ffbh_u32_e32 v5, v4
	v_min_u32_e32 v5, 32, v5
	v_sub_u32_e64 v5, v5, 4 clamp
	v_lshlrev_b32_e32 v8, v5, v4
	v_lshlrev_b32_e32 v5, 23, v5
	v_lshrrev_b32_e32 v8, 4, v8
	v_add_u32_e32 v6, 0x1000000, v4
	v_sub_u32_e32 v5, v8, v5
	v_ashrrev_i32_e32 v6, 8, v6
	v_add_u32_e32 v5, 0x3c000000, v5
	v_and_or_b32 v5, v6, s0, v5
	v_cmp_ne_u32_e32 vcc, 0, v4
	v_cndmask_b32_e32 v4, 0, v5, vcc
	s_brev_b32 s0, 1
	v_and_or_b32 v3, v3, s0, v4
	v_cvt_f64_f32_e32 v[3:4], v3
.LBB7_633:
	s_mov_b64 s[0:1], 0
.LBB7_634:
	s_andn2_b64 vcc, exec, s[0:1]
	s_cbranch_vccnz .LBB7_636
; %bb.635:
	global_load_ubyte v3, v[0:1], off
	s_movk_i32 s0, 0x7f00
	s_brev_b32 s1, 16
	s_waitcnt vmcnt(0)
	v_lshlrev_b16_e32 v4, 8, v3
	v_lshlrev_b32_e32 v3, 25, v3
	v_lshrrev_b32_e32 v5, 4, v3
	v_and_or_b32 v6, v4, s0, 0.5
	v_or_b32_e32 v5, 0x70000000, v5
	v_add_f32_e32 v6, -0.5, v6
	v_mul_f32_e32 v5, 0x7800000, v5
	v_cmp_gt_u32_e32 vcc, s1, v3
	v_bfe_i32 v4, v4, 0, 16
	v_cndmask_b32_e32 v3, v5, v6, vcc
	s_brev_b32 s0, 1
	v_and_or_b32 v3, v4, s0, v3
	v_cvt_f64_f32_e32 v[3:4], v3
.LBB7_636:
	s_mov_b64 s[8:9], 0
	s_mov_b64 s[0:1], -1
.LBB7_637:
	s_andn2_b64 vcc, exec, s[8:9]
	s_cbranch_vccnz .LBB7_648
; %bb.638:
	s_cmp_gt_i32 s12, 14
	s_cbranch_scc0 .LBB7_641
; %bb.639:
	s_cmp_eq_u32 s12, 15
	s_cbranch_scc0 .LBB7_642
; %bb.640:
	global_load_ushort v3, v[0:1], off
	s_mov_b64 s[0:1], -1
	s_mov_b64 s[2:3], 0
	s_waitcnt vmcnt(0)
	v_lshlrev_b32_e32 v3, 16, v3
	v_cvt_f64_f32_e32 v[3:4], v3
	s_branch .LBB7_643
.LBB7_641:
	s_mov_b64 s[8:9], -1
                                        ; implicit-def: $vgpr3_vgpr4
	s_branch .LBB7_644
.LBB7_642:
	s_mov_b64 s[2:3], -1
                                        ; implicit-def: $vgpr3_vgpr4
.LBB7_643:
	s_mov_b64 s[8:9], 0
.LBB7_644:
	s_and_b64 vcc, exec, s[8:9]
	s_cbranch_vccz .LBB7_648
; %bb.645:
	s_cmp_eq_u32 s12, 11
	s_cbranch_scc0 .LBB7_647
; %bb.646:
	global_load_ubyte v4, v[0:1], off
	v_mov_b32_e32 v5, 0x3ff00000
	s_waitcnt vmcnt(1)
	v_mov_b32_e32 v3, 0
	s_mov_b64 s[0:1], -1
	s_mov_b64 s[2:3], 0
	s_waitcnt vmcnt(0)
	v_cmp_ne_u16_e32 vcc, 0, v4
	v_cndmask_b32_e32 v4, 0, v5, vcc
	s_branch .LBB7_648
.LBB7_647:
	s_mov_b64 s[2:3], -1
                                        ; implicit-def: $vgpr3_vgpr4
.LBB7_648:
	s_mov_b64 s[8:9], 0
.LBB7_649:
	s_and_b64 vcc, exec, s[8:9]
	s_cbranch_vccz .LBB7_698
; %bb.650:
	s_cmp_lt_i32 s12, 5
	s_cbranch_scc1 .LBB7_655
; %bb.651:
	s_cmp_lt_i32 s12, 8
	s_cbranch_scc1 .LBB7_656
	;; [unrolled: 3-line block ×3, first 2 shown]
; %bb.653:
	s_cmp_gt_i32 s12, 9
	s_cbranch_scc0 .LBB7_658
; %bb.654:
	global_load_dwordx2 v[3:4], v[0:1], off
	s_mov_b64 s[0:1], 0
	s_branch .LBB7_659
.LBB7_655:
	s_mov_b64 s[0:1], -1
                                        ; implicit-def: $vgpr3_vgpr4
	s_branch .LBB7_677
.LBB7_656:
	s_mov_b64 s[0:1], -1
                                        ; implicit-def: $vgpr3_vgpr4
	s_branch .LBB7_665
.LBB7_657:
	s_mov_b64 s[0:1], -1
                                        ; implicit-def: $vgpr3_vgpr4
	s_branch .LBB7_662
.LBB7_658:
	s_mov_b64 s[0:1], -1
                                        ; implicit-def: $vgpr3_vgpr4
.LBB7_659:
	s_andn2_b64 vcc, exec, s[0:1]
	s_cbranch_vccnz .LBB7_661
; %bb.660:
	global_load_dword v3, v[0:1], off
	s_waitcnt vmcnt(0)
	v_cvt_f64_f32_e32 v[3:4], v3
.LBB7_661:
	s_mov_b64 s[0:1], 0
.LBB7_662:
	s_andn2_b64 vcc, exec, s[0:1]
	s_cbranch_vccnz .LBB7_664
; %bb.663:
	global_load_dword v3, v[0:1], off
	s_waitcnt vmcnt(0)
	v_cvt_f32_f16_e32 v3, v3
	v_cvt_f64_f32_e32 v[3:4], v3
.LBB7_664:
	s_mov_b64 s[0:1], 0
.LBB7_665:
	s_andn2_b64 vcc, exec, s[0:1]
	s_cbranch_vccnz .LBB7_676
; %bb.666:
	s_cmp_lt_i32 s12, 6
	s_cbranch_scc1 .LBB7_669
; %bb.667:
	s_cmp_gt_i32 s12, 6
	s_cbranch_scc0 .LBB7_670
; %bb.668:
	global_load_dwordx2 v[3:4], v[0:1], off
	s_mov_b64 s[0:1], 0
	s_branch .LBB7_671
.LBB7_669:
	s_mov_b64 s[0:1], -1
                                        ; implicit-def: $vgpr3_vgpr4
	s_branch .LBB7_674
.LBB7_670:
	s_mov_b64 s[0:1], -1
                                        ; implicit-def: $vgpr3_vgpr4
.LBB7_671:
	s_andn2_b64 vcc, exec, s[0:1]
	s_cbranch_vccnz .LBB7_673
; %bb.672:
	global_load_dword v3, v[0:1], off
	s_waitcnt vmcnt(0)
	v_cvt_f64_f32_e32 v[3:4], v3
.LBB7_673:
	s_mov_b64 s[0:1], 0
.LBB7_674:
	s_andn2_b64 vcc, exec, s[0:1]
	s_cbranch_vccnz .LBB7_676
; %bb.675:
	global_load_ushort v3, v[0:1], off
	s_waitcnt vmcnt(0)
	v_cvt_f32_f16_e32 v3, v3
	v_cvt_f64_f32_e32 v[3:4], v3
.LBB7_676:
	s_mov_b64 s[0:1], 0
.LBB7_677:
	s_andn2_b64 vcc, exec, s[0:1]
	s_cbranch_vccnz .LBB7_697
; %bb.678:
	s_cmp_lt_i32 s12, 2
	s_cbranch_scc1 .LBB7_682
; %bb.679:
	s_cmp_lt_i32 s12, 3
	s_cbranch_scc1 .LBB7_683
; %bb.680:
	s_cmp_gt_i32 s12, 3
	s_cbranch_scc0 .LBB7_684
; %bb.681:
	global_load_dwordx2 v[3:4], v[0:1], off
	s_mov_b64 s[0:1], 0
	s_waitcnt vmcnt(0)
	v_cvt_f64_i32_e32 v[4:5], v4
	v_cvt_f64_u32_e32 v[8:9], v3
	v_ldexp_f64 v[4:5], v[4:5], 32
	v_add_f64 v[3:4], v[4:5], v[8:9]
	s_branch .LBB7_685
.LBB7_682:
	s_mov_b64 s[0:1], -1
                                        ; implicit-def: $vgpr3_vgpr4
	s_branch .LBB7_691
.LBB7_683:
	s_mov_b64 s[0:1], -1
                                        ; implicit-def: $vgpr3_vgpr4
	s_branch .LBB7_688
.LBB7_684:
	s_mov_b64 s[0:1], -1
                                        ; implicit-def: $vgpr3_vgpr4
.LBB7_685:
	s_andn2_b64 vcc, exec, s[0:1]
	s_cbranch_vccnz .LBB7_687
; %bb.686:
	global_load_dword v3, v[0:1], off
	s_waitcnt vmcnt(0)
	v_cvt_f64_i32_e32 v[3:4], v3
.LBB7_687:
	s_mov_b64 s[0:1], 0
.LBB7_688:
	s_andn2_b64 vcc, exec, s[0:1]
	s_cbranch_vccnz .LBB7_690
; %bb.689:
	global_load_sshort v3, v[0:1], off
	s_waitcnt vmcnt(0)
	v_cvt_f64_i32_e32 v[3:4], v3
.LBB7_690:
	s_mov_b64 s[0:1], 0
.LBB7_691:
	s_andn2_b64 vcc, exec, s[0:1]
	s_cbranch_vccnz .LBB7_697
; %bb.692:
	s_cmp_gt_i32 s12, 0
	s_cbranch_scc0 .LBB7_694
; %bb.693:
	global_load_sbyte v3, v[0:1], off
	s_mov_b64 s[0:1], 0
	s_waitcnt vmcnt(0)
	v_cvt_f64_i32_e32 v[3:4], v3
	s_branch .LBB7_695
.LBB7_694:
	s_mov_b64 s[0:1], -1
                                        ; implicit-def: $vgpr3_vgpr4
.LBB7_695:
	s_andn2_b64 vcc, exec, s[0:1]
	s_cbranch_vccnz .LBB7_697
; %bb.696:
	global_load_ubyte v0, v[0:1], off
	s_waitcnt vmcnt(0)
	v_cvt_f64_u32_e32 v[3:4], v0
.LBB7_697:
	s_mov_b64 s[0:1], -1
.LBB7_698:
	s_andn2_b64 vcc, exec, s[0:1]
	s_cbranch_vccnz .LBB7_710
; %bb.699:
	s_mov_b32 s0, 0
	s_mov_b32 s1, 0x41d00000
	s_waitcnt vmcnt(0)
	v_cmp_nlt_f64_e64 s[0:1], |v[3:4]|, s[0:1]
                                        ; implicit-def: $vgpr8
                                        ; implicit-def: $vgpr0_vgpr1
                                        ; implicit-def: $vgpr5_vgpr6
	s_and_saveexec_b64 s[8:9], s[0:1]
	s_xor_b64 s[8:9], exec, s[8:9]
	s_cbranch_execz .LBB7_701
; %bb.700:
	v_trig_preop_f64 v[0:1], |v[3:4]|, 0
	s_mov_b32 s0, 0
	s_mov_b32 s1, 0x7b000000
	s_movk_i32 s10, 0xff80
	v_ldexp_f64 v[8:9], |v[3:4]|, s10
	v_cmp_ge_f64_e64 vcc, |v[3:4]|, s[0:1]
	v_trig_preop_f64 v[5:6], |v[3:4]|, 1
	v_and_b32_e32 v10, 0x7fffffff, v4
	v_trig_preop_f64 v[16:17], |v[3:4]|, 2
	s_mov_b32 s0, 0
	s_mov_b32 s1, 0x7ff00000
	v_mov_b32_e32 v27, 0x40100000
	v_mov_b32_e32 v26, 0
	v_cndmask_b32_e32 v9, v10, v9, vcc
	v_cndmask_b32_e32 v8, v3, v8, vcc
	s_mov_b32 s10, 0x33145c07
	v_mul_f64 v[10:11], v[0:1], v[8:9]
	s_mov_b32 s11, 0x3c91a626
	v_mul_f64 v[12:13], v[5:6], v[8:9]
	v_mul_f64 v[22:23], v[16:17], v[8:9]
	v_fma_f64 v[0:1], v[0:1], v[8:9], -v[10:11]
	v_fma_f64 v[5:6], v[5:6], v[8:9], -v[12:13]
	;; [unrolled: 1-line block ×3, first 2 shown]
	v_add_f64 v[14:15], v[12:13], v[0:1]
	v_add_f64 v[18:19], v[14:15], -v[12:13]
	v_add_f64 v[24:25], v[10:11], v[14:15]
	v_add_f64 v[20:21], v[14:15], -v[18:19]
	v_add_f64 v[0:1], v[0:1], -v[18:19]
	v_add_f64 v[18:19], v[22:23], v[5:6]
	v_add_f64 v[10:11], v[24:25], -v[10:11]
	v_add_f64 v[12:13], v[12:13], -v[20:21]
	v_ldexp_f64 v[20:21], v[24:25], -2
	v_add_f64 v[28:29], v[18:19], -v[22:23]
	v_add_f64 v[10:11], v[14:15], -v[10:11]
	v_add_f64 v[0:1], v[0:1], v[12:13]
	v_fract_f64_e32 v[12:13], v[20:21]
	v_cmp_neq_f64_e64 vcc, |v[20:21]|, s[0:1]
	v_add_f64 v[5:6], v[5:6], -v[28:29]
	v_add_f64 v[14:15], v[18:19], v[0:1]
	v_ldexp_f64 v[12:13], v[12:13], 2
	v_add_f64 v[20:21], v[10:11], v[14:15]
	v_cndmask_b32_e32 v13, 0, v13, vcc
	v_cndmask_b32_e32 v12, 0, v12, vcc
	v_add_f64 v[30:31], v[14:15], -v[18:19]
	v_add_f64 v[24:25], v[20:21], v[12:13]
	v_add_f64 v[10:11], v[20:21], -v[10:11]
	v_add_f64 v[32:33], v[14:15], -v[30:31]
	v_add_f64 v[0:1], v[0:1], -v[30:31]
	v_cmp_gt_f64_e32 vcc, 0, v[24:25]
	v_add_f64 v[24:25], v[18:19], -v[28:29]
	v_add_f64 v[10:11], v[14:15], -v[10:11]
	;; [unrolled: 1-line block ×3, first 2 shown]
	v_cndmask_b32_e32 v27, 0, v27, vcc
	v_add_f64 v[12:13], v[12:13], v[26:27]
	v_add_f64 v[24:25], v[22:23], -v[24:25]
	v_add_f64 v[0:1], v[0:1], v[18:19]
	v_add_f64 v[34:35], v[20:21], v[12:13]
	;; [unrolled: 1-line block ×3, first 2 shown]
	v_cvt_i32_f64_e32 v29, v[34:35]
	v_add_f64 v[0:1], v[5:6], v[0:1]
	v_cvt_f64_i32_e32 v[27:28], v29
	v_add_f64 v[12:13], v[12:13], -v[27:28]
	v_add_f64 v[0:1], v[8:9], v[0:1]
	v_add_f64 v[5:6], v[20:21], v[12:13]
	;; [unrolled: 1-line block ×3, first 2 shown]
	v_mov_b32_e32 v11, 0x3ff00000
	v_add_f64 v[8:9], v[5:6], -v[12:13]
	v_cmp_le_f64_e32 vcc, 0.5, v[5:6]
	v_add_f64 v[9:10], v[20:21], -v[8:9]
	v_cndmask_b32_e32 v27, 0, v11, vcc
	v_add_f64 v[5:6], v[5:6], -v[26:27]
	v_addc_co_u32_e64 v8, s[0:1], 0, v29, vcc
	s_mov_b32 s0, 0x54442d18
	s_mov_b32 s1, 0x3ff921fb
	v_add_f64 v[0:1], v[0:1], v[9:10]
	v_add_f64 v[9:10], v[5:6], v[0:1]
	v_mul_f64 v[11:12], v[9:10], s[0:1]
	v_add_f64 v[5:6], v[9:10], -v[5:6]
	v_fma_f64 v[13:14], v[9:10], s[0:1], -v[11:12]
	v_add_f64 v[0:1], v[0:1], -v[5:6]
	v_fma_f64 v[5:6], v[9:10], s[10:11], v[13:14]
	v_fma_f64 v[5:6], v[0:1], s[0:1], v[5:6]
	v_add_f64 v[0:1], v[11:12], v[5:6]
	v_add_f64 v[9:10], v[0:1], -v[11:12]
	v_add_f64 v[5:6], v[5:6], -v[9:10]
.LBB7_701:
	s_andn2_saveexec_b64 s[0:1], s[8:9]
	s_cbranch_execz .LBB7_703
; %bb.702:
	s_mov_b32 s8, 0x6dc9c883
	s_mov_b32 s9, 0x3fe45f30
	v_mul_f64 v[0:1], |v[3:4]|, s[8:9]
	s_mov_b32 s8, 0x54442d18
	s_mov_b32 s9, 0xbff921fb
	;; [unrolled: 1-line block ×4, first 2 shown]
	v_rndne_f64_e32 v[8:9], v[0:1]
	v_fma_f64 v[0:1], v[8:9], s[8:9], |v[3:4]|
	v_mul_f64 v[5:6], v[8:9], s[10:11]
	s_mov_b32 s8, 0x252049c0
	s_mov_b32 s9, 0xb97b839a
	v_fma_f64 v[14:15], v[8:9], s[10:11], v[0:1]
	v_add_f64 v[10:11], v[0:1], v[5:6]
	s_mov_b32 s11, 0x3c91a626
	v_add_f64 v[12:13], v[0:1], -v[10:11]
	v_add_f64 v[10:11], v[10:11], -v[14:15]
	v_add_f64 v[0:1], v[12:13], v[5:6]
	v_fma_f64 v[5:6], v[8:9], s[10:11], v[5:6]
	v_add_f64 v[0:1], v[10:11], v[0:1]
	v_add_f64 v[0:1], v[0:1], -v[5:6]
	v_fma_f64 v[5:6], v[8:9], s[8:9], v[0:1]
	v_cvt_i32_f64_e32 v8, v[8:9]
	v_add_f64 v[0:1], v[14:15], v[5:6]
	v_add_f64 v[10:11], v[0:1], -v[14:15]
	v_add_f64 v[5:6], v[5:6], -v[10:11]
.LBB7_703:
	s_or_b64 exec, exec, s[0:1]
	v_mul_f64 v[9:10], v[0:1], v[0:1]
	s_mov_b32 s0, 0xf9a43bb8
	v_mov_b32_e32 v12, 0xb42fdfa7
	v_mov_b32_e32 v13, 0xbe5ae600
	s_mov_b32 s1, 0x3de5e0b2
	s_mov_b32 s8, 0x796cde01
	v_mov_b32_e32 v11, 0x9037ab78
	s_mov_b32 s9, 0x3ec71de3
	v_fma_f64 v[13:14], v[9:10], s[0:1], v[12:13]
	s_mov_b32 s0, 0x46cc5e42
	v_mov_b32_e32 v12, 0x3e21eeb6
	s_mov_b32 s1, 0xbda907db
	v_fma_f64 v[11:12], v[9:10], s[0:1], v[11:12]
	v_mul_f64 v[15:16], v[9:10], 0.5
	s_mov_b32 s0, 0xa17f65f6
	s_mov_b32 s10, 0x19e83e5c
	v_fma_f64 v[13:14], v[9:10], v[13:14], s[8:9]
	s_mov_b32 s1, 0xbe927e4f
	s_mov_b32 s11, 0xbf2a01a0
	;; [unrolled: 1-line block ×3, first 2 shown]
	v_fma_f64 v[11:12], v[9:10], v[11:12], s[0:1]
	v_add_f64 v[17:18], -v[15:16], 1.0
	s_mov_b32 s0, 0x11110bb3
	s_mov_b32 s9, 0x3efa01a0
	v_fma_f64 v[13:14], v[9:10], v[13:14], s[10:11]
	s_mov_b32 s1, 0x3f811111
	v_mul_f64 v[19:20], v[5:6], 0.5
	v_mul_f64 v[21:22], v[0:1], -v[9:10]
	v_fma_f64 v[11:12], v[9:10], v[11:12], s[8:9]
	v_add_f64 v[23:24], -v[17:18], 1.0
	s_and_b32 s14, s73, 0xff
	s_cmp_lt_i32 s14, 11
	v_fma_f64 v[13:14], v[9:10], v[13:14], s[0:1]
	s_mov_b32 s0, 0x16c16967
	s_mov_b32 s1, 0xbf56c16c
	v_fma_f64 v[11:12], v[9:10], v[11:12], s[0:1]
	v_add_f64 v[15:16], v[23:24], -v[15:16]
	s_mov_b32 s1, 0x3fa55555
	s_mov_b32 s0, 0x55555555
	v_fma_f64 v[13:14], v[21:22], v[13:14], v[19:20]
	v_mul_f64 v[19:20], v[9:10], v[9:10]
	v_fma_f64 v[11:12], v[9:10], v[11:12], s[0:1]
	v_fma_f64 v[15:16], v[0:1], -v[5:6], v[15:16]
	s_mov_b32 s1, 0xbfc55555
	v_fma_f64 v[5:6], v[9:10], v[13:14], -v[5:6]
	v_fma_f64 v[9:10], v[19:20], v[11:12], v[15:16]
	v_mov_b32_e32 v11, s25
	v_fma_f64 v[5:6], v[21:22], s[0:1], v[5:6]
	s_movk_i32 s0, 0x1f8
	v_cmp_class_f64_e64 s[0:1], v[3:4], s0
	v_add_f64 v[9:10], v[17:18], v[9:10]
	v_add_f64 v[0:1], v[0:1], -v[5:6]
	v_and_b32_e32 v5, 1, v8
	v_lshlrev_b32_e32 v6, 30, v8
	v_cmp_eq_u32_e32 vcc, 0, v5
	v_xor_b32_e32 v3, v6, v4
	v_and_b32_e32 v3, 0x80000000, v3
	v_mov_b32_e32 v8, 0x7ff80000
	v_cndmask_b32_e32 v1, v10, v1, vcc
	v_cndmask_b32_e32 v0, v9, v0, vcc
	v_xor_b32_e32 v1, v1, v3
	v_add_co_u32_e32 v4, vcc, s24, v2
	v_cndmask_b32_e64 v0, 0, v0, s[0:1]
	v_cndmask_b32_e64 v1, v8, v1, s[0:1]
	v_addc_co_u32_e32 v5, vcc, 0, v11, vcc
	s_cbranch_scc1 .LBB7_711
; %bb.704:
	s_and_b32 s15, 0xffff, s14
	s_cmp_gt_i32 s15, 25
	s_cbranch_scc0 .LBB7_712
; %bb.705:
	s_cmp_gt_i32 s15, 28
	s_cbranch_scc0 .LBB7_713
; %bb.706:
	s_cmp_gt_i32 s15, 43
	s_cbranch_scc0 .LBB7_714
; %bb.707:
	s_cmp_gt_i32 s15, 45
	s_cbranch_scc0 .LBB7_715
; %bb.708:
	s_mov_b64 s[10:11], 0
	s_mov_b64 s[0:1], -1
	s_cmp_eq_u32 s15, 46
	s_mov_b64 s[8:9], 0
	s_cbranch_scc0 .LBB7_716
; %bb.709:
	v_cvt_f32_f64_e32 v2, v[0:1]
	s_movk_i32 s0, 0x7fff
	v_mov_b32_e32 v3, 0x7fc0
	s_mov_b64 s[8:9], -1
	v_bfe_u32 v6, v2, 16, 1
	v_cmp_o_f32_e32 vcc, v2, v2
	v_add3_u32 v2, v2, v6, s0
	v_cndmask_b32_sdwa v2, v3, v2, vcc dst_sel:DWORD dst_unused:UNUSED_PAD src0_sel:DWORD src1_sel:WORD_1
	global_store_dword v[4:5], v2, off
	s_mov_b64 s[0:1], 0
	s_branch .LBB7_716
.LBB7_710:
	s_mov_b64 s[8:9], 0
	s_mov_b64 s[0:1], s[60:61]
	s_branch .LBB7_827
.LBB7_711:
	s_mov_b64 s[10:11], -1
	s_mov_b64 s[8:9], 0
	s_mov_b64 s[0:1], s[60:61]
	s_branch .LBB7_785
.LBB7_712:
	s_mov_b64 s[10:11], -1
	s_mov_b64 s[8:9], 0
	s_mov_b64 s[0:1], s[60:61]
	s_branch .LBB7_743
.LBB7_713:
	s_mov_b64 s[10:11], -1
	s_mov_b64 s[8:9], 0
	s_mov_b64 s[0:1], s[60:61]
	s_branch .LBB7_726
.LBB7_714:
	s_mov_b64 s[10:11], -1
	s_mov_b64 s[8:9], 0
	s_mov_b64 s[0:1], s[60:61]
	s_branch .LBB7_722
.LBB7_715:
	s_mov_b64 s[10:11], -1
	s_mov_b64 s[8:9], 0
	s_mov_b64 s[0:1], s[60:61]
.LBB7_716:
	s_and_b64 vcc, exec, s[10:11]
	s_cbranch_vccz .LBB7_721
; %bb.717:
	s_cmp_eq_u32 s15, 44
	s_mov_b64 s[0:1], -1
	s_cbranch_scc0 .LBB7_721
; %bb.718:
	v_cvt_f32_f64_e32 v2, v[0:1]
	s_movk_i32 s0, 0xff
	v_mov_b32_e32 v6, 0xff
	v_bfe_u32 v3, v2, 23, 8
	v_cmp_ne_u32_e32 vcc, s0, v3
	s_and_saveexec_b64 s[8:9], vcc
; %bb.719:
	s_mov_b32 s0, 0x3fffff
	v_lshrrev_b32_e32 v6, 23, v2
	v_and_b32_e32 v8, 0x400000, v2
	v_and_or_b32 v2, v2, s0, v3
	v_cmp_ne_u32_e32 vcc, 0, v8
	v_cmp_ne_u32_e64 s[0:1], 0, v2
	s_and_b64 s[0:1], vcc, s[0:1]
	v_cndmask_b32_e64 v2, 0, 1, s[0:1]
	v_add_u32_e32 v6, v6, v2
; %bb.720:
	s_or_b64 exec, exec, s[8:9]
	s_mov_b64 s[8:9], -1
	s_mov_b64 s[0:1], 0
	global_store_byte v[4:5], v6, off
.LBB7_721:
	s_mov_b64 s[10:11], 0
.LBB7_722:
	s_and_b64 vcc, exec, s[10:11]
	s_cbranch_vccz .LBB7_725
; %bb.723:
	s_cmp_eq_u32 s15, 29
	s_mov_b64 s[0:1], -1
	s_cbranch_scc0 .LBB7_725
; %bb.724:
	v_trunc_f64_e32 v[2:3], v[0:1]
	s_movk_i32 s0, 0xffe0
	s_mov_b64 s[8:9], -1
	s_mov_b64 s[10:11], 0
	v_ldexp_f64 v[8:9], v[2:3], s0
	s_mov_b32 s0, 0
	s_mov_b32 s1, 0xc1f00000
	v_floor_f64_e32 v[8:9], v[8:9]
	v_fma_f64 v[2:3], v[8:9], s[0:1], v[2:3]
	v_cvt_u32_f64_e32 v9, v[8:9]
	s_mov_b64 s[0:1], 0
	v_cvt_u32_f64_e32 v8, v[2:3]
	global_store_dwordx2 v[4:5], v[8:9], off
	s_branch .LBB7_726
.LBB7_725:
	s_mov_b64 s[10:11], 0
.LBB7_726:
	s_and_b64 vcc, exec, s[10:11]
	s_cbranch_vccz .LBB7_742
; %bb.727:
	s_cmp_lt_i32 s15, 27
	s_mov_b64 s[8:9], -1
	s_cbranch_scc1 .LBB7_733
; %bb.728:
	v_cvt_u32_f64_e32 v2, v[0:1]
	s_cmp_gt_i32 s15, 27
	s_cbranch_scc0 .LBB7_730
; %bb.729:
	s_mov_b64 s[8:9], 0
	global_store_dword v[4:5], v2, off
.LBB7_730:
	s_andn2_b64 vcc, exec, s[8:9]
	s_cbranch_vccnz .LBB7_732
; %bb.731:
	global_store_short v[4:5], v2, off
.LBB7_732:
	s_mov_b64 s[8:9], 0
.LBB7_733:
	s_andn2_b64 vcc, exec, s[8:9]
	s_cbranch_vccnz .LBB7_741
; %bb.734:
	v_cvt_f32_f64_e32 v2, v[0:1]
	s_mov_b32 s8, 0x43800000
	v_mov_b32_e32 v6, 0x80
	v_and_b32_e32 v3, 0x7fffffff, v2
	v_cmp_gt_u32_e32 vcc, s8, v3
	s_and_saveexec_b64 s[8:9], vcc
	s_cbranch_execz .LBB7_740
; %bb.735:
	s_mov_b32 s10, 0x3bffffff
	v_cmp_lt_u32_e32 vcc, s10, v3
	s_mov_b64 s[10:11], 0
                                        ; implicit-def: $vgpr3
	s_and_saveexec_b64 s[12:13], vcc
	s_xor_b64 s[12:13], exec, s[12:13]
	s_cbranch_execz .LBB7_857
; %bb.736:
	v_bfe_u32 v3, v2, 20, 1
	s_mov_b32 s16, 0x487ffff
	v_add3_u32 v3, v2, v3, s16
	s_mov_b64 s[10:11], exec
	v_lshrrev_b32_e32 v3, 20, v3
	s_andn2_saveexec_b64 s[12:13], s[12:13]
	s_cbranch_execnz .LBB7_858
.LBB7_737:
	s_or_b64 exec, exec, s[12:13]
	v_mov_b32_e32 v6, 0
	s_and_saveexec_b64 s[12:13], s[10:11]
.LBB7_738:
	v_lshrrev_b32_e32 v2, 24, v2
	s_movk_i32 s10, 0x80
	v_and_or_b32 v6, v2, s10, v3
.LBB7_739:
	s_or_b64 exec, exec, s[12:13]
.LBB7_740:
	s_or_b64 exec, exec, s[8:9]
	global_store_byte v[4:5], v6, off
.LBB7_741:
	s_mov_b64 s[8:9], -1
.LBB7_742:
	s_mov_b64 s[10:11], 0
.LBB7_743:
	s_and_b64 vcc, exec, s[10:11]
	s_cbranch_vccz .LBB7_784
; %bb.744:
	s_cmp_gt_i32 s15, 22
	s_mov_b64 s[10:11], -1
	s_cbranch_scc0 .LBB7_776
; %bb.745:
	s_cmp_lt_i32 s15, 24
	s_mov_b64 s[8:9], -1
	s_cbranch_scc1 .LBB7_765
; %bb.746:
	s_cmp_gt_i32 s15, 24
	s_cbranch_scc0 .LBB7_754
; %bb.747:
	v_cvt_f32_f64_e32 v2, v[0:1]
	s_mov_b32 s8, 0x47800000
	v_mov_b32_e32 v6, 0x80
	v_and_b32_e32 v3, 0x7fffffff, v2
	v_cmp_gt_u32_e32 vcc, s8, v3
	s_and_saveexec_b64 s[8:9], vcc
	s_cbranch_execz .LBB7_753
; %bb.748:
	s_mov_b32 s10, 0x37ffffff
	v_cmp_lt_u32_e32 vcc, s10, v3
	s_mov_b64 s[10:11], 0
                                        ; implicit-def: $vgpr3
	s_and_saveexec_b64 s[12:13], vcc
	s_xor_b64 s[12:13], exec, s[12:13]
	s_cbranch_execz .LBB7_860
; %bb.749:
	v_bfe_u32 v3, v2, 21, 1
	s_mov_b32 s16, 0x88fffff
	v_add3_u32 v3, v2, v3, s16
	s_mov_b64 s[10:11], exec
	v_lshrrev_b32_e32 v3, 21, v3
	s_andn2_saveexec_b64 s[12:13], s[12:13]
	s_cbranch_execnz .LBB7_861
.LBB7_750:
	s_or_b64 exec, exec, s[12:13]
	v_mov_b32_e32 v6, 0
	s_and_saveexec_b64 s[12:13], s[10:11]
.LBB7_751:
	v_lshrrev_b32_e32 v2, 24, v2
	s_movk_i32 s10, 0x80
	v_and_or_b32 v6, v2, s10, v3
.LBB7_752:
	s_or_b64 exec, exec, s[12:13]
.LBB7_753:
	s_or_b64 exec, exec, s[8:9]
	s_mov_b64 s[8:9], 0
	global_store_byte v[4:5], v6, off
.LBB7_754:
	s_and_b64 vcc, exec, s[8:9]
	s_cbranch_vccz .LBB7_764
; %bb.755:
	v_cvt_f32_f64_e32 v2, v[0:1]
	s_mov_b32 s8, 0x43f00000
                                        ; implicit-def: $vgpr3
	v_and_b32_e32 v6, 0x7fffffff, v2
	v_cmp_gt_u32_e32 vcc, s8, v6
	s_and_saveexec_b64 s[8:9], vcc
	s_xor_b64 s[8:9], exec, s[8:9]
	s_cbranch_execz .LBB7_761
; %bb.756:
	s_mov_b32 s10, 0x3c7fffff
	v_cmp_lt_u32_e32 vcc, s10, v6
                                        ; implicit-def: $vgpr3
	s_and_saveexec_b64 s[10:11], vcc
	s_xor_b64 s[10:11], exec, s[10:11]
; %bb.757:
	v_bfe_u32 v3, v2, 20, 1
	s_mov_b32 s12, 0x407ffff
	v_add3_u32 v3, v2, v3, s12
	v_lshrrev_b32_e32 v6, 20, v3
	v_and_b32_e32 v3, 0xff00000, v3
	s_mov_b32 s12, 0x7f00000
	v_mov_b32_e32 v8, 0x7e
	v_cmp_ne_u32_e32 vcc, s12, v3
	v_cndmask_b32_e32 v3, v8, v6, vcc
; %bb.758:
	s_andn2_saveexec_b64 s[10:11], s[10:11]
; %bb.759:
	s_mov_b32 s12, 0x46800000
	v_add_f32_e64 v3, |v2|, s12
; %bb.760:
	s_or_b64 exec, exec, s[10:11]
                                        ; implicit-def: $vgpr6
.LBB7_761:
	s_andn2_saveexec_b64 s[8:9], s[8:9]
; %bb.762:
	s_mov_b32 s10, 0x7f800000
	v_mov_b32_e32 v3, 0x7e
	v_mov_b32_e32 v8, 0x7f
	v_cmp_lt_u32_e32 vcc, s10, v6
	v_cndmask_b32_e32 v3, v3, v8, vcc
; %bb.763:
	s_or_b64 exec, exec, s[8:9]
	v_lshrrev_b32_e32 v2, 24, v2
	s_movk_i32 s8, 0x80
	v_and_or_b32 v2, v2, s8, v3
	global_store_byte v[4:5], v2, off
.LBB7_764:
	s_mov_b64 s[8:9], 0
.LBB7_765:
	s_andn2_b64 vcc, exec, s[8:9]
	s_cbranch_vccnz .LBB7_775
; %bb.766:
	v_cvt_f32_f64_e32 v2, v[0:1]
	s_mov_b32 s8, 0x47800000
                                        ; implicit-def: $vgpr3
	v_and_b32_e32 v6, 0x7fffffff, v2
	v_cmp_gt_u32_e32 vcc, s8, v6
	s_and_saveexec_b64 s[8:9], vcc
	s_xor_b64 s[8:9], exec, s[8:9]
	s_cbranch_execz .LBB7_772
; %bb.767:
	s_mov_b32 s10, 0x387fffff
	v_cmp_lt_u32_e32 vcc, s10, v6
                                        ; implicit-def: $vgpr3
	s_and_saveexec_b64 s[10:11], vcc
	s_xor_b64 s[10:11], exec, s[10:11]
; %bb.768:
	v_bfe_u32 v3, v2, 21, 1
	s_mov_b32 s12, 0x80fffff
	v_add3_u32 v3, v2, v3, s12
	v_lshrrev_b32_e32 v3, 21, v3
; %bb.769:
	s_andn2_saveexec_b64 s[10:11], s[10:11]
; %bb.770:
	s_mov_b32 s12, 0x43000000
	v_add_f32_e64 v3, |v2|, s12
; %bb.771:
	s_or_b64 exec, exec, s[10:11]
                                        ; implicit-def: $vgpr6
.LBB7_772:
	s_andn2_saveexec_b64 s[8:9], s[8:9]
; %bb.773:
	s_mov_b32 s10, 0x7f800000
	v_mov_b32_e32 v3, 0x7c
	v_mov_b32_e32 v8, 0x7f
	v_cmp_lt_u32_e32 vcc, s10, v6
	v_cndmask_b32_e32 v3, v3, v8, vcc
; %bb.774:
	s_or_b64 exec, exec, s[8:9]
	v_lshrrev_b32_e32 v2, 24, v2
	s_movk_i32 s8, 0x80
	v_and_or_b32 v2, v2, s8, v3
	global_store_byte v[4:5], v2, off
.LBB7_775:
	s_mov_b64 s[10:11], 0
	s_mov_b64 s[8:9], -1
.LBB7_776:
	s_andn2_b64 vcc, exec, s[10:11]
	s_cbranch_vccnz .LBB7_784
; %bb.777:
	s_cmp_gt_i32 s15, 14
	s_mov_b64 s[10:11], -1
	s_cbranch_scc0 .LBB7_781
; %bb.778:
	s_cmp_eq_u32 s15, 15
	s_mov_b64 s[0:1], -1
	s_cbranch_scc0 .LBB7_780
; %bb.779:
	v_cvt_f32_f64_e32 v2, v[0:1]
	s_movk_i32 s0, 0x7fff
	v_mov_b32_e32 v3, 0x7fc0
	s_mov_b64 s[8:9], -1
	v_bfe_u32 v6, v2, 16, 1
	v_cmp_o_f32_e32 vcc, v2, v2
	v_add3_u32 v2, v2, v6, s0
	v_cndmask_b32_sdwa v2, v3, v2, vcc dst_sel:DWORD dst_unused:UNUSED_PAD src0_sel:DWORD src1_sel:WORD_1
	global_store_short v[4:5], v2, off
	s_mov_b64 s[0:1], 0
.LBB7_780:
	s_mov_b64 s[10:11], 0
.LBB7_781:
	s_and_b64 vcc, exec, s[10:11]
	s_cbranch_vccz .LBB7_784
; %bb.782:
	s_cmp_eq_u32 s15, 11
	s_mov_b64 s[0:1], -1
	s_cbranch_scc0 .LBB7_784
; %bb.783:
	v_cmp_neq_f64_e32 vcc, 0, v[0:1]
	s_mov_b64 s[0:1], 0
	s_mov_b64 s[8:9], -1
	v_cndmask_b32_e64 v2, 0, 1, vcc
	global_store_byte v[4:5], v2, off
.LBB7_784:
	s_mov_b64 s[10:11], 0
.LBB7_785:
	s_and_b64 vcc, exec, s[10:11]
	s_cbranch_vccz .LBB7_824
; %bb.786:
	s_and_b32 s10, 0xffff, s14
	s_cmp_lt_i32 s10, 5
	s_mov_b64 s[8:9], -1
	s_cbranch_scc1 .LBB7_807
; %bb.787:
	s_cmp_lt_i32 s10, 8
	s_cbranch_scc1 .LBB7_797
; %bb.788:
	s_cmp_lt_i32 s10, 9
	s_cbranch_scc1 .LBB7_794
; %bb.789:
	s_cmp_gt_i32 s10, 9
	s_cbranch_scc0 .LBB7_791
; %bb.790:
	v_mov_b32_e32 v2, 0
	v_mov_b32_e32 v3, v2
	s_mov_b64 s[8:9], 0
	global_store_dwordx4 v[4:5], v[0:3], off
.LBB7_791:
	s_andn2_b64 vcc, exec, s[8:9]
	s_cbranch_vccnz .LBB7_793
; %bb.792:
	v_cvt_f32_f64_e32 v2, v[0:1]
	v_mov_b32_e32 v3, 0
	global_store_dwordx2 v[4:5], v[2:3], off
.LBB7_793:
	s_mov_b64 s[8:9], 0
.LBB7_794:
	s_andn2_b64 vcc, exec, s[8:9]
	s_cbranch_vccnz .LBB7_796
; %bb.795:
	s_movk_i32 s8, 0x1ff
	v_and_or_b32 v2, v1, s8, v0
	v_cmp_ne_u32_e32 vcc, 0, v2
	v_cndmask_b32_e64 v2, 0, 1, vcc
	v_lshrrev_b32_e32 v3, 8, v1
	s_movk_i32 s8, 0xffe
	v_bfe_u32 v6, v1, 20, 11
	v_and_or_b32 v2, v3, s8, v2
	v_sub_u32_e32 v8, 0x3f1, v6
	v_or_b32_e32 v3, 0x1000, v2
	v_med3_i32 v8, v8, 0, 13
	v_lshrrev_b32_e32 v9, v8, v3
	v_lshlrev_b32_e32 v8, v8, v9
	v_cmp_ne_u32_e32 vcc, v8, v3
	v_cndmask_b32_e64 v3, 0, 1, vcc
	v_add_u32_e32 v6, 0xfffffc10, v6
	v_or_b32_e32 v3, v9, v3
	v_lshl_or_b32 v8, v6, 12, v2
	v_cmp_gt_i32_e32 vcc, 1, v6
	v_cndmask_b32_e32 v3, v8, v3, vcc
	v_and_b32_e32 v8, 7, v3
	v_cmp_lt_i32_e32 vcc, 5, v8
	v_cndmask_b32_e64 v9, 0, 1, vcc
	v_cmp_eq_u32_e32 vcc, 3, v8
	v_cndmask_b32_e64 v8, 0, 1, vcc
	v_or_b32_e32 v8, v8, v9
	v_lshrrev_b32_e32 v3, 2, v3
	v_add_u32_e32 v3, v3, v8
	v_mov_b32_e32 v8, 0x7c00
	v_cmp_gt_i32_e32 vcc, 31, v6
	v_cndmask_b32_e32 v3, v8, v3, vcc
	v_mov_b32_e32 v9, 0x7e00
	v_cmp_ne_u32_e32 vcc, 0, v2
	s_movk_i32 s8, 0x40f
	v_cndmask_b32_e32 v2, v8, v9, vcc
	v_cmp_eq_u32_e32 vcc, s8, v6
	v_cndmask_b32_e32 v2, v3, v2, vcc
	v_lshrrev_b32_e32 v3, 16, v1
	s_mov_b32 s8, 0x8000
	v_and_or_b32 v2, v3, s8, v2
	v_and_b32_e32 v2, 0xffff, v2
	global_store_dword v[4:5], v2, off
.LBB7_796:
	s_mov_b64 s[8:9], 0
.LBB7_797:
	s_andn2_b64 vcc, exec, s[8:9]
	s_cbranch_vccnz .LBB7_806
; %bb.798:
	s_cmp_lt_i32 s10, 6
	s_mov_b64 s[8:9], -1
	s_cbranch_scc1 .LBB7_804
; %bb.799:
	s_cmp_gt_i32 s10, 6
	s_cbranch_scc0 .LBB7_801
; %bb.800:
	s_mov_b64 s[8:9], 0
	global_store_dwordx2 v[4:5], v[0:1], off
.LBB7_801:
	s_andn2_b64 vcc, exec, s[8:9]
	s_cbranch_vccnz .LBB7_803
; %bb.802:
	v_cvt_f32_f64_e32 v2, v[0:1]
	global_store_dword v[4:5], v2, off
.LBB7_803:
	s_mov_b64 s[8:9], 0
.LBB7_804:
	s_andn2_b64 vcc, exec, s[8:9]
	s_cbranch_vccnz .LBB7_806
; %bb.805:
	s_movk_i32 s8, 0x1ff
	v_and_or_b32 v2, v1, s8, v0
	v_cmp_ne_u32_e32 vcc, 0, v2
	v_cndmask_b32_e64 v2, 0, 1, vcc
	v_lshrrev_b32_e32 v3, 8, v1
	s_movk_i32 s8, 0xffe
	v_bfe_u32 v6, v1, 20, 11
	v_and_or_b32 v2, v3, s8, v2
	v_sub_u32_e32 v8, 0x3f1, v6
	v_or_b32_e32 v3, 0x1000, v2
	v_med3_i32 v8, v8, 0, 13
	v_lshrrev_b32_e32 v9, v8, v3
	v_lshlrev_b32_e32 v8, v8, v9
	v_cmp_ne_u32_e32 vcc, v8, v3
	v_cndmask_b32_e64 v3, 0, 1, vcc
	v_add_u32_e32 v6, 0xfffffc10, v6
	v_or_b32_e32 v3, v9, v3
	v_lshl_or_b32 v8, v6, 12, v2
	v_cmp_gt_i32_e32 vcc, 1, v6
	v_cndmask_b32_e32 v3, v8, v3, vcc
	v_and_b32_e32 v8, 7, v3
	v_cmp_lt_i32_e32 vcc, 5, v8
	v_cndmask_b32_e64 v9, 0, 1, vcc
	v_cmp_eq_u32_e32 vcc, 3, v8
	v_cndmask_b32_e64 v8, 0, 1, vcc
	v_or_b32_e32 v8, v8, v9
	v_lshrrev_b32_e32 v3, 2, v3
	v_add_u32_e32 v3, v3, v8
	v_mov_b32_e32 v8, 0x7c00
	v_cmp_gt_i32_e32 vcc, 31, v6
	v_cndmask_b32_e32 v3, v8, v3, vcc
	v_mov_b32_e32 v9, 0x7e00
	v_cmp_ne_u32_e32 vcc, 0, v2
	s_movk_i32 s8, 0x40f
	v_cndmask_b32_e32 v2, v8, v9, vcc
	v_cmp_eq_u32_e32 vcc, s8, v6
	v_cndmask_b32_e32 v2, v3, v2, vcc
	v_lshrrev_b32_e32 v3, 16, v1
	s_mov_b32 s8, 0x8000
	v_and_or_b32 v2, v3, s8, v2
	global_store_short v[4:5], v2, off
.LBB7_806:
	s_mov_b64 s[8:9], 0
.LBB7_807:
	s_andn2_b64 vcc, exec, s[8:9]
	s_cbranch_vccnz .LBB7_823
; %bb.808:
	s_cmp_lt_i32 s10, 2
	s_mov_b64 s[8:9], -1
	s_cbranch_scc1 .LBB7_818
; %bb.809:
	s_cmp_lt_i32 s10, 3
	s_cbranch_scc1 .LBB7_815
; %bb.810:
	s_cmp_gt_i32 s10, 3
	s_cbranch_scc0 .LBB7_812
; %bb.811:
	v_trunc_f64_e32 v[2:3], v[0:1]
	s_movk_i32 s8, 0xffe0
	v_ldexp_f64 v[8:9], v[2:3], s8
	s_mov_b32 s8, 0
	s_mov_b32 s9, 0xc1f00000
	v_floor_f64_e32 v[8:9], v[8:9]
	v_fma_f64 v[2:3], v[8:9], s[8:9], v[2:3]
	v_cvt_i32_f64_e32 v9, v[8:9]
	s_mov_b64 s[8:9], 0
	v_cvt_u32_f64_e32 v8, v[2:3]
	global_store_dwordx2 v[4:5], v[8:9], off
.LBB7_812:
	s_andn2_b64 vcc, exec, s[8:9]
	s_cbranch_vccnz .LBB7_814
; %bb.813:
	v_cvt_i32_f64_e32 v2, v[0:1]
	global_store_dword v[4:5], v2, off
.LBB7_814:
	s_mov_b64 s[8:9], 0
.LBB7_815:
	s_andn2_b64 vcc, exec, s[8:9]
	s_cbranch_vccnz .LBB7_817
; %bb.816:
	v_cvt_i32_f64_e32 v2, v[0:1]
	global_store_short v[4:5], v2, off
.LBB7_817:
	s_mov_b64 s[8:9], 0
.LBB7_818:
	s_andn2_b64 vcc, exec, s[8:9]
	s_cbranch_vccnz .LBB7_823
; %bb.819:
	s_cmp_gt_i32 s10, 0
	s_mov_b64 s[8:9], -1
	s_cbranch_scc0 .LBB7_821
; %bb.820:
	v_cvt_i32_f64_e32 v2, v[0:1]
	s_mov_b64 s[8:9], 0
	global_store_byte v[4:5], v2, off
.LBB7_821:
	s_andn2_b64 vcc, exec, s[8:9]
	s_cbranch_vccnz .LBB7_823
; %bb.822:
	v_trunc_f64_e32 v[0:1], v[0:1]
	s_movk_i32 s8, 0xffe0
	v_ldexp_f64 v[2:3], v[0:1], s8
	s_mov_b32 s8, 0
	s_mov_b32 s9, 0xc1f00000
	v_floor_f64_e32 v[2:3], v[2:3]
	v_fma_f64 v[0:1], v[2:3], s[8:9], v[0:1]
	v_cvt_u32_f64_e32 v0, v[0:1]
	global_store_byte v[4:5], v0, off
.LBB7_823:
	s_mov_b64 s[8:9], -1
.LBB7_824:
	s_andn2_b64 vcc, exec, s[8:9]
	s_cbranch_vccnz .LBB7_826
; %bb.825:
	v_add_u32_e32 v7, 0x80, v7
	s_mov_b64 s[8:9], -1
	s_branch .LBB7_828
.LBB7_826:
	s_mov_b64 s[8:9], 0
.LBB7_827:
                                        ; implicit-def: $vgpr7
.LBB7_828:
	s_andn2_b64 s[10:11], s[60:61], exec
	s_and_b64 s[0:1], s[0:1], exec
	s_or_b64 s[68:69], s[10:11], s[0:1]
	s_andn2_b64 s[0:1], s[58:59], exec
	s_and_b64 s[2:3], s[2:3], exec
	s_or_b64 s[66:67], s[0:1], s[2:3]
	s_orn2_b64 s[2:3], s[8:9], exec
.LBB7_829:
	s_or_b64 exec, exec, s[64:65]
	s_mov_b64 s[0:1], 0
	s_mov_b64 s[8:9], 0
	;; [unrolled: 1-line block ×3, first 2 shown]
                                        ; implicit-def: $vgpr0_vgpr1
                                        ; implicit-def: $vgpr2
                                        ; implicit-def: $vgpr3_vgpr4
	s_and_saveexec_b64 s[64:65], s[2:3]
	s_cbranch_execz .LBB7_928
; %bb.830:
	v_cmp_gt_i32_e32 vcc, s70, v7
	s_mov_b64 s[2:3], 0
	s_mov_b64 s[12:13], s[66:67]
                                        ; implicit-def: $vgpr0_vgpr1
                                        ; implicit-def: $vgpr2
                                        ; implicit-def: $vgpr3_vgpr4
	s_and_saveexec_b64 s[70:71], vcc
	s_cbranch_execz .LBB7_927
; %bb.831:
	s_andn2_b64 vcc, exec, s[40:41]
	s_cbranch_vccnz .LBB7_836
; %bb.832:
	s_andn2_b64 vcc, exec, s[50:51]
	s_cbranch_vccnz .LBB7_837
; %bb.833:
	s_add_i32 s76, s75, 1
	s_cmp_eq_u32 s72, 2
	s_cbranch_scc1 .LBB7_838
; %bb.834:
	s_and_b32 s75, s76, 28
	v_mov_b32_e32 v0, 0
	s_mov_b32 s77, 0
	s_mov_b64 s[50:51], s[34:35]
	v_mov_b32_e32 v2, 0
	v_mov_b32_e32 v1, v7
.LBB7_835:                              ; =>This Inner Loop Header: Depth=1
	s_load_dwordx8 s[16:23], s[50:51], 0x4
	s_load_dwordx4 s[0:3], s[50:51], 0x24
	s_load_dwordx8 s[8:15], s[48:49], 0x0
	s_add_u32 s50, s50, 48
	s_addc_u32 s51, s51, 0
	s_waitcnt vmcnt(0) lgkmcnt(0)
	v_mul_hi_u32 v3, s17, v1
	s_add_i32 s77, s77, 4
	s_add_u32 s48, s48, 32
	s_addc_u32 s49, s49, 0
	v_add_u32_e32 v3, v1, v3
	v_lshrrev_b32_e32 v3, s18, v3
	v_mul_lo_u32 v4, v3, s16
	v_mul_hi_u32 v5, s20, v3
	s_cmp_eq_u32 s75, s77
	v_sub_u32_e32 v1, v1, v4
	v_add_u32_e32 v4, v3, v5
	v_mul_lo_u32 v5, v1, s8
	v_mul_lo_u32 v6, v1, s9
	v_lshrrev_b32_e32 v1, s21, v4
	v_mul_lo_u32 v4, v1, s19
	v_mul_hi_u32 v8, s23, v1
	v_sub_u32_e32 v3, v3, v4
	v_add_u32_e32 v4, v1, v8
	v_lshrrev_b32_e32 v4, s0, v4
	v_mul_hi_u32 v9, s2, v4
	v_mul_lo_u32 v10, v4, s22
	v_mul_lo_u32 v8, v3, s10
	v_mul_lo_u32 v3, v3, s11
	v_sub_u32_e32 v10, v1, v10
	v_add_u32_e32 v1, v4, v9
	v_lshrrev_b32_e32 v1, s3, v1
	v_mul_lo_u32 v9, v1, s1
	v_mul_lo_u32 v11, v10, s12
	;; [unrolled: 1-line block ×3, first 2 shown]
	v_add3_u32 v2, v5, v2, v8
	v_sub_u32_e32 v4, v4, v9
	v_mul_lo_u32 v9, v4, s14
	v_mul_lo_u32 v4, v4, s15
	v_add3_u32 v0, v6, v0, v3
	v_add3_u32 v2, v11, v2, v9
	;; [unrolled: 1-line block ×3, first 2 shown]
	s_cbranch_scc0 .LBB7_835
	s_branch .LBB7_839
.LBB7_836:
	s_mov_b64 s[0:1], -1
                                        ; implicit-def: $vgpr2
                                        ; implicit-def: $vgpr0
	s_branch .LBB7_843
.LBB7_837:
	v_mov_b32_e32 v2, 0
	v_mov_b32_e32 v0, 0
	s_branch .LBB7_842
.LBB7_838:
	s_mov_b32 s75, 0
	v_mov_b32_e32 v2, 0
	v_mov_b32_e32 v0, 0
	v_mov_b32_e32 v1, v7
.LBB7_839:
	s_and_b32 s8, s76, 3
	s_cmp_eq_u32 s8, 0
	s_cbranch_scc1 .LBB7_842
; %bb.840:
	s_lshl_b32 s0, s75, 3
	s_add_u32 s0, s34, s0
	s_addc_u32 s1, s35, 0
	s_add_u32 s0, s0, 0xc4
	s_addc_u32 s1, s1, 0
	s_mul_i32 s2, s75, 12
	s_add_u32 s2, s34, s2
	s_addc_u32 s3, s35, 0
.LBB7_841:                              ; =>This Inner Loop Header: Depth=1
	s_load_dwordx2 s[10:11], s[2:3], 0x4
	s_load_dword s9, s[2:3], 0xc
	s_load_dwordx2 s[12:13], s[0:1], 0x0
	s_add_u32 s2, s2, 12
	s_addc_u32 s3, s3, 0
	s_waitcnt vmcnt(0) lgkmcnt(0)
	v_mul_hi_u32 v3, s11, v1
	s_add_u32 s0, s0, 8
	s_addc_u32 s1, s1, 0
	s_add_i32 s8, s8, -1
	v_add_u32_e32 v3, v1, v3
	v_lshrrev_b32_e32 v4, s9, v3
	v_mul_lo_u32 v3, v4, s10
	s_cmp_lg_u32 s8, 0
	v_sub_u32_e32 v1, v1, v3
	v_mad_u64_u32 v[2:3], s[10:11], v1, s12, v[2:3]
	v_mad_u64_u32 v[0:1], s[10:11], v1, s13, v[0:1]
	v_mov_b32_e32 v1, v4
	s_cbranch_scc1 .LBB7_841
.LBB7_842:
	s_mov_b64 s[0:1], 0
.LBB7_843:
	s_andn2_b64 vcc, exec, s[0:1]
	s_cbranch_vccnz .LBB7_846
; %bb.844:
	s_waitcnt lgkmcnt(0)
	v_mul_hi_u32 v0, s37, v7
	s_andn2_b64 vcc, exec, s[46:47]
	v_add_u32_e32 v0, v7, v0
	v_lshrrev_b32_e32 v1, s38, v0
	v_mul_lo_u32 v0, v1, s36
	v_sub_u32_e32 v0, v7, v0
	v_mul_lo_u32 v2, v0, s28
	v_mul_lo_u32 v0, v0, s29
	s_cbranch_vccnz .LBB7_846
; %bb.845:
	s_waitcnt vmcnt(0)
	v_mul_hi_u32 v3, s44, v1
	v_add_u32_e32 v3, v1, v3
	v_lshrrev_b32_e32 v3, s45, v3
	v_mul_lo_u32 v3, v3, s39
	v_sub_u32_e32 v1, v1, v3
	v_mad_u64_u32 v[2:3], s[0:1], v1, s30, v[2:3]
	v_mad_u64_u32 v[0:1], s[0:1], v1, s31, v[0:1]
.LBB7_846:
	s_waitcnt lgkmcnt(0)
	v_mov_b32_e32 v1, s27
	s_and_b32 s14, 0xffff, s74
	v_add_co_u32_e32 v0, vcc, s26, v0
	s_cmp_lt_i32 s14, 11
	v_addc_co_u32_e32 v1, vcc, 0, v1, vcc
	s_cbranch_scc1 .LBB7_853
; %bb.847:
	s_cmp_gt_i32 s14, 25
	s_mov_b64 s[2:3], 0
	s_cbranch_scc0 .LBB7_854
; %bb.848:
	s_cmp_gt_i32 s14, 28
	s_cbranch_scc0 .LBB7_855
; %bb.849:
	s_cmp_gt_i32 s14, 43
	;; [unrolled: 3-line block ×3, first 2 shown]
	s_cbranch_scc0 .LBB7_859
; %bb.851:
	s_cmp_eq_u32 s14, 46
	s_mov_b64 s[10:11], 0
	s_cbranch_scc0 .LBB7_862
; %bb.852:
	global_load_dword v3, v[0:1], off
	s_mov_b64 s[0:1], 0
	s_mov_b64 s[8:9], -1
	s_waitcnt vmcnt(0)
	v_lshlrev_b32_e32 v3, 16, v3
	v_cvt_f64_f32_e32 v[3:4], v3
	s_branch .LBB7_863
.LBB7_853:
	s_mov_b64 s[12:13], -1
	s_mov_b64 s[8:9], 0
	s_mov_b64 s[2:3], 0
	;; [unrolled: 1-line block ×3, first 2 shown]
                                        ; implicit-def: $vgpr3_vgpr4
	s_branch .LBB7_926
.LBB7_854:
	s_mov_b64 s[10:11], -1
	s_mov_b64 s[8:9], 0
	s_mov_b64 s[0:1], s[66:67]
                                        ; implicit-def: $vgpr3_vgpr4
	s_branch .LBB7_894
.LBB7_855:
	s_mov_b64 s[10:11], -1
	s_mov_b64 s[8:9], 0
	s_mov_b64 s[0:1], s[66:67]
                                        ; implicit-def: $vgpr3_vgpr4
	s_branch .LBB7_873
.LBB7_856:
	s_mov_b64 s[10:11], -1
	s_mov_b64 s[8:9], 0
	s_mov_b64 s[0:1], s[66:67]
                                        ; implicit-def: $vgpr3_vgpr4
	s_branch .LBB7_868
.LBB7_857:
	s_andn2_saveexec_b64 s[12:13], s[12:13]
	s_cbranch_execz .LBB7_737
.LBB7_858:
	s_mov_b32 s16, 0x46000000
	v_add_f32_e64 v3, |v2|, s16
	v_and_b32_e32 v3, 0xff, v3
	v_cmp_ne_u32_e32 vcc, 0, v3
	s_andn2_b64 s[10:11], s[10:11], exec
	s_and_b64 s[16:17], vcc, exec
	s_or_b64 s[10:11], s[10:11], s[16:17]
	s_or_b64 exec, exec, s[12:13]
	v_mov_b32_e32 v6, 0
	s_and_saveexec_b64 s[12:13], s[10:11]
	s_cbranch_execnz .LBB7_738
	s_branch .LBB7_739
.LBB7_859:
	s_mov_b64 s[10:11], -1
	s_mov_b64 s[8:9], 0
	s_mov_b64 s[0:1], s[66:67]
                                        ; implicit-def: $vgpr3_vgpr4
	s_branch .LBB7_863
.LBB7_860:
	s_andn2_saveexec_b64 s[12:13], s[12:13]
	s_cbranch_execz .LBB7_750
.LBB7_861:
	s_mov_b32 s16, 0x42800000
	v_add_f32_e64 v3, |v2|, s16
	v_and_b32_e32 v3, 0xff, v3
	v_cmp_ne_u32_e32 vcc, 0, v3
	s_andn2_b64 s[10:11], s[10:11], exec
	s_and_b64 s[16:17], vcc, exec
	s_or_b64 s[10:11], s[10:11], s[16:17]
	s_or_b64 exec, exec, s[12:13]
	v_mov_b32_e32 v6, 0
	s_and_saveexec_b64 s[12:13], s[10:11]
	s_cbranch_execnz .LBB7_751
	s_branch .LBB7_752
.LBB7_862:
	s_mov_b64 s[0:1], -1
                                        ; implicit-def: $vgpr3_vgpr4
	s_mov_b64 s[8:9], 0
.LBB7_863:
	s_and_b64 vcc, exec, s[10:11]
	s_cbranch_vccz .LBB7_867
; %bb.864:
	s_cmp_eq_u32 s14, 44
	s_cbranch_scc0 .LBB7_866
; %bb.865:
	global_load_ubyte v5, v[0:1], off
	s_movk_i32 s8, 0xff
	v_bfrev_b32_e32 v6, 4
	v_mov_b32_e32 v7, 0x7ff80000
	v_bfrev_b32_e32 v8, 28
	s_mov_b64 s[0:1], 0
	s_waitcnt vmcnt(0)
	v_lshlrev_b32_e32 v3, 23, v5
	v_cvt_f64_f32_e32 v[3:4], v3
	v_cmp_ne_u32_e32 vcc, s8, v5
	s_mov_b64 s[8:9], -1
	v_cndmask_b32_e32 v3, v6, v3, vcc
	v_cndmask_b32_e32 v4, v7, v4, vcc
	v_cmp_ne_u32_e32 vcc, 0, v5
	v_cndmask_b32_e32 v4, v8, v4, vcc
	v_cndmask_b32_e32 v3, 0, v3, vcc
	s_branch .LBB7_867
.LBB7_866:
	s_mov_b64 s[0:1], -1
                                        ; implicit-def: $vgpr3_vgpr4
.LBB7_867:
	s_mov_b64 s[10:11], 0
.LBB7_868:
	s_and_b64 vcc, exec, s[10:11]
	s_cbranch_vccz .LBB7_872
; %bb.869:
	s_cmp_eq_u32 s14, 29
	s_cbranch_scc0 .LBB7_871
; %bb.870:
	global_load_dwordx2 v[3:4], v[0:1], off
	s_mov_b64 s[0:1], 0
	s_mov_b64 s[8:9], -1
	s_mov_b64 s[10:11], 0
	s_waitcnt vmcnt(0)
	v_cvt_f64_u32_e32 v[4:5], v4
	v_cvt_f64_u32_e32 v[6:7], v3
	v_ldexp_f64 v[4:5], v[4:5], 32
	v_add_f64 v[3:4], v[4:5], v[6:7]
	s_branch .LBB7_873
.LBB7_871:
	s_mov_b64 s[0:1], -1
                                        ; implicit-def: $vgpr3_vgpr4
.LBB7_872:
	s_mov_b64 s[10:11], 0
.LBB7_873:
	s_and_b64 vcc, exec, s[10:11]
	s_cbranch_vccz .LBB7_893
; %bb.874:
	s_cmp_lt_i32 s14, 27
	s_cbranch_scc1 .LBB7_877
; %bb.875:
	s_cmp_gt_i32 s14, 27
	s_cbranch_scc0 .LBB7_878
; %bb.876:
	global_load_dword v3, v[0:1], off
	s_mov_b64 s[8:9], 0
	s_waitcnt vmcnt(0)
	v_cvt_f64_u32_e32 v[3:4], v3
	s_branch .LBB7_879
.LBB7_877:
	s_mov_b64 s[8:9], -1
                                        ; implicit-def: $vgpr3_vgpr4
	s_branch .LBB7_882
.LBB7_878:
	s_mov_b64 s[8:9], -1
                                        ; implicit-def: $vgpr3_vgpr4
.LBB7_879:
	s_andn2_b64 vcc, exec, s[8:9]
	s_cbranch_vccnz .LBB7_881
; %bb.880:
	global_load_ushort v3, v[0:1], off
	s_waitcnt vmcnt(0)
	v_cvt_f64_u32_e32 v[3:4], v3
.LBB7_881:
	s_mov_b64 s[8:9], 0
.LBB7_882:
	s_andn2_b64 vcc, exec, s[8:9]
	s_cbranch_vccnz .LBB7_892
; %bb.883:
	global_load_ubyte v5, v[0:1], off
	s_movk_i32 s8, 0x7f
	s_waitcnt vmcnt(0)
	v_cmp_lt_i16_e32 vcc, s8, v5
	s_mov_b64 s[8:9], 0
	s_and_saveexec_b64 s[10:11], vcc
	s_xor_b64 s[10:11], exec, s[10:11]
	s_cbranch_execz .LBB7_887
; %bb.884:
	s_movk_i32 s8, 0x80
	v_cmp_eq_u16_e32 vcc, s8, v5
	s_mov_b64 s[8:9], -1
	s_and_saveexec_b64 s[12:13], vcc
; %bb.885:
	s_xor_b64 s[8:9], exec, -1
; %bb.886:
	s_or_b64 exec, exec, s[12:13]
	s_and_b64 s[8:9], s[8:9], exec
.LBB7_887:
	s_or_saveexec_b64 s[10:11], s[10:11]
	v_bfrev_b32_e32 v3, 4
	v_mov_b32_e32 v4, 0x7ff80000
	s_xor_b64 exec, exec, s[10:11]
; %bb.888:
	v_cmp_ne_u16_e32 vcc, 0, v5
	v_mov_b32_e32 v3, 0
	s_andn2_b64 s[8:9], s[8:9], exec
	s_and_b64 s[12:13], vcc, exec
	v_mov_b32_e32 v4, 0
	s_or_b64 s[8:9], s[8:9], s[12:13]
; %bb.889:
	s_or_b64 exec, exec, s[10:11]
	s_and_saveexec_b64 s[10:11], s[8:9]
	s_cbranch_execz .LBB7_891
; %bb.890:
	v_and_b32_e32 v4, 0xffff, v5
	v_lshlrev_b32_e32 v3, 24, v5
	v_and_b32_e32 v5, 7, v4
	v_ffbh_u32_e32 v7, v5
	v_min_u32_e32 v7, 32, v7
	v_subrev_u32_e32 v8, 28, v7
	v_bfe_u32 v6, v4, 3, 4
	v_lshlrev_b32_e32 v4, v8, v4
	v_sub_u32_e32 v7, 29, v7
	v_and_b32_e32 v4, 7, v4
	v_cmp_eq_u32_e32 vcc, 0, v6
	v_cndmask_b32_e32 v6, v6, v7, vcc
	v_cndmask_b32_e32 v4, v5, v4, vcc
	v_mov_b32_e32 v5, 0x3b800000
	v_lshlrev_b32_e32 v4, 20, v4
	v_and_b32_e32 v3, 0x80000000, v3
	v_lshl_add_u32 v5, v6, 23, v5
	v_or3_b32 v3, v3, v5, v4
	v_cvt_f64_f32_e32 v[3:4], v3
.LBB7_891:
	s_or_b64 exec, exec, s[10:11]
.LBB7_892:
	s_mov_b64 s[8:9], -1
.LBB7_893:
	s_mov_b64 s[10:11], 0
.LBB7_894:
	s_and_b64 vcc, exec, s[10:11]
	s_cbranch_vccz .LBB7_925
; %bb.895:
	s_cmp_gt_i32 s14, 22
	s_cbranch_scc0 .LBB7_907
; %bb.896:
	s_cmp_lt_i32 s14, 24
	s_cbranch_scc1 .LBB7_908
; %bb.897:
	s_cmp_gt_i32 s14, 24
	s_cbranch_scc0 .LBB7_909
; %bb.898:
	global_load_ubyte v5, v[0:1], off
	s_movk_i32 s2, 0x7f
	s_waitcnt vmcnt(0)
	v_cmp_lt_i16_e32 vcc, s2, v5
	s_mov_b64 s[2:3], 0
	s_and_saveexec_b64 s[8:9], vcc
	s_xor_b64 s[8:9], exec, s[8:9]
	s_cbranch_execz .LBB7_902
; %bb.899:
	s_movk_i32 s2, 0x80
	v_cmp_eq_u16_e32 vcc, s2, v5
	s_mov_b64 s[2:3], -1
	s_and_saveexec_b64 s[10:11], vcc
; %bb.900:
	s_xor_b64 s[2:3], exec, -1
; %bb.901:
	s_or_b64 exec, exec, s[10:11]
	s_and_b64 s[2:3], s[2:3], exec
.LBB7_902:
	s_or_saveexec_b64 s[8:9], s[8:9]
	v_bfrev_b32_e32 v3, 4
	v_mov_b32_e32 v4, 0x7ff80000
	s_xor_b64 exec, exec, s[8:9]
; %bb.903:
	v_cmp_ne_u16_e32 vcc, 0, v5
	v_mov_b32_e32 v3, 0
	s_andn2_b64 s[2:3], s[2:3], exec
	s_and_b64 s[10:11], vcc, exec
	v_mov_b32_e32 v4, 0
	s_or_b64 s[2:3], s[2:3], s[10:11]
; %bb.904:
	s_or_b64 exec, exec, s[8:9]
	s_and_saveexec_b64 s[8:9], s[2:3]
	s_cbranch_execz .LBB7_906
; %bb.905:
	v_and_b32_e32 v4, 0xffff, v5
	v_lshlrev_b32_e32 v3, 24, v5
	v_and_b32_e32 v5, 3, v4
	v_ffbh_u32_e32 v7, v5
	v_min_u32_e32 v7, 32, v7
	v_subrev_u32_e32 v8, 29, v7
	v_bfe_u32 v6, v4, 2, 5
	v_lshlrev_b32_e32 v4, v8, v4
	v_sub_u32_e32 v7, 30, v7
	v_and_b32_e32 v4, 3, v4
	v_cmp_eq_u32_e32 vcc, 0, v6
	v_cndmask_b32_e32 v6, v6, v7, vcc
	v_cndmask_b32_e32 v4, v5, v4, vcc
	v_mov_b32_e32 v5, 0x37800000
	v_lshlrev_b32_e32 v4, 21, v4
	v_and_b32_e32 v3, 0x80000000, v3
	v_lshl_add_u32 v5, v6, 23, v5
	v_or3_b32 v3, v3, v5, v4
	v_cvt_f64_f32_e32 v[3:4], v3
.LBB7_906:
	s_or_b64 exec, exec, s[8:9]
	s_mov_b64 s[2:3], 0
	s_branch .LBB7_910
.LBB7_907:
	s_mov_b64 s[2:3], -1
                                        ; implicit-def: $vgpr3_vgpr4
	s_branch .LBB7_916
.LBB7_908:
	s_mov_b64 s[2:3], -1
                                        ; implicit-def: $vgpr3_vgpr4
	s_branch .LBB7_913
.LBB7_909:
	s_mov_b64 s[2:3], -1
                                        ; implicit-def: $vgpr3_vgpr4
.LBB7_910:
	s_and_b64 vcc, exec, s[2:3]
	s_cbranch_vccz .LBB7_912
; %bb.911:
	global_load_ubyte v3, v[0:1], off
	s_mov_b32 s2, 0x7f800000
	s_waitcnt vmcnt(0)
	v_lshlrev_b32_e32 v3, 24, v3
	v_and_b32_e32 v4, 0x7f000000, v3
	v_ffbh_u32_e32 v5, v4
	v_min_u32_e32 v5, 32, v5
	v_sub_u32_e64 v5, v5, 4 clamp
	v_lshlrev_b32_e32 v7, v5, v4
	v_lshlrev_b32_e32 v5, 23, v5
	v_lshrrev_b32_e32 v7, 4, v7
	v_add_u32_e32 v6, 0x1000000, v4
	v_sub_u32_e32 v5, v7, v5
	v_ashrrev_i32_e32 v6, 8, v6
	v_add_u32_e32 v5, 0x3c000000, v5
	v_and_or_b32 v5, v6, s2, v5
	v_cmp_ne_u32_e32 vcc, 0, v4
	v_cndmask_b32_e32 v4, 0, v5, vcc
	s_brev_b32 s2, 1
	v_and_or_b32 v3, v3, s2, v4
	v_cvt_f64_f32_e32 v[3:4], v3
.LBB7_912:
	s_mov_b64 s[2:3], 0
.LBB7_913:
	s_andn2_b64 vcc, exec, s[2:3]
	s_cbranch_vccnz .LBB7_915
; %bb.914:
	global_load_ubyte v3, v[0:1], off
	s_movk_i32 s2, 0x7f00
	s_brev_b32 s3, 16
	s_waitcnt vmcnt(0)
	v_lshlrev_b16_e32 v4, 8, v3
	v_lshlrev_b32_e32 v3, 25, v3
	v_lshrrev_b32_e32 v5, 4, v3
	v_and_or_b32 v6, v4, s2, 0.5
	v_or_b32_e32 v5, 0x70000000, v5
	v_add_f32_e32 v6, -0.5, v6
	v_mul_f32_e32 v5, 0x7800000, v5
	v_cmp_gt_u32_e32 vcc, s3, v3
	v_bfe_i32 v4, v4, 0, 16
	v_cndmask_b32_e32 v3, v5, v6, vcc
	s_brev_b32 s2, 1
	v_and_or_b32 v3, v4, s2, v3
	v_cvt_f64_f32_e32 v[3:4], v3
.LBB7_915:
	s_mov_b64 s[2:3], 0
	s_mov_b64 s[8:9], -1
.LBB7_916:
	s_andn2_b64 vcc, exec, s[2:3]
	s_mov_b64 s[2:3], 0
	s_cbranch_vccnz .LBB7_925
; %bb.917:
	s_cmp_gt_i32 s14, 14
	s_cbranch_scc0 .LBB7_920
; %bb.918:
	s_cmp_eq_u32 s14, 15
	s_cbranch_scc0 .LBB7_921
; %bb.919:
	global_load_ushort v3, v[0:1], off
	s_mov_b64 s[0:1], 0
	s_mov_b64 s[8:9], -1
	s_waitcnt vmcnt(0)
	v_lshlrev_b32_e32 v3, 16, v3
	v_cvt_f64_f32_e32 v[3:4], v3
	s_branch .LBB7_922
.LBB7_920:
	s_mov_b64 s[10:11], -1
                                        ; implicit-def: $vgpr3_vgpr4
	s_branch .LBB7_923
.LBB7_921:
	s_mov_b64 s[0:1], -1
                                        ; implicit-def: $vgpr3_vgpr4
.LBB7_922:
	s_mov_b64 s[10:11], 0
.LBB7_923:
	s_and_b64 vcc, exec, s[10:11]
	s_cbranch_vccz .LBB7_925
; %bb.924:
	s_cmp_lg_u32 s14, 11
	s_cselect_b64 s[10:11], -1, 0
	s_andn2_b64 s[0:1], s[0:1], exec
	s_and_b64 s[10:11], s[10:11], exec
	s_mov_b64 s[2:3], -1
	s_or_b64 s[0:1], s[0:1], s[10:11]
.LBB7_925:
	s_mov_b64 s[12:13], 0
.LBB7_926:
	s_and_b64 s[10:11], s[8:9], exec
	s_and_b64 s[8:9], s[12:13], exec
	s_andn2_b64 s[12:13], s[66:67], exec
	s_and_b64 s[0:1], s[0:1], exec
	s_and_b64 s[2:3], s[2:3], exec
	s_or_b64 s[12:13], s[12:13], s[0:1]
.LBB7_927:
	s_or_b64 exec, exec, s[70:71]
	s_and_b64 s[0:1], s[2:3], exec
	s_andn2_b64 s[2:3], s[66:67], exec
	s_and_b64 s[12:13], s[12:13], exec
	s_and_b64 s[10:11], s[10:11], exec
	;; [unrolled: 1-line block ×3, first 2 shown]
	s_or_b64 s[66:67], s[2:3], s[12:13]
.LBB7_928:
	s_or_b64 exec, exec, s[64:65]
	s_andn2_b64 s[2:3], s[60:61], exec
	s_and_b64 s[12:13], s[68:69], exec
	s_or_b64 s[60:61], s[2:3], s[12:13]
	s_and_b64 s[2:3], s[0:1], exec
	s_andn2_b64 s[0:1], s[58:59], exec
	s_and_b64 s[12:13], s[66:67], exec
	s_and_b64 s[10:11], s[10:11], exec
	;; [unrolled: 1-line block ×3, first 2 shown]
	s_or_b64 s[58:59], s[0:1], s[12:13]
.LBB7_929:
	s_or_b64 exec, exec, s[62:63]
	s_andn2_b64 s[0:1], s[52:53], exec
	s_and_b64 s[12:13], s[60:61], exec
	s_or_b64 s[52:53], s[0:1], s[12:13]
	s_and_b64 s[0:1], s[10:11], exec
	s_and_b64 s[10:11], s[8:9], exec
	s_and_b64 s[60:61], s[2:3], exec
	s_andn2_b64 s[2:3], s[54:55], exec
	s_and_b64 s[8:9], s[58:59], exec
	s_or_b64 s[54:55], s[2:3], s[8:9]
	s_or_b64 exec, exec, s[56:57]
	s_mov_b64 s[2:3], 0
	s_and_saveexec_b64 s[8:9], s[54:55]
	s_cbranch_execz .LBB7_278
.LBB7_930:
	s_mov_b64 s[2:3], exec
	s_andn2_b64 s[60:61], s[60:61], exec
	s_trap 2
	s_or_b64 exec, exec, s[8:9]
	s_and_saveexec_b64 s[8:9], s[60:61]
	s_xor_b64 s[8:9], exec, s[8:9]
	s_cbranch_execnz .LBB7_279
.LBB7_931:
	s_or_b64 exec, exec, s[8:9]
	s_and_saveexec_b64 s[8:9], s[10:11]
	s_cbranch_execz .LBB7_977
.LBB7_932:
	s_sext_i32_i16 s10, s74
	s_cmp_lt_i32 s10, 5
	s_cbranch_scc1 .LBB7_937
; %bb.933:
	s_cmp_lt_i32 s10, 8
	s_cbranch_scc1 .LBB7_938
; %bb.934:
	;; [unrolled: 3-line block ×3, first 2 shown]
	s_cmp_gt_i32 s10, 9
	s_cbranch_scc0 .LBB7_940
; %bb.936:
	global_load_dwordx2 v[3:4], v[0:1], off
	s_mov_b64 s[10:11], 0
	s_branch .LBB7_941
.LBB7_937:
                                        ; implicit-def: $vgpr3_vgpr4
	s_branch .LBB7_958
.LBB7_938:
                                        ; implicit-def: $vgpr3_vgpr4
	s_branch .LBB7_947
.LBB7_939:
	s_mov_b64 s[10:11], -1
                                        ; implicit-def: $vgpr3_vgpr4
	s_branch .LBB7_944
.LBB7_940:
	s_mov_b64 s[10:11], -1
                                        ; implicit-def: $vgpr3_vgpr4
.LBB7_941:
	s_andn2_b64 vcc, exec, s[10:11]
	s_cbranch_vccnz .LBB7_943
; %bb.942:
	global_load_dword v3, v[0:1], off
	s_waitcnt vmcnt(0)
	v_cvt_f64_f32_e32 v[3:4], v3
.LBB7_943:
	s_mov_b64 s[10:11], 0
.LBB7_944:
	s_andn2_b64 vcc, exec, s[10:11]
	s_cbranch_vccnz .LBB7_946
; %bb.945:
	global_load_dword v3, v[0:1], off
	s_waitcnt vmcnt(0)
	v_cvt_f32_f16_e32 v3, v3
	v_cvt_f64_f32_e32 v[3:4], v3
.LBB7_946:
	s_cbranch_execnz .LBB7_957
.LBB7_947:
	s_sext_i32_i16 s10, s74
	s_cmp_lt_i32 s10, 6
	s_cbranch_scc1 .LBB7_950
; %bb.948:
	s_cmp_gt_i32 s10, 6
	s_cbranch_scc0 .LBB7_951
; %bb.949:
	global_load_dwordx2 v[3:4], v[0:1], off
	s_mov_b64 s[10:11], 0
	s_branch .LBB7_952
.LBB7_950:
	s_mov_b64 s[10:11], -1
                                        ; implicit-def: $vgpr3_vgpr4
	s_branch .LBB7_955
.LBB7_951:
	s_mov_b64 s[10:11], -1
                                        ; implicit-def: $vgpr3_vgpr4
.LBB7_952:
	s_andn2_b64 vcc, exec, s[10:11]
	s_cbranch_vccnz .LBB7_954
; %bb.953:
	global_load_dword v3, v[0:1], off
	s_waitcnt vmcnt(0)
	v_cvt_f64_f32_e32 v[3:4], v3
.LBB7_954:
	s_mov_b64 s[10:11], 0
.LBB7_955:
	s_andn2_b64 vcc, exec, s[10:11]
	s_cbranch_vccnz .LBB7_957
; %bb.956:
	global_load_ushort v3, v[0:1], off
	s_waitcnt vmcnt(0)
	v_cvt_f32_f16_e32 v3, v3
	v_cvt_f64_f32_e32 v[3:4], v3
.LBB7_957:
	s_cbranch_execnz .LBB7_976
.LBB7_958:
	s_sext_i32_i16 s10, s74
	s_cmp_lt_i32 s10, 2
	s_cbranch_scc1 .LBB7_962
; %bb.959:
	s_cmp_lt_i32 s10, 3
	s_cbranch_scc1 .LBB7_963
; %bb.960:
	s_cmp_gt_i32 s10, 3
	s_cbranch_scc0 .LBB7_964
; %bb.961:
	global_load_dwordx2 v[3:4], v[0:1], off
	s_mov_b64 s[10:11], 0
	s_waitcnt vmcnt(0)
	v_cvt_f64_i32_e32 v[4:5], v4
	v_cvt_f64_u32_e32 v[6:7], v3
	v_ldexp_f64 v[4:5], v[4:5], 32
	v_add_f64 v[3:4], v[4:5], v[6:7]
	s_branch .LBB7_965
.LBB7_962:
                                        ; implicit-def: $vgpr3_vgpr4
	s_branch .LBB7_971
.LBB7_963:
	s_mov_b64 s[10:11], -1
                                        ; implicit-def: $vgpr3_vgpr4
	s_branch .LBB7_968
.LBB7_964:
	s_mov_b64 s[10:11], -1
                                        ; implicit-def: $vgpr3_vgpr4
.LBB7_965:
	s_andn2_b64 vcc, exec, s[10:11]
	s_cbranch_vccnz .LBB7_967
; %bb.966:
	global_load_dword v3, v[0:1], off
	s_waitcnt vmcnt(0)
	v_cvt_f64_i32_e32 v[3:4], v3
.LBB7_967:
	s_mov_b64 s[10:11], 0
.LBB7_968:
	s_andn2_b64 vcc, exec, s[10:11]
	s_cbranch_vccnz .LBB7_970
; %bb.969:
	global_load_sshort v3, v[0:1], off
	s_waitcnt vmcnt(0)
	v_cvt_f64_i32_e32 v[3:4], v3
.LBB7_970:
	s_cbranch_execnz .LBB7_976
.LBB7_971:
	s_sext_i32_i16 s10, s74
	s_cmp_gt_i32 s10, 0
	s_cbranch_scc0 .LBB7_973
; %bb.972:
	global_load_sbyte v3, v[0:1], off
	s_mov_b64 s[10:11], 0
	s_waitcnt vmcnt(0)
	v_cvt_f64_i32_e32 v[3:4], v3
	s_branch .LBB7_974
.LBB7_973:
	s_mov_b64 s[10:11], -1
                                        ; implicit-def: $vgpr3_vgpr4
.LBB7_974:
	s_andn2_b64 vcc, exec, s[10:11]
	s_cbranch_vccnz .LBB7_976
; %bb.975:
	global_load_ubyte v0, v[0:1], off
	s_waitcnt vmcnt(0)
	v_cvt_f64_u32_e32 v[3:4], v0
.LBB7_976:
	s_or_b64 s[0:1], s[0:1], exec
.LBB7_977:
	s_or_b64 exec, exec, s[8:9]
	s_mov_b64 s[12:13], 0
	s_mov_b64 s[10:11], 0
                                        ; implicit-def: $sgpr18
                                        ; implicit-def: $vgpr5_vgpr6
                                        ; implicit-def: $vgpr0_vgpr1
	s_and_saveexec_b64 s[8:9], s[0:1]
	s_cbranch_execz .LBB7_989
; %bb.978:
	s_mov_b32 s0, 0
	s_mov_b32 s1, 0x41d00000
	s_waitcnt vmcnt(0)
	v_cmp_nlt_f64_e64 s[0:1], |v[3:4]|, s[0:1]
                                        ; implicit-def: $vgpr7
                                        ; implicit-def: $vgpr0_vgpr1
                                        ; implicit-def: $vgpr5_vgpr6
	s_and_saveexec_b64 s[10:11], s[0:1]
	s_xor_b64 s[10:11], exec, s[10:11]
	s_cbranch_execz .LBB7_980
; %bb.979:
	v_trig_preop_f64 v[0:1], |v[3:4]|, 0
	s_mov_b32 s0, 0
	s_mov_b32 s1, 0x7b000000
	s_movk_i32 s12, 0xff80
	v_ldexp_f64 v[7:8], |v[3:4]|, s12
	v_cmp_ge_f64_e64 vcc, |v[3:4]|, s[0:1]
	v_trig_preop_f64 v[5:6], |v[3:4]|, 1
	v_and_b32_e32 v9, 0x7fffffff, v4
	v_trig_preop_f64 v[15:16], |v[3:4]|, 2
	s_mov_b32 s0, 0
	s_mov_b32 s1, 0x7ff00000
	v_mov_b32_e32 v26, 0x40100000
	v_mov_b32_e32 v25, 0
	v_cndmask_b32_e32 v8, v9, v8, vcc
	v_cndmask_b32_e32 v7, v3, v7, vcc
	s_mov_b32 s12, 0x33145c07
	v_mul_f64 v[9:10], v[0:1], v[7:8]
	s_mov_b32 s13, 0x3c91a626
	v_mul_f64 v[11:12], v[5:6], v[7:8]
	v_mul_f64 v[21:22], v[15:16], v[7:8]
	v_fma_f64 v[0:1], v[0:1], v[7:8], -v[9:10]
	v_fma_f64 v[5:6], v[5:6], v[7:8], -v[11:12]
	;; [unrolled: 1-line block ×3, first 2 shown]
	v_add_f64 v[13:14], v[11:12], v[0:1]
	v_add_f64 v[17:18], v[13:14], -v[11:12]
	v_add_f64 v[23:24], v[9:10], v[13:14]
	v_add_f64 v[19:20], v[13:14], -v[17:18]
	v_add_f64 v[0:1], v[0:1], -v[17:18]
	v_add_f64 v[17:18], v[21:22], v[5:6]
	v_add_f64 v[9:10], v[23:24], -v[9:10]
	v_add_f64 v[11:12], v[11:12], -v[19:20]
	v_ldexp_f64 v[19:20], v[23:24], -2
	v_add_f64 v[27:28], v[17:18], -v[21:22]
	v_add_f64 v[9:10], v[13:14], -v[9:10]
	v_add_f64 v[0:1], v[0:1], v[11:12]
	v_fract_f64_e32 v[11:12], v[19:20]
	v_cmp_neq_f64_e64 vcc, |v[19:20]|, s[0:1]
	v_add_f64 v[5:6], v[5:6], -v[27:28]
	v_add_f64 v[13:14], v[17:18], v[0:1]
	v_ldexp_f64 v[11:12], v[11:12], 2
	v_add_f64 v[19:20], v[9:10], v[13:14]
	v_cndmask_b32_e32 v12, 0, v12, vcc
	v_cndmask_b32_e32 v11, 0, v11, vcc
	v_add_f64 v[29:30], v[13:14], -v[17:18]
	v_add_f64 v[23:24], v[19:20], v[11:12]
	v_add_f64 v[9:10], v[19:20], -v[9:10]
	v_add_f64 v[31:32], v[13:14], -v[29:30]
	;; [unrolled: 1-line block ×3, first 2 shown]
	v_cmp_gt_f64_e32 vcc, 0, v[23:24]
	v_add_f64 v[23:24], v[17:18], -v[27:28]
	v_add_f64 v[9:10], v[13:14], -v[9:10]
	;; [unrolled: 1-line block ×3, first 2 shown]
	v_cndmask_b32_e32 v26, 0, v26, vcc
	v_add_f64 v[11:12], v[11:12], v[25:26]
	v_add_f64 v[23:24], v[21:22], -v[23:24]
	v_add_f64 v[0:1], v[0:1], v[17:18]
	v_add_f64 v[33:34], v[19:20], v[11:12]
	;; [unrolled: 1-line block ×3, first 2 shown]
	v_cvt_i32_f64_e32 v28, v[33:34]
	v_add_f64 v[0:1], v[5:6], v[0:1]
	v_cvt_f64_i32_e32 v[26:27], v28
	v_add_f64 v[11:12], v[11:12], -v[26:27]
	v_add_f64 v[0:1], v[7:8], v[0:1]
	v_add_f64 v[5:6], v[19:20], v[11:12]
	v_add_f64 v[0:1], v[9:10], v[0:1]
	v_mov_b32_e32 v10, 0x3ff00000
	v_add_f64 v[7:8], v[5:6], -v[11:12]
	v_cmp_le_f64_e32 vcc, 0.5, v[5:6]
	v_add_f64 v[8:9], v[19:20], -v[7:8]
	v_cndmask_b32_e32 v26, 0, v10, vcc
	v_add_f64 v[5:6], v[5:6], -v[25:26]
	v_addc_co_u32_e64 v7, s[0:1], 0, v28, vcc
	s_mov_b32 s0, 0x54442d18
	s_mov_b32 s1, 0x3ff921fb
	v_add_f64 v[0:1], v[0:1], v[8:9]
	v_add_f64 v[8:9], v[5:6], v[0:1]
	v_mul_f64 v[10:11], v[8:9], s[0:1]
	v_add_f64 v[5:6], v[8:9], -v[5:6]
	v_fma_f64 v[12:13], v[8:9], s[0:1], -v[10:11]
	v_add_f64 v[0:1], v[0:1], -v[5:6]
	v_fma_f64 v[5:6], v[8:9], s[12:13], v[12:13]
	v_fma_f64 v[5:6], v[0:1], s[0:1], v[5:6]
	v_add_f64 v[0:1], v[10:11], v[5:6]
	v_add_f64 v[8:9], v[0:1], -v[10:11]
	v_add_f64 v[5:6], v[5:6], -v[8:9]
.LBB7_980:
	s_andn2_saveexec_b64 s[0:1], s[10:11]
	s_cbranch_execz .LBB7_982
; %bb.981:
	s_mov_b32 s10, 0x6dc9c883
	s_mov_b32 s11, 0x3fe45f30
	v_mul_f64 v[0:1], |v[3:4]|, s[10:11]
	s_mov_b32 s10, 0x54442d18
	s_mov_b32 s11, 0xbff921fb
	;; [unrolled: 1-line block ×4, first 2 shown]
	v_rndne_f64_e32 v[7:8], v[0:1]
	v_fma_f64 v[0:1], v[7:8], s[10:11], |v[3:4]|
	v_mul_f64 v[5:6], v[7:8], s[12:13]
	s_mov_b32 s10, 0x252049c0
	s_mov_b32 s11, 0xb97b839a
	v_fma_f64 v[13:14], v[7:8], s[12:13], v[0:1]
	v_add_f64 v[9:10], v[0:1], v[5:6]
	s_mov_b32 s13, 0x3c91a626
	v_add_f64 v[11:12], v[0:1], -v[9:10]
	v_add_f64 v[9:10], v[9:10], -v[13:14]
	v_add_f64 v[0:1], v[11:12], v[5:6]
	v_fma_f64 v[5:6], v[7:8], s[12:13], v[5:6]
	v_add_f64 v[0:1], v[9:10], v[0:1]
	v_add_f64 v[0:1], v[0:1], -v[5:6]
	v_fma_f64 v[5:6], v[7:8], s[10:11], v[0:1]
	v_cvt_i32_f64_e32 v7, v[7:8]
	v_add_f64 v[0:1], v[13:14], v[5:6]
	v_add_f64 v[9:10], v[0:1], -v[13:14]
	v_add_f64 v[5:6], v[5:6], -v[9:10]
.LBB7_982:
	s_or_b64 exec, exec, s[0:1]
	v_mul_f64 v[8:9], v[0:1], v[0:1]
	s_mov_b32 s0, 0xf9a43bb8
	v_mov_b32_e32 v11, 0xb42fdfa7
	v_mov_b32_e32 v12, 0xbe5ae600
	s_mov_b32 s1, 0x3de5e0b2
	s_mov_b32 s10, 0x796cde01
	v_mov_b32_e32 v10, 0x9037ab78
	s_mov_b32 s11, 0x3ec71de3
	v_fma_f64 v[12:13], v[8:9], s[0:1], v[11:12]
	s_mov_b32 s0, 0x46cc5e42
	v_mov_b32_e32 v11, 0x3e21eeb6
	s_mov_b32 s1, 0xbda907db
	v_fma_f64 v[10:11], v[8:9], s[0:1], v[10:11]
	v_mul_f64 v[14:15], v[8:9], 0.5
	s_mov_b32 s0, 0xa17f65f6
	s_mov_b32 s12, 0x19e83e5c
	v_fma_f64 v[12:13], v[8:9], v[12:13], s[10:11]
	s_mov_b32 s1, 0xbe927e4f
	s_mov_b32 s13, 0xbf2a01a0
	;; [unrolled: 1-line block ×3, first 2 shown]
	v_fma_f64 v[10:11], v[8:9], v[10:11], s[0:1]
	v_add_f64 v[16:17], -v[14:15], 1.0
	s_mov_b32 s0, 0x11110bb3
	s_mov_b32 s11, 0x3efa01a0
	v_fma_f64 v[12:13], v[8:9], v[12:13], s[12:13]
	s_mov_b32 s1, 0x3f811111
	v_mul_f64 v[18:19], v[5:6], 0.5
	v_mul_f64 v[20:21], v[0:1], -v[8:9]
	v_fma_f64 v[10:11], v[8:9], v[10:11], s[10:11]
	v_add_f64 v[22:23], -v[16:17], 1.0
	s_and_b32 s18, s73, 0xff
	s_cmp_lt_i32 s18, 11
	v_fma_f64 v[12:13], v[8:9], v[12:13], s[0:1]
	s_mov_b32 s0, 0x16c16967
	s_mov_b32 s1, 0xbf56c16c
	v_fma_f64 v[10:11], v[8:9], v[10:11], s[0:1]
	v_add_f64 v[14:15], v[22:23], -v[14:15]
	s_mov_b32 s1, 0x3fa55555
	s_mov_b32 s0, 0x55555555
	v_fma_f64 v[12:13], v[20:21], v[12:13], v[18:19]
	v_mul_f64 v[18:19], v[8:9], v[8:9]
	v_fma_f64 v[10:11], v[8:9], v[10:11], s[0:1]
	v_fma_f64 v[14:15], v[0:1], -v[5:6], v[14:15]
	s_mov_b32 s1, 0xbfc55555
	v_fma_f64 v[5:6], v[8:9], v[12:13], -v[5:6]
	v_fma_f64 v[8:9], v[18:19], v[10:11], v[14:15]
	s_waitcnt lgkmcnt(0)
	v_mov_b32_e32 v10, s25
	v_fma_f64 v[5:6], v[20:21], s[0:1], v[5:6]
	s_movk_i32 s0, 0x1f8
	v_cmp_class_f64_e64 s[0:1], v[3:4], s0
	v_add_f64 v[8:9], v[16:17], v[8:9]
	v_add_f64 v[0:1], v[0:1], -v[5:6]
	v_and_b32_e32 v5, 1, v7
	v_lshlrev_b32_e32 v6, 30, v7
	v_cmp_eq_u32_e32 vcc, 0, v5
	v_xor_b32_e32 v3, v6, v4
	v_and_b32_e32 v3, 0x80000000, v3
	v_mov_b32_e32 v7, 0x7ff80000
	v_cndmask_b32_e32 v1, v9, v1, vcc
	v_cndmask_b32_e32 v0, v8, v0, vcc
	v_xor_b32_e32 v1, v1, v3
	v_add_co_u32_e32 v5, vcc, s24, v2
	v_cndmask_b32_e64 v0, 0, v0, s[0:1]
	v_cndmask_b32_e64 v1, v7, v1, s[0:1]
	v_addc_co_u32_e32 v6, vcc, 0, v10, vcc
	s_cbranch_scc1 .LBB7_992
; %bb.983:
	s_and_b32 s19, 0xffff, s18
	s_mov_b64 s[12:13], -1
	s_cmp_gt_i32 s19, 25
	s_mov_b64 s[0:1], s[52:53]
	s_cbranch_scc0 .LBB7_1020
; %bb.984:
	s_mov_b64 s[10:11], -1
	s_cmp_gt_i32 s19, 28
	s_mov_b64 s[0:1], s[52:53]
	s_cbranch_scc0 .LBB7_1004
; %bb.985:
	s_cmp_gt_i32 s19, 43
	s_mov_b64 s[0:1], s[52:53]
	s_cbranch_scc0 .LBB7_1000
; %bb.986:
	;; [unrolled: 4-line block ×3, first 2 shown]
	s_cmp_eq_u32 s19, 46
	s_mov_b64 s[0:1], -1
	s_cbranch_scc0 .LBB7_993
; %bb.988:
	v_cvt_f32_f64_e32 v2, v[0:1]
	s_movk_i32 s0, 0x7fff
	v_mov_b32_e32 v3, 0x7fc0
	s_mov_b64 s[10:11], 0
	v_bfe_u32 v4, v2, 16, 1
	v_cmp_o_f32_e32 vcc, v2, v2
	v_add3_u32 v2, v2, v4, s0
	v_cndmask_b32_sdwa v2, v3, v2, vcc dst_sel:DWORD dst_unused:UNUSED_PAD src0_sel:DWORD src1_sel:WORD_1
	global_store_dword v[5:6], v2, off
	s_mov_b64 s[0:1], 0
	s_branch .LBB7_994
.LBB7_989:
	s_or_b64 exec, exec, s[8:9]
	s_and_saveexec_b64 s[0:1], s[52:53]
	s_cbranch_execnz .LBB7_1062
.LBB7_990:
	s_or_b64 exec, exec, s[0:1]
	s_and_saveexec_b64 s[0:1], s[12:13]
	s_xor_b64 s[0:1], exec, s[0:1]
	s_cbranch_execz .LBB7_1063
.LBB7_991:
	v_cmp_neq_f64_e32 vcc, 0, v[0:1]
	v_cndmask_b32_e64 v2, 0, 1, vcc
	global_store_byte v[5:6], v2, off
	s_or_b64 exec, exec, s[0:1]
	s_and_saveexec_b64 s[0:1], s[10:11]
	s_xor_b64 s[0:1], exec, s[0:1]
	s_cbranch_execz .LBB7_1101
	s_branch .LBB7_1064
.LBB7_992:
	s_mov_b64 s[12:13], 0
	s_mov_b64 s[10:11], -1
	s_mov_b64 s[0:1], s[52:53]
	s_branch .LBB7_1061
.LBB7_993:
	s_mov_b64 s[10:11], 0
.LBB7_994:
	s_and_b64 vcc, exec, s[10:11]
	s_cbranch_vccz .LBB7_999
; %bb.995:
	s_cmp_eq_u32 s19, 44
	s_mov_b64 s[0:1], -1
	s_cbranch_scc0 .LBB7_999
; %bb.996:
	v_cvt_f32_f64_e32 v2, v[0:1]
	s_movk_i32 s0, 0xff
	v_mov_b32_e32 v4, 0xff
	v_bfe_u32 v3, v2, 23, 8
	v_cmp_ne_u32_e32 vcc, s0, v3
	s_and_saveexec_b64 s[10:11], vcc
; %bb.997:
	s_mov_b32 s0, 0x3fffff
	v_lshrrev_b32_e32 v4, 23, v2
	v_and_b32_e32 v7, 0x400000, v2
	v_and_or_b32 v2, v2, s0, v3
	v_cmp_ne_u32_e32 vcc, 0, v7
	v_cmp_ne_u32_e64 s[0:1], 0, v2
	s_and_b64 s[0:1], vcc, s[0:1]
	v_cndmask_b32_e64 v2, 0, 1, s[0:1]
	v_add_u32_e32 v4, v4, v2
; %bb.998:
	s_or_b64 exec, exec, s[10:11]
	s_mov_b64 s[0:1], 0
	global_store_byte v[5:6], v4, off
.LBB7_999:
	s_mov_b64 s[10:11], 0
.LBB7_1000:
	s_and_b64 vcc, exec, s[10:11]
	s_cbranch_vccz .LBB7_1003
; %bb.1001:
	s_cmp_eq_u32 s19, 29
	s_mov_b64 s[0:1], -1
	s_cbranch_scc0 .LBB7_1003
; %bb.1002:
	v_trunc_f64_e32 v[2:3], v[0:1]
	s_movk_i32 s0, 0xffe0
	s_mov_b64 s[10:11], 0
	v_ldexp_f64 v[7:8], v[2:3], s0
	s_mov_b32 s0, 0
	s_mov_b32 s1, 0xc1f00000
	v_floor_f64_e32 v[7:8], v[7:8]
	v_fma_f64 v[2:3], v[7:8], s[0:1], v[2:3]
	v_cvt_u32_f64_e32 v4, v[7:8]
	s_mov_b64 s[0:1], 0
	v_cvt_u32_f64_e32 v3, v[2:3]
	global_store_dwordx2 v[5:6], v[3:4], off
	s_branch .LBB7_1004
.LBB7_1003:
	s_mov_b64 s[10:11], 0
.LBB7_1004:
	s_and_b64 vcc, exec, s[10:11]
	s_cbranch_vccz .LBB7_1019
; %bb.1005:
	s_cmp_lt_i32 s19, 27
	s_mov_b64 s[10:11], -1
	s_cbranch_scc1 .LBB7_1011
; %bb.1006:
	s_cmp_gt_i32 s19, 27
	s_cbranch_scc0 .LBB7_1008
; %bb.1007:
	v_cvt_u32_f64_e32 v2, v[0:1]
	s_mov_b64 s[10:11], 0
	global_store_dword v[5:6], v2, off
.LBB7_1008:
	s_andn2_b64 vcc, exec, s[10:11]
	s_cbranch_vccnz .LBB7_1010
; %bb.1009:
	v_cvt_u32_f64_e32 v2, v[0:1]
	global_store_short v[5:6], v2, off
.LBB7_1010:
	s_mov_b64 s[10:11], 0
.LBB7_1011:
	s_andn2_b64 vcc, exec, s[10:11]
	s_cbranch_vccnz .LBB7_1019
; %bb.1012:
	v_cvt_f32_f64_e32 v2, v[0:1]
	s_mov_b32 s10, 0x43800000
	v_mov_b32_e32 v4, 0x80
	v_and_b32_e32 v3, 0x7fffffff, v2
	v_cmp_gt_u32_e32 vcc, s10, v3
	s_and_saveexec_b64 s[10:11], vcc
	s_cbranch_execz .LBB7_1018
; %bb.1013:
	s_mov_b32 s12, 0x3bffffff
	v_cmp_lt_u32_e32 vcc, s12, v3
	s_mov_b64 s[12:13], 0
                                        ; implicit-def: $vgpr3
	s_and_saveexec_b64 s[14:15], vcc
	s_xor_b64 s[14:15], exec, s[14:15]
	s_cbranch_execz .LBB7_1172
; %bb.1014:
	v_bfe_u32 v3, v2, 20, 1
	s_mov_b32 s16, 0x487ffff
	v_add3_u32 v3, v2, v3, s16
	s_mov_b64 s[12:13], exec
	v_lshrrev_b32_e32 v3, 20, v3
	s_andn2_saveexec_b64 s[14:15], s[14:15]
	s_cbranch_execnz .LBB7_1173
.LBB7_1015:
	s_or_b64 exec, exec, s[14:15]
	v_mov_b32_e32 v4, 0
	s_and_saveexec_b64 s[14:15], s[12:13]
.LBB7_1016:
	v_lshrrev_b32_e32 v2, 24, v2
	s_movk_i32 s12, 0x80
	v_and_or_b32 v4, v2, s12, v3
.LBB7_1017:
	s_or_b64 exec, exec, s[14:15]
.LBB7_1018:
	s_or_b64 exec, exec, s[10:11]
	global_store_byte v[5:6], v4, off
.LBB7_1019:
	s_mov_b64 s[12:13], 0
.LBB7_1020:
	s_mov_b64 s[10:11], 0
	s_and_b64 vcc, exec, s[12:13]
	s_cbranch_vccz .LBB7_1060
; %bb.1021:
	s_cmp_gt_i32 s19, 22
	s_mov_b64 s[12:13], -1
	s_cbranch_scc0 .LBB7_1053
; %bb.1022:
	s_cmp_lt_i32 s19, 24
	s_cbranch_scc1 .LBB7_1042
; %bb.1023:
	s_cmp_gt_i32 s19, 24
	s_cbranch_scc0 .LBB7_1031
; %bb.1024:
	v_cvt_f32_f64_e32 v2, v[0:1]
	s_mov_b32 s12, 0x47800000
	v_mov_b32_e32 v4, 0x80
	v_and_b32_e32 v3, 0x7fffffff, v2
	v_cmp_gt_u32_e32 vcc, s12, v3
	s_and_saveexec_b64 s[12:13], vcc
	s_cbranch_execz .LBB7_1030
; %bb.1025:
	s_mov_b32 s14, 0x37ffffff
	v_cmp_lt_u32_e32 vcc, s14, v3
	s_mov_b64 s[14:15], 0
                                        ; implicit-def: $vgpr3
	s_and_saveexec_b64 s[16:17], vcc
	s_xor_b64 s[16:17], exec, s[16:17]
	s_cbranch_execz .LBB7_1301
; %bb.1026:
	v_bfe_u32 v3, v2, 21, 1
	s_mov_b32 s20, 0x88fffff
	v_add3_u32 v3, v2, v3, s20
	s_mov_b64 s[14:15], exec
	v_lshrrev_b32_e32 v3, 21, v3
	s_andn2_saveexec_b64 s[16:17], s[16:17]
	s_cbranch_execnz .LBB7_1302
.LBB7_1027:
	s_or_b64 exec, exec, s[16:17]
	v_mov_b32_e32 v4, 0
	s_and_saveexec_b64 s[16:17], s[14:15]
.LBB7_1028:
	v_lshrrev_b32_e32 v2, 24, v2
	s_movk_i32 s14, 0x80
	v_and_or_b32 v4, v2, s14, v3
.LBB7_1029:
	s_or_b64 exec, exec, s[16:17]
.LBB7_1030:
	s_or_b64 exec, exec, s[12:13]
	s_mov_b64 s[12:13], 0
	global_store_byte v[5:6], v4, off
.LBB7_1031:
	s_and_b64 vcc, exec, s[12:13]
	s_cbranch_vccz .LBB7_1041
; %bb.1032:
	v_cvt_f32_f64_e32 v2, v[0:1]
	s_mov_b32 s12, 0x43f00000
                                        ; implicit-def: $vgpr3
	v_and_b32_e32 v4, 0x7fffffff, v2
	v_cmp_gt_u32_e32 vcc, s12, v4
	s_and_saveexec_b64 s[12:13], vcc
	s_xor_b64 s[12:13], exec, s[12:13]
	s_cbranch_execz .LBB7_1038
; %bb.1033:
	s_mov_b32 s14, 0x3c7fffff
	v_cmp_lt_u32_e32 vcc, s14, v4
                                        ; implicit-def: $vgpr3
	s_and_saveexec_b64 s[14:15], vcc
	s_xor_b64 s[14:15], exec, s[14:15]
; %bb.1034:
	v_bfe_u32 v3, v2, 20, 1
	s_mov_b32 s16, 0x407ffff
	v_add3_u32 v3, v2, v3, s16
	v_lshrrev_b32_e32 v4, 20, v3
	v_and_b32_e32 v3, 0xff00000, v3
	s_mov_b32 s16, 0x7f00000
	v_mov_b32_e32 v7, 0x7e
	v_cmp_ne_u32_e32 vcc, s16, v3
	v_cndmask_b32_e32 v3, v7, v4, vcc
; %bb.1035:
	s_andn2_saveexec_b64 s[14:15], s[14:15]
; %bb.1036:
	s_mov_b32 s16, 0x46800000
	v_add_f32_e64 v3, |v2|, s16
; %bb.1037:
	s_or_b64 exec, exec, s[14:15]
                                        ; implicit-def: $vgpr4
.LBB7_1038:
	s_andn2_saveexec_b64 s[12:13], s[12:13]
; %bb.1039:
	s_mov_b32 s14, 0x7f800000
	v_mov_b32_e32 v3, 0x7e
	v_mov_b32_e32 v7, 0x7f
	v_cmp_lt_u32_e32 vcc, s14, v4
	v_cndmask_b32_e32 v3, v3, v7, vcc
; %bb.1040:
	s_or_b64 exec, exec, s[12:13]
	v_lshrrev_b32_e32 v2, 24, v2
	s_movk_i32 s12, 0x80
	v_and_or_b32 v2, v2, s12, v3
	global_store_byte v[5:6], v2, off
.LBB7_1041:
	s_mov_b64 s[12:13], 0
.LBB7_1042:
	s_andn2_b64 vcc, exec, s[12:13]
	s_cbranch_vccnz .LBB7_1052
; %bb.1043:
	v_cvt_f32_f64_e32 v2, v[0:1]
	s_mov_b32 s12, 0x47800000
                                        ; implicit-def: $vgpr3
	v_and_b32_e32 v4, 0x7fffffff, v2
	v_cmp_gt_u32_e32 vcc, s12, v4
	s_and_saveexec_b64 s[12:13], vcc
	s_xor_b64 s[12:13], exec, s[12:13]
	s_cbranch_execz .LBB7_1049
; %bb.1044:
	s_mov_b32 s14, 0x387fffff
	v_cmp_lt_u32_e32 vcc, s14, v4
                                        ; implicit-def: $vgpr3
	s_and_saveexec_b64 s[14:15], vcc
	s_xor_b64 s[14:15], exec, s[14:15]
; %bb.1045:
	v_bfe_u32 v3, v2, 21, 1
	s_mov_b32 s16, 0x80fffff
	v_add3_u32 v3, v2, v3, s16
	v_lshrrev_b32_e32 v3, 21, v3
; %bb.1046:
	s_andn2_saveexec_b64 s[14:15], s[14:15]
; %bb.1047:
	s_mov_b32 s16, 0x43000000
	v_add_f32_e64 v3, |v2|, s16
; %bb.1048:
	s_or_b64 exec, exec, s[14:15]
                                        ; implicit-def: $vgpr4
.LBB7_1049:
	s_andn2_saveexec_b64 s[12:13], s[12:13]
; %bb.1050:
	s_mov_b32 s14, 0x7f800000
	v_mov_b32_e32 v3, 0x7c
	v_mov_b32_e32 v7, 0x7f
	v_cmp_lt_u32_e32 vcc, s14, v4
	v_cndmask_b32_e32 v3, v3, v7, vcc
; %bb.1051:
	s_or_b64 exec, exec, s[12:13]
	v_lshrrev_b32_e32 v2, 24, v2
	s_movk_i32 s12, 0x80
	v_and_or_b32 v2, v2, s12, v3
	global_store_byte v[5:6], v2, off
.LBB7_1052:
	s_mov_b64 s[12:13], 0
.LBB7_1053:
	s_andn2_b64 vcc, exec, s[12:13]
	s_mov_b64 s[12:13], 0
	s_cbranch_vccnz .LBB7_1061
; %bb.1054:
	s_cmp_gt_i32 s19, 14
	s_mov_b64 s[14:15], -1
	s_cbranch_scc0 .LBB7_1058
; %bb.1055:
	s_cmp_eq_u32 s19, 15
	s_mov_b64 s[0:1], -1
	s_cbranch_scc0 .LBB7_1057
; %bb.1056:
	v_cvt_f32_f64_e32 v2, v[0:1]
	s_movk_i32 s0, 0x7fff
	v_mov_b32_e32 v3, 0x7fc0
	v_bfe_u32 v4, v2, 16, 1
	v_cmp_o_f32_e32 vcc, v2, v2
	v_add3_u32 v2, v2, v4, s0
	v_cndmask_b32_sdwa v2, v3, v2, vcc dst_sel:DWORD dst_unused:UNUSED_PAD src0_sel:DWORD src1_sel:WORD_1
	global_store_short v[5:6], v2, off
	s_mov_b64 s[0:1], 0
.LBB7_1057:
	s_mov_b64 s[14:15], 0
.LBB7_1058:
	s_and_b64 vcc, exec, s[14:15]
	s_cbranch_vccz .LBB7_1061
; %bb.1059:
	s_cmp_lg_u32 s19, 11
	s_cselect_b64 s[14:15], -1, 0
	s_andn2_b64 s[0:1], s[0:1], exec
	s_and_b64 s[14:15], s[14:15], exec
	s_mov_b64 s[12:13], -1
	s_or_b64 s[0:1], s[0:1], s[14:15]
	s_branch .LBB7_1061
.LBB7_1060:
	s_mov_b64 s[12:13], 0
.LBB7_1061:
	s_andn2_b64 s[14:15], s[52:53], exec
	s_and_b64 s[0:1], s[0:1], exec
	s_and_b64 s[10:11], s[10:11], exec
	;; [unrolled: 1-line block ×3, first 2 shown]
	s_or_b64 s[52:53], s[14:15], s[0:1]
	s_or_b64 exec, exec, s[8:9]
	s_and_saveexec_b64 s[0:1], s[52:53]
	s_cbranch_execz .LBB7_990
.LBB7_1062:
	s_or_b64 s[2:3], s[2:3], exec
	s_andn2_b64 s[12:13], s[12:13], exec
	s_trap 2
	s_or_b64 exec, exec, s[0:1]
	s_and_saveexec_b64 s[0:1], s[12:13]
	s_xor_b64 s[0:1], exec, s[0:1]
	s_cbranch_execnz .LBB7_991
.LBB7_1063:
	s_or_b64 exec, exec, s[0:1]
	s_and_saveexec_b64 s[0:1], s[10:11]
	s_xor_b64 s[0:1], exec, s[0:1]
	s_cbranch_execz .LBB7_1101
.LBB7_1064:
	s_sext_i32_i16 s10, s18
	s_cmp_lt_i32 s10, 5
	s_mov_b64 s[8:9], -1
	s_cbranch_scc1 .LBB7_1085
; %bb.1065:
	s_cmp_lt_i32 s10, 8
	s_cbranch_scc1 .LBB7_1075
; %bb.1066:
	s_cmp_lt_i32 s10, 9
	s_cbranch_scc1 .LBB7_1072
; %bb.1067:
	s_cmp_gt_i32 s10, 9
	s_cbranch_scc0 .LBB7_1069
; %bb.1068:
	v_mov_b32_e32 v2, 0
	s_waitcnt vmcnt(0)
	v_mov_b32_e32 v3, v2
	s_mov_b64 s[8:9], 0
	global_store_dwordx4 v[5:6], v[0:3], off
.LBB7_1069:
	s_andn2_b64 vcc, exec, s[8:9]
	s_cbranch_vccnz .LBB7_1071
; %bb.1070:
	v_cvt_f32_f64_e32 v2, v[0:1]
	s_waitcnt vmcnt(0)
	v_mov_b32_e32 v3, 0
	global_store_dwordx2 v[5:6], v[2:3], off
.LBB7_1071:
	s_mov_b64 s[8:9], 0
.LBB7_1072:
	s_andn2_b64 vcc, exec, s[8:9]
	s_cbranch_vccnz .LBB7_1074
; %bb.1073:
	s_movk_i32 s8, 0x1ff
	v_and_or_b32 v2, v1, s8, v0
	v_cmp_ne_u32_e32 vcc, 0, v2
	v_cndmask_b32_e64 v2, 0, 1, vcc
	s_waitcnt vmcnt(0)
	v_lshrrev_b32_e32 v3, 8, v1
	s_movk_i32 s8, 0xffe
	v_bfe_u32 v4, v1, 20, 11
	v_and_or_b32 v2, v3, s8, v2
	v_sub_u32_e32 v7, 0x3f1, v4
	v_or_b32_e32 v3, 0x1000, v2
	v_med3_i32 v7, v7, 0, 13
	v_lshrrev_b32_e32 v8, v7, v3
	v_lshlrev_b32_e32 v7, v7, v8
	v_cmp_ne_u32_e32 vcc, v7, v3
	v_cndmask_b32_e64 v3, 0, 1, vcc
	v_add_u32_e32 v4, 0xfffffc10, v4
	v_or_b32_e32 v3, v8, v3
	v_lshl_or_b32 v7, v4, 12, v2
	v_cmp_gt_i32_e32 vcc, 1, v4
	v_cndmask_b32_e32 v3, v7, v3, vcc
	v_and_b32_e32 v7, 7, v3
	v_cmp_lt_i32_e32 vcc, 5, v7
	v_cndmask_b32_e64 v8, 0, 1, vcc
	v_cmp_eq_u32_e32 vcc, 3, v7
	v_cndmask_b32_e64 v7, 0, 1, vcc
	v_or_b32_e32 v7, v7, v8
	v_lshrrev_b32_e32 v3, 2, v3
	v_add_u32_e32 v3, v3, v7
	v_mov_b32_e32 v7, 0x7c00
	v_cmp_gt_i32_e32 vcc, 31, v4
	v_cndmask_b32_e32 v3, v7, v3, vcc
	v_mov_b32_e32 v8, 0x7e00
	v_cmp_ne_u32_e32 vcc, 0, v2
	s_movk_i32 s8, 0x40f
	v_cndmask_b32_e32 v2, v7, v8, vcc
	v_cmp_eq_u32_e32 vcc, s8, v4
	v_cndmask_b32_e32 v2, v3, v2, vcc
	v_lshrrev_b32_e32 v3, 16, v1
	s_mov_b32 s8, 0x8000
	v_and_or_b32 v2, v3, s8, v2
	v_and_b32_e32 v2, 0xffff, v2
	global_store_dword v[5:6], v2, off
.LBB7_1074:
	s_mov_b64 s[8:9], 0
.LBB7_1075:
	s_andn2_b64 vcc, exec, s[8:9]
	s_cbranch_vccnz .LBB7_1084
; %bb.1076:
	s_sext_i32_i16 s10, s18
	s_cmp_lt_i32 s10, 6
	s_mov_b64 s[8:9], -1
	s_cbranch_scc1 .LBB7_1082
; %bb.1077:
	s_cmp_gt_i32 s10, 6
	s_cbranch_scc0 .LBB7_1079
; %bb.1078:
	s_mov_b64 s[8:9], 0
	global_store_dwordx2 v[5:6], v[0:1], off
.LBB7_1079:
	s_andn2_b64 vcc, exec, s[8:9]
	s_cbranch_vccnz .LBB7_1081
; %bb.1080:
	v_cvt_f32_f64_e32 v2, v[0:1]
	global_store_dword v[5:6], v2, off
.LBB7_1081:
	s_mov_b64 s[8:9], 0
.LBB7_1082:
	s_andn2_b64 vcc, exec, s[8:9]
	s_cbranch_vccnz .LBB7_1084
; %bb.1083:
	s_movk_i32 s8, 0x1ff
	v_and_or_b32 v2, v1, s8, v0
	v_cmp_ne_u32_e32 vcc, 0, v2
	v_cndmask_b32_e64 v2, 0, 1, vcc
	s_waitcnt vmcnt(0)
	v_lshrrev_b32_e32 v3, 8, v1
	s_movk_i32 s8, 0xffe
	v_bfe_u32 v4, v1, 20, 11
	v_and_or_b32 v2, v3, s8, v2
	v_sub_u32_e32 v7, 0x3f1, v4
	v_or_b32_e32 v3, 0x1000, v2
	v_med3_i32 v7, v7, 0, 13
	v_lshrrev_b32_e32 v8, v7, v3
	v_lshlrev_b32_e32 v7, v7, v8
	v_cmp_ne_u32_e32 vcc, v7, v3
	v_cndmask_b32_e64 v3, 0, 1, vcc
	v_add_u32_e32 v4, 0xfffffc10, v4
	v_or_b32_e32 v3, v8, v3
	v_lshl_or_b32 v7, v4, 12, v2
	v_cmp_gt_i32_e32 vcc, 1, v4
	v_cndmask_b32_e32 v3, v7, v3, vcc
	v_and_b32_e32 v7, 7, v3
	v_cmp_lt_i32_e32 vcc, 5, v7
	v_cndmask_b32_e64 v8, 0, 1, vcc
	v_cmp_eq_u32_e32 vcc, 3, v7
	v_cndmask_b32_e64 v7, 0, 1, vcc
	v_or_b32_e32 v7, v7, v8
	v_lshrrev_b32_e32 v3, 2, v3
	v_add_u32_e32 v3, v3, v7
	v_mov_b32_e32 v7, 0x7c00
	v_cmp_gt_i32_e32 vcc, 31, v4
	v_cndmask_b32_e32 v3, v7, v3, vcc
	v_mov_b32_e32 v8, 0x7e00
	v_cmp_ne_u32_e32 vcc, 0, v2
	s_movk_i32 s8, 0x40f
	v_cndmask_b32_e32 v2, v7, v8, vcc
	v_cmp_eq_u32_e32 vcc, s8, v4
	v_cndmask_b32_e32 v2, v3, v2, vcc
	v_lshrrev_b32_e32 v3, 16, v1
	s_mov_b32 s8, 0x8000
	v_and_or_b32 v2, v3, s8, v2
	global_store_short v[5:6], v2, off
.LBB7_1084:
	s_mov_b64 s[8:9], 0
.LBB7_1085:
	s_andn2_b64 vcc, exec, s[8:9]
	s_cbranch_vccnz .LBB7_1101
; %bb.1086:
	s_sext_i32_i16 s10, s18
	s_cmp_lt_i32 s10, 2
	s_mov_b64 s[8:9], -1
	s_cbranch_scc1 .LBB7_1096
; %bb.1087:
	s_cmp_lt_i32 s10, 3
	s_cbranch_scc1 .LBB7_1093
; %bb.1088:
	s_cmp_gt_i32 s10, 3
	s_cbranch_scc0 .LBB7_1090
; %bb.1089:
	s_waitcnt vmcnt(0)
	v_trunc_f64_e32 v[2:3], v[0:1]
	s_movk_i32 s8, 0xffe0
	v_ldexp_f64 v[7:8], v[2:3], s8
	s_mov_b32 s8, 0
	s_mov_b32 s9, 0xc1f00000
	v_floor_f64_e32 v[7:8], v[7:8]
	v_fma_f64 v[2:3], v[7:8], s[8:9], v[2:3]
	v_cvt_i32_f64_e32 v4, v[7:8]
	s_mov_b64 s[8:9], 0
	v_cvt_u32_f64_e32 v3, v[2:3]
	global_store_dwordx2 v[5:6], v[3:4], off
.LBB7_1090:
	s_andn2_b64 vcc, exec, s[8:9]
	s_cbranch_vccnz .LBB7_1092
; %bb.1091:
	v_cvt_i32_f64_e32 v2, v[0:1]
	global_store_dword v[5:6], v2, off
.LBB7_1092:
	s_mov_b64 s[8:9], 0
.LBB7_1093:
	s_andn2_b64 vcc, exec, s[8:9]
	s_cbranch_vccnz .LBB7_1095
; %bb.1094:
	v_cvt_i32_f64_e32 v2, v[0:1]
	global_store_short v[5:6], v2, off
.LBB7_1095:
	s_mov_b64 s[8:9], 0
.LBB7_1096:
	s_andn2_b64 vcc, exec, s[8:9]
	s_cbranch_vccnz .LBB7_1101
; %bb.1097:
	s_sext_i32_i16 s8, s18
	s_cmp_gt_i32 s8, 0
	s_mov_b64 s[8:9], -1
	s_cbranch_scc0 .LBB7_1099
; %bb.1098:
	v_cvt_i32_f64_e32 v2, v[0:1]
	s_mov_b64 s[8:9], 0
	global_store_byte v[5:6], v2, off
.LBB7_1099:
	s_andn2_b64 vcc, exec, s[8:9]
	s_cbranch_vccnz .LBB7_1101
; %bb.1100:
	v_trunc_f64_e32 v[0:1], v[0:1]
	s_movk_i32 s8, 0xffe0
	s_waitcnt vmcnt(0)
	v_ldexp_f64 v[2:3], v[0:1], s8
	s_mov_b32 s8, 0
	s_mov_b32 s9, 0xc1f00000
	v_floor_f64_e32 v[2:3], v[2:3]
	v_fma_f64 v[0:1], v[2:3], s[8:9], v[0:1]
	v_cvt_u32_f64_e32 v0, v[0:1]
	global_store_byte v[5:6], v0, off
.LBB7_1101:
	s_or_b64 exec, exec, s[0:1]
	s_waitcnt lgkmcnt(0)
	s_and_b64 s[28:29], s[2:3], exec
                                        ; implicit-def: $vgpr12
                                        ; implicit-def: $vgpr7
.LBB7_1102:
	s_or_saveexec_b64 s[30:31], s[42:43]
	s_mov_b64 s[0:1], 0
                                        ; implicit-def: $vgpr4_vgpr5
                                        ; implicit-def: $sgpr14
                                        ; implicit-def: $vgpr0_vgpr1
	s_xor_b64 exec, exec, s[30:31]
	s_cbranch_execz .LBB7_2122
; %bb.1103:
	v_cndmask_b32_e64 v0, 0, 1, s[40:41]
	v_cmp_ne_u32_e64 s[0:1], 1, v0
	s_andn2_b64 vcc, exec, s[40:41]
	s_cbranch_vccnz .LBB7_1109
; %bb.1104:
	s_cmp_lg_u32 s33, 0
	s_mov_b32 s36, 0
	s_cbranch_scc0 .LBB7_1110
; %bb.1105:
	s_min_u32 s37, s72, 15
	s_add_i32 s37, s37, 1
	s_cmp_eq_u32 s72, 2
	s_cbranch_scc1 .LBB7_1111
; %bb.1106:
	s_and_b32 s36, s37, 28
	s_add_u32 s2, s34, 0xc4
	s_addc_u32 s3, s35, 0
	v_mov_b32_e32 v0, 0
	s_mov_b32 s38, 0
	s_mov_b64 s[6:7], s[34:35]
	v_mov_b32_e32 v2, 0
	v_mov_b32_e32 v1, v7
.LBB7_1107:                             ; =>This Inner Loop Header: Depth=1
	s_load_dwordx8 s[16:23], s[6:7], 0x4
	s_load_dwordx4 s[24:27], s[6:7], 0x24
	s_load_dwordx8 s[8:15], s[2:3], 0x0
	s_add_u32 s6, s6, 48
	s_addc_u32 s7, s7, 0
	s_waitcnt vmcnt(0) lgkmcnt(0)
	v_mul_hi_u32 v3, s17, v1
	s_add_i32 s38, s38, 4
	s_add_u32 s2, s2, 32
	s_addc_u32 s3, s3, 0
	v_add_u32_e32 v3, v1, v3
	v_lshrrev_b32_e32 v3, s18, v3
	v_mul_lo_u32 v4, v3, s16
	v_mul_hi_u32 v5, s20, v3
	s_cmp_lg_u32 s36, s38
	v_sub_u32_e32 v1, v1, v4
	v_add_u32_e32 v4, v3, v5
	v_mul_lo_u32 v5, v1, s8
	v_mul_lo_u32 v6, v1, s9
	v_lshrrev_b32_e32 v1, s21, v4
	v_mul_lo_u32 v4, v1, s19
	v_mul_hi_u32 v8, s23, v1
	v_sub_u32_e32 v3, v3, v4
	v_add_u32_e32 v4, v1, v8
	v_lshrrev_b32_e32 v4, s24, v4
	v_mul_hi_u32 v9, s26, v4
	v_mul_lo_u32 v10, v4, s22
	v_mul_lo_u32 v8, v3, s10
	;; [unrolled: 1-line block ×3, first 2 shown]
	v_sub_u32_e32 v10, v1, v10
	v_add_u32_e32 v1, v4, v9
	v_lshrrev_b32_e32 v1, s27, v1
	v_mul_lo_u32 v9, v1, s25
	v_mul_lo_u32 v11, v10, s12
	;; [unrolled: 1-line block ×3, first 2 shown]
	v_add3_u32 v2, v5, v2, v8
	v_sub_u32_e32 v4, v4, v9
	v_mul_lo_u32 v9, v4, s14
	v_mul_lo_u32 v4, v4, s15
	v_add3_u32 v0, v6, v0, v3
	v_add3_u32 v2, v11, v2, v9
	;; [unrolled: 1-line block ×3, first 2 shown]
	s_cbranch_scc1 .LBB7_1107
; %bb.1108:
	s_and_b32 s8, s37, 3
	s_cmp_eq_u32 s8, 0
	s_cbranch_scc0 .LBB7_1112
	s_branch .LBB7_1114
.LBB7_1109:
                                        ; implicit-def: $vgpr2
                                        ; implicit-def: $vgpr0
	s_branch .LBB7_1115
.LBB7_1110:
	v_mov_b32_e32 v2, 0
	v_mov_b32_e32 v0, 0
	s_branch .LBB7_1114
.LBB7_1111:
	v_mov_b32_e32 v2, 0
	v_mov_b32_e32 v0, 0
	;; [unrolled: 1-line block ×3, first 2 shown]
	s_and_b32 s8, s37, 3
	s_cmp_eq_u32 s8, 0
	s_cbranch_scc1 .LBB7_1114
.LBB7_1112:
	s_lshl_b32 s2, s36, 3
	s_add_u32 s2, s34, s2
	s_addc_u32 s3, s35, 0
	s_add_u32 s2, s2, 0xc4
	s_addc_u32 s3, s3, 0
	s_mul_i32 s6, s36, 12
	s_add_u32 s6, s34, s6
	s_addc_u32 s7, s35, 0
.LBB7_1113:                             ; =>This Inner Loop Header: Depth=1
	s_load_dwordx2 s[10:11], s[6:7], 0x4
	s_load_dword s9, s[6:7], 0xc
	s_load_dwordx2 s[12:13], s[2:3], 0x0
	s_add_u32 s6, s6, 12
	s_addc_u32 s7, s7, 0
	s_waitcnt vmcnt(0) lgkmcnt(0)
	v_mul_hi_u32 v3, s11, v1
	s_add_u32 s2, s2, 8
	s_addc_u32 s3, s3, 0
	s_add_i32 s8, s8, -1
	v_add_u32_e32 v3, v1, v3
	v_lshrrev_b32_e32 v4, s9, v3
	v_mul_lo_u32 v3, v4, s10
	s_cmp_lg_u32 s8, 0
	v_sub_u32_e32 v1, v1, v3
	v_mad_u64_u32 v[2:3], s[10:11], v1, s12, v[2:3]
	v_mad_u64_u32 v[0:1], s[10:11], v1, s13, v[0:1]
	v_mov_b32_e32 v1, v4
	s_cbranch_scc1 .LBB7_1113
.LBB7_1114:
	s_cbranch_execnz .LBB7_1117
.LBB7_1115:
	s_load_dwordx4 s[8:11], s[34:35], 0x4
	s_load_dwordx2 s[2:3], s[34:35], 0xc4
	s_cmp_lt_u32 s33, 2
	s_waitcnt lgkmcnt(0)
	v_mul_hi_u32 v0, s9, v7
	v_add_u32_e32 v0, v7, v0
	v_lshrrev_b32_e32 v1, s10, v0
	v_mul_lo_u32 v0, v1, s8
	v_sub_u32_e32 v0, v7, v0
	v_mul_lo_u32 v2, v0, s2
	v_mul_lo_u32 v0, v0, s3
	s_cbranch_scc1 .LBB7_1117
; %bb.1116:
	s_load_dwordx4 s[8:11], s[34:35], 0x10
	s_load_dwordx2 s[2:3], s[34:35], 0xcc
	s_waitcnt vmcnt(0) lgkmcnt(0)
	v_mul_hi_u32 v3, s9, v1
	v_add_u32_e32 v3, v1, v3
	v_lshrrev_b32_e32 v3, s10, v3
	v_mul_lo_u32 v3, v3, s8
	v_sub_u32_e32 v1, v1, v3
	v_mad_u64_u32 v[2:3], s[6:7], v1, s2, v[2:3]
	v_mad_u64_u32 v[0:1], s[2:3], v1, s3, v[0:1]
.LBB7_1117:
	s_and_b64 vcc, exec, s[0:1]
	v_add_u32_e32 v1, 0x80, v7
	s_cbranch_vccnz .LBB7_1123
; %bb.1118:
	s_cmp_lg_u32 s33, 0
	s_mov_b32 s36, 0
	s_cbranch_scc0 .LBB7_1124
; %bb.1119:
	s_min_u32 s37, s72, 15
	s_add_i32 s37, s37, 1
	s_cmp_eq_u32 s72, 2
	s_cbranch_scc1 .LBB7_1125
; %bb.1120:
	s_and_b32 s36, s37, 28
	s_add_u32 s2, s34, 0xc4
	s_addc_u32 s3, s35, 0
	v_mov_b32_e32 v10, 0
	s_mov_b32 s38, 0
	s_mov_b64 s[6:7], s[34:35]
	v_mov_b32_e32 v8, 0
	s_waitcnt vmcnt(0)
	v_mov_b32_e32 v3, v1
.LBB7_1121:                             ; =>This Inner Loop Header: Depth=1
	s_load_dwordx8 s[16:23], s[6:7], 0x4
	s_load_dwordx4 s[24:27], s[6:7], 0x24
	s_load_dwordx8 s[8:15], s[2:3], 0x0
	s_add_u32 s6, s6, 48
	s_addc_u32 s7, s7, 0
	s_waitcnt lgkmcnt(0)
	v_mul_hi_u32 v4, s17, v3
	s_add_i32 s38, s38, 4
	s_add_u32 s2, s2, 32
	s_addc_u32 s3, s3, 0
	v_add_u32_e32 v4, v3, v4
	v_lshrrev_b32_e32 v4, s18, v4
	v_mul_lo_u32 v5, v4, s16
	v_mul_hi_u32 v6, s20, v4
	s_cmp_lg_u32 s36, s38
	v_sub_u32_e32 v3, v3, v5
	v_add_u32_e32 v5, v4, v6
	v_mul_lo_u32 v6, v3, s8
	v_mul_lo_u32 v9, v3, s9
	v_lshrrev_b32_e32 v3, s21, v5
	v_mul_lo_u32 v5, v3, s19
	v_mul_hi_u32 v11, s23, v3
	v_sub_u32_e32 v4, v4, v5
	v_add_u32_e32 v5, v3, v11
	v_lshrrev_b32_e32 v5, s24, v5
	v_mul_hi_u32 v13, s26, v5
	v_mul_lo_u32 v14, v5, s22
	v_mul_lo_u32 v11, v4, s10
	v_mul_lo_u32 v4, v4, s11
	v_sub_u32_e32 v14, v3, v14
	v_add_u32_e32 v3, v5, v13
	v_lshrrev_b32_e32 v3, s27, v3
	v_mul_lo_u32 v13, v3, s25
	v_mul_lo_u32 v15, v14, s12
	;; [unrolled: 1-line block ×3, first 2 shown]
	v_add3_u32 v6, v6, v8, v11
	v_sub_u32_e32 v5, v5, v13
	v_mul_lo_u32 v13, v5, s14
	v_mul_lo_u32 v5, v5, s15
	v_add3_u32 v4, v9, v10, v4
	v_add3_u32 v8, v15, v6, v13
	;; [unrolled: 1-line block ×3, first 2 shown]
	s_cbranch_scc1 .LBB7_1121
; %bb.1122:
	s_and_b32 s8, s37, 3
	s_cmp_eq_u32 s8, 0
	s_cbranch_scc0 .LBB7_1126
	s_branch .LBB7_1128
.LBB7_1123:
                                        ; implicit-def: $vgpr8
                                        ; implicit-def: $vgpr10
	s_branch .LBB7_1129
.LBB7_1124:
	v_mov_b32_e32 v8, 0
	v_mov_b32_e32 v10, 0
	s_branch .LBB7_1128
.LBB7_1125:
	v_mov_b32_e32 v8, 0
	v_mov_b32_e32 v10, 0
	s_waitcnt vmcnt(0)
	v_mov_b32_e32 v3, v1
	s_and_b32 s8, s37, 3
	s_cmp_eq_u32 s8, 0
	s_cbranch_scc1 .LBB7_1128
.LBB7_1126:
	s_lshl_b32 s2, s36, 3
	s_add_u32 s2, s34, s2
	s_addc_u32 s3, s35, 0
	s_add_u32 s2, s2, 0xc4
	s_addc_u32 s3, s3, 0
	s_mul_i32 s6, s36, 12
	s_add_u32 s6, s34, s6
	s_addc_u32 s7, s35, 0
.LBB7_1127:                             ; =>This Inner Loop Header: Depth=1
	s_load_dwordx2 s[10:11], s[6:7], 0x4
	s_load_dword s9, s[6:7], 0xc
	s_load_dwordx2 s[12:13], s[2:3], 0x0
	s_add_u32 s6, s6, 12
	s_addc_u32 s7, s7, 0
	s_waitcnt lgkmcnt(0)
	v_mul_hi_u32 v4, s11, v3
	s_add_u32 s2, s2, 8
	s_addc_u32 s3, s3, 0
	s_add_i32 s8, s8, -1
	v_add_u32_e32 v4, v3, v4
	v_lshrrev_b32_e32 v4, s9, v4
	v_mul_lo_u32 v5, v4, s10
	s_cmp_lg_u32 s8, 0
	v_sub_u32_e32 v3, v3, v5
	v_mad_u64_u32 v[8:9], s[10:11], v3, s12, v[8:9]
	v_mad_u64_u32 v[10:11], s[10:11], v3, s13, v[10:11]
	v_mov_b32_e32 v3, v4
	s_cbranch_scc1 .LBB7_1127
.LBB7_1128:
	s_cbranch_execnz .LBB7_1131
.LBB7_1129:
	s_load_dwordx4 s[8:11], s[34:35], 0x4
	s_load_dwordx2 s[2:3], s[34:35], 0xc4
	s_cmp_lt_u32 s33, 2
	s_waitcnt vmcnt(0) lgkmcnt(0)
	v_mul_hi_u32 v3, s9, v1
	v_add_u32_e32 v3, v1, v3
	v_lshrrev_b32_e32 v3, s10, v3
	v_mul_lo_u32 v4, v3, s8
	v_sub_u32_e32 v1, v1, v4
	v_mul_lo_u32 v8, v1, s2
	v_mul_lo_u32 v10, v1, s3
	s_cbranch_scc1 .LBB7_1131
; %bb.1130:
	s_load_dwordx4 s[8:11], s[34:35], 0x10
	s_load_dwordx2 s[2:3], s[34:35], 0xcc
	s_waitcnt lgkmcnt(0)
	v_mul_hi_u32 v1, s9, v3
	v_add_u32_e32 v1, v3, v1
	v_lshrrev_b32_e32 v1, s10, v1
	v_mul_lo_u32 v1, v1, s8
	v_sub_u32_e32 v1, v3, v1
	v_mad_u64_u32 v[8:9], s[6:7], v1, s2, v[8:9]
	v_mad_u64_u32 v[10:11], s[2:3], v1, s3, v[10:11]
.LBB7_1131:
	s_and_b64 vcc, exec, s[0:1]
	v_add_u32_e32 v1, 0x100, v7
	s_cbranch_vccnz .LBB7_1137
; %bb.1132:
	s_cmp_lg_u32 s33, 0
	s_mov_b32 s36, 0
	s_cbranch_scc0 .LBB7_1138
; %bb.1133:
	s_min_u32 s37, s72, 15
	s_add_i32 s37, s37, 1
	s_cmp_eq_u32 s72, 2
	s_cbranch_scc1 .LBB7_1139
; %bb.1134:
	s_and_b32 s36, s37, 28
	s_add_u32 s2, s34, 0xc4
	s_addc_u32 s3, s35, 0
	s_waitcnt vmcnt(0)
	v_mov_b32_e32 v3, 0
	s_mov_b32 s38, 0
	s_mov_b64 s[6:7], s[34:35]
	v_mov_b32_e32 v6, 0
	v_mov_b32_e32 v4, v1
.LBB7_1135:                             ; =>This Inner Loop Header: Depth=1
	s_load_dwordx8 s[16:23], s[6:7], 0x4
	s_load_dwordx4 s[24:27], s[6:7], 0x24
	s_load_dwordx8 s[8:15], s[2:3], 0x0
	s_add_u32 s6, s6, 48
	s_addc_u32 s7, s7, 0
	s_waitcnt lgkmcnt(0)
	v_mul_hi_u32 v5, s17, v4
	s_add_i32 s38, s38, 4
	s_add_u32 s2, s2, 32
	s_addc_u32 s3, s3, 0
	v_add_u32_e32 v5, v4, v5
	v_lshrrev_b32_e32 v5, s18, v5
	v_mul_lo_u32 v7, v5, s16
	v_mul_hi_u32 v9, s20, v5
	s_cmp_lg_u32 s36, s38
	v_sub_u32_e32 v4, v4, v7
	v_add_u32_e32 v7, v5, v9
	v_mul_lo_u32 v9, v4, s8
	v_mul_lo_u32 v11, v4, s9
	v_lshrrev_b32_e32 v4, s21, v7
	v_mul_lo_u32 v7, v4, s19
	v_mul_hi_u32 v13, s23, v4
	v_sub_u32_e32 v5, v5, v7
	v_add_u32_e32 v7, v4, v13
	v_lshrrev_b32_e32 v7, s24, v7
	v_mul_hi_u32 v14, s26, v7
	v_mul_lo_u32 v15, v7, s22
	v_mul_lo_u32 v13, v5, s10
	;; [unrolled: 1-line block ×3, first 2 shown]
	v_sub_u32_e32 v15, v4, v15
	v_add_u32_e32 v4, v7, v14
	v_lshrrev_b32_e32 v4, s27, v4
	v_mul_lo_u32 v14, v4, s25
	v_mul_lo_u32 v16, v15, s12
	;; [unrolled: 1-line block ×3, first 2 shown]
	v_add3_u32 v6, v9, v6, v13
	v_sub_u32_e32 v7, v7, v14
	v_mul_lo_u32 v14, v7, s14
	v_mul_lo_u32 v7, v7, s15
	v_add3_u32 v3, v11, v3, v5
	v_add3_u32 v6, v16, v6, v14
	;; [unrolled: 1-line block ×3, first 2 shown]
	s_cbranch_scc1 .LBB7_1135
; %bb.1136:
	s_and_b32 s8, s37, 3
	s_cmp_eq_u32 s8, 0
	s_cbranch_scc0 .LBB7_1140
	s_branch .LBB7_1142
.LBB7_1137:
                                        ; implicit-def: $vgpr6
                                        ; implicit-def: $vgpr3
	s_branch .LBB7_1143
.LBB7_1138:
	v_mov_b32_e32 v6, 0
	s_waitcnt vmcnt(0)
	v_mov_b32_e32 v3, 0
	s_branch .LBB7_1142
.LBB7_1139:
	v_mov_b32_e32 v6, 0
	s_waitcnt vmcnt(0)
	v_mov_b32_e32 v3, 0
	v_mov_b32_e32 v4, v1
	s_and_b32 s8, s37, 3
	s_cmp_eq_u32 s8, 0
	s_cbranch_scc1 .LBB7_1142
.LBB7_1140:
	s_lshl_b32 s2, s36, 3
	s_add_u32 s2, s34, s2
	s_addc_u32 s3, s35, 0
	s_add_u32 s2, s2, 0xc4
	s_addc_u32 s3, s3, 0
	s_mul_i32 s6, s36, 12
	s_add_u32 s6, s34, s6
	s_addc_u32 s7, s35, 0
.LBB7_1141:                             ; =>This Inner Loop Header: Depth=1
	s_load_dwordx2 s[10:11], s[6:7], 0x4
	s_load_dword s9, s[6:7], 0xc
	s_load_dwordx2 s[12:13], s[2:3], 0x0
	s_add_u32 s6, s6, 12
	s_addc_u32 s7, s7, 0
	s_waitcnt lgkmcnt(0)
	v_mul_hi_u32 v5, s11, v4
	s_add_u32 s2, s2, 8
	s_addc_u32 s3, s3, 0
	s_add_i32 s8, s8, -1
	v_add_u32_e32 v5, v4, v5
	v_lshrrev_b32_e32 v5, s9, v5
	v_mul_lo_u32 v7, v5, s10
	s_cmp_lg_u32 s8, 0
	v_sub_u32_e32 v4, v4, v7
	v_mad_u64_u32 v[6:7], s[10:11], v4, s12, v[6:7]
	v_mad_u64_u32 v[3:4], s[10:11], v4, s13, v[3:4]
	v_mov_b32_e32 v4, v5
	s_cbranch_scc1 .LBB7_1141
.LBB7_1142:
	s_cbranch_execnz .LBB7_1145
.LBB7_1143:
	s_load_dwordx4 s[8:11], s[34:35], 0x4
	s_load_dwordx2 s[2:3], s[34:35], 0xc4
	s_cmp_lt_u32 s33, 2
	s_waitcnt vmcnt(0) lgkmcnt(0)
	v_mul_hi_u32 v3, s9, v1
	v_add_u32_e32 v3, v1, v3
	v_lshrrev_b32_e32 v4, s10, v3
	v_mul_lo_u32 v3, v4, s8
	v_sub_u32_e32 v1, v1, v3
	v_mul_lo_u32 v6, v1, s2
	v_mul_lo_u32 v3, v1, s3
	s_cbranch_scc1 .LBB7_1145
; %bb.1144:
	s_load_dwordx4 s[8:11], s[34:35], 0x10
	s_load_dwordx2 s[2:3], s[34:35], 0xcc
	s_waitcnt lgkmcnt(0)
	v_mul_hi_u32 v1, s9, v4
	v_add_u32_e32 v1, v4, v1
	v_lshrrev_b32_e32 v1, s10, v1
	v_mul_lo_u32 v1, v1, s8
	v_sub_u32_e32 v1, v4, v1
	v_mad_u64_u32 v[6:7], s[6:7], v1, s2, v[6:7]
	v_mad_u64_u32 v[3:4], s[2:3], v1, s3, v[3:4]
.LBB7_1145:
	s_and_b64 vcc, exec, s[0:1]
	s_cbranch_vccnz .LBB7_1151
; %bb.1146:
	s_cmp_lg_u32 s33, 0
	s_mov_b32 s26, 0
	s_cbranch_scc0 .LBB7_1152
; %bb.1147:
	s_min_u32 s27, s72, 15
	s_add_i32 s27, s27, 1
	s_cmp_eq_u32 s72, 2
	s_cbranch_scc1 .LBB7_1153
; %bb.1148:
	s_and_b32 s26, s27, 28
	s_add_u32 s6, s34, 0xc4
	s_addc_u32 s7, s35, 0
	v_mov_b32_e32 v13, 0
	s_mov_b32 s36, 0
	s_mov_b64 s[24:25], s[34:35]
	s_waitcnt vmcnt(0)
	v_mov_b32_e32 v4, 0
	v_mov_b32_e32 v1, v12
.LBB7_1149:                             ; =>This Inner Loop Header: Depth=1
	s_load_dwordx8 s[16:23], s[24:25], 0x4
	s_load_dwordx4 s[0:3], s[24:25], 0x24
	s_load_dwordx8 s[8:15], s[6:7], 0x0
	s_add_u32 s24, s24, 48
	s_addc_u32 s25, s25, 0
	s_waitcnt lgkmcnt(0)
	v_mul_hi_u32 v5, s17, v1
	s_add_i32 s36, s36, 4
	s_add_u32 s6, s6, 32
	s_addc_u32 s7, s7, 0
	v_add_u32_e32 v5, v1, v5
	v_lshrrev_b32_e32 v5, s18, v5
	v_mul_lo_u32 v7, v5, s16
	v_mul_hi_u32 v9, s20, v5
	s_cmp_lg_u32 s26, s36
	v_sub_u32_e32 v1, v1, v7
	v_add_u32_e32 v7, v5, v9
	v_mul_lo_u32 v9, v1, s8
	v_mul_lo_u32 v11, v1, s9
	v_lshrrev_b32_e32 v1, s21, v7
	v_mul_lo_u32 v7, v1, s19
	v_mul_hi_u32 v14, s23, v1
	v_sub_u32_e32 v5, v5, v7
	v_add_u32_e32 v7, v1, v14
	v_lshrrev_b32_e32 v7, s0, v7
	v_mul_hi_u32 v15, s2, v7
	v_mul_lo_u32 v16, v7, s22
	v_mul_lo_u32 v14, v5, s10
	;; [unrolled: 1-line block ×3, first 2 shown]
	v_sub_u32_e32 v16, v1, v16
	v_add_u32_e32 v1, v7, v15
	v_lshrrev_b32_e32 v1, s3, v1
	v_mul_lo_u32 v15, v1, s1
	v_mul_lo_u32 v17, v16, s12
	;; [unrolled: 1-line block ×3, first 2 shown]
	v_add3_u32 v4, v9, v4, v14
	v_sub_u32_e32 v7, v7, v15
	v_mul_lo_u32 v15, v7, s14
	v_mul_lo_u32 v7, v7, s15
	v_add3_u32 v5, v11, v13, v5
	v_add3_u32 v4, v17, v4, v15
	;; [unrolled: 1-line block ×3, first 2 shown]
	s_cbranch_scc1 .LBB7_1149
; %bb.1150:
	s_and_b32 s6, s27, 3
	s_cmp_eq_u32 s6, 0
	s_cbranch_scc0 .LBB7_1154
	s_branch .LBB7_1156
.LBB7_1151:
                                        ; implicit-def: $vgpr4
                                        ; implicit-def: $vgpr13
	s_branch .LBB7_1157
.LBB7_1152:
	s_waitcnt vmcnt(0)
	v_mov_b32_e32 v4, 0
	v_mov_b32_e32 v13, 0
	s_branch .LBB7_1156
.LBB7_1153:
	s_waitcnt vmcnt(0)
	v_mov_b32_e32 v4, 0
	v_mov_b32_e32 v13, 0
	;; [unrolled: 1-line block ×3, first 2 shown]
	s_and_b32 s6, s27, 3
	s_cmp_eq_u32 s6, 0
	s_cbranch_scc1 .LBB7_1156
.LBB7_1154:
	s_lshl_b32 s0, s26, 3
	s_add_u32 s0, s34, s0
	s_addc_u32 s1, s35, 0
	s_add_u32 s0, s0, 0xc4
	s_addc_u32 s1, s1, 0
	s_mul_i32 s2, s26, 12
	s_add_u32 s2, s34, s2
	s_addc_u32 s3, s35, 0
.LBB7_1155:                             ; =>This Inner Loop Header: Depth=1
	s_load_dwordx2 s[8:9], s[2:3], 0x4
	s_load_dword s7, s[2:3], 0xc
	s_load_dwordx2 s[10:11], s[0:1], 0x0
	s_add_u32 s2, s2, 12
	s_addc_u32 s3, s3, 0
	s_waitcnt lgkmcnt(0)
	v_mul_hi_u32 v5, s9, v1
	s_add_u32 s0, s0, 8
	s_addc_u32 s1, s1, 0
	s_add_i32 s6, s6, -1
	v_add_u32_e32 v5, v1, v5
	v_lshrrev_b32_e32 v7, s7, v5
	v_mul_lo_u32 v5, v7, s8
	s_cmp_lg_u32 s6, 0
	v_sub_u32_e32 v1, v1, v5
	v_mad_u64_u32 v[4:5], s[8:9], v1, s10, v[4:5]
	v_mad_u64_u32 v[13:14], s[8:9], v1, s11, v[13:14]
	v_mov_b32_e32 v1, v7
	s_cbranch_scc1 .LBB7_1155
.LBB7_1156:
	s_cbranch_execnz .LBB7_1159
.LBB7_1157:
	s_load_dwordx4 s[0:3], s[34:35], 0x4
	s_load_dwordx2 s[6:7], s[34:35], 0xc4
	s_cmp_lt_u32 s33, 2
	s_waitcnt lgkmcnt(0)
	v_mul_hi_u32 v1, s1, v12
	v_add_u32_e32 v1, v12, v1
	v_lshrrev_b32_e32 v1, s2, v1
	s_waitcnt vmcnt(0)
	v_mul_lo_u32 v4, v1, s0
	v_sub_u32_e32 v5, v12, v4
	v_mul_lo_u32 v4, v5, s6
	v_mul_lo_u32 v13, v5, s7
	s_cbranch_scc1 .LBB7_1159
; %bb.1158:
	s_load_dwordx4 s[0:3], s[34:35], 0x10
	s_load_dwordx2 s[6:7], s[34:35], 0xcc
	s_waitcnt lgkmcnt(0)
	v_mul_hi_u32 v5, s1, v1
	v_add_u32_e32 v5, v1, v5
	v_lshrrev_b32_e32 v5, s2, v5
	v_mul_lo_u32 v5, v5, s0
	v_sub_u32_e32 v1, v1, v5
	v_mad_u64_u32 v[4:5], s[0:1], v1, s6, v[4:5]
	v_mad_u64_u32 v[13:14], s[0:1], v1, s7, v[13:14]
.LBB7_1159:
	s_load_dwordx4 s[8:11], s[34:35], 0x148
	s_load_dword s16, s[4:5], 0x160
	s_waitcnt lgkmcnt(0)
	v_mov_b32_e32 v1, s11
	s_bfe_u32 s14, s16, 0x80010
	v_add_co_u32_e32 v11, vcc, s10, v0
	s_cmp_lt_i32 s14, 11
	v_addc_co_u32_e32 v12, vcc, 0, v1, vcc
	s_cbranch_scc1 .LBB7_1166
; %bb.1160:
	s_and_b32 s15, 0xffff, s14
	s_cmp_gt_i32 s15, 25
	s_mov_b64 s[4:5], 0
	s_cbranch_scc0 .LBB7_1168
; %bb.1161:
	s_cmp_gt_i32 s15, 28
	s_cbranch_scc0 .LBB7_1169
; %bb.1162:
	s_cmp_gt_i32 s15, 43
	;; [unrolled: 3-line block ×3, first 2 shown]
	s_cbranch_scc0 .LBB7_1171
; %bb.1164:
	s_cmp_eq_u32 s15, 46
	s_mov_b64 s[2:3], 0
	s_cbranch_scc0 .LBB7_1174
; %bb.1165:
	global_load_dword v0, v[11:12], off
	s_mov_b64 s[0:1], 0
	s_mov_b64 s[6:7], -1
	s_waitcnt vmcnt(0)
	v_lshlrev_b32_e32 v0, 16, v0
	v_cvt_f64_f32_e32 v[0:1], v0
	s_branch .LBB7_1175
.LBB7_1166:
	s_mov_b64 s[6:7], 0
                                        ; implicit-def: $vgpr0_vgpr1
	s_mov_b64 s[2:3], s[28:29]
	s_cbranch_execnz .LBB7_1238
.LBB7_1167:
	s_andn2_b64 vcc, exec, s[6:7]
	s_cbranch_vccz .LBB7_1283
	s_branch .LBB7_2120
.LBB7_1168:
	s_mov_b64 s[6:7], 0
	s_mov_b64 s[0:1], 0
                                        ; implicit-def: $vgpr0_vgpr1
	s_cbranch_execnz .LBB7_1205
	s_branch .LBB7_1234
.LBB7_1169:
	s_mov_b64 s[2:3], -1
	s_mov_b64 s[6:7], 0
	s_mov_b64 s[0:1], 0
                                        ; implicit-def: $vgpr0_vgpr1
	s_branch .LBB7_1184
.LBB7_1170:
	s_mov_b64 s[6:7], 0
	s_mov_b64 s[0:1], 0
                                        ; implicit-def: $vgpr0_vgpr1
	s_cbranch_execnz .LBB7_1180
	s_branch .LBB7_1183
.LBB7_1171:
	s_mov_b64 s[2:3], -1
	s_mov_b64 s[6:7], 0
	s_mov_b64 s[0:1], 0
                                        ; implicit-def: $vgpr0_vgpr1
	s_branch .LBB7_1175
.LBB7_1172:
	s_andn2_saveexec_b64 s[14:15], s[14:15]
	s_cbranch_execz .LBB7_1015
.LBB7_1173:
	s_mov_b32 s16, 0x46000000
	v_add_f32_e64 v3, |v2|, s16
	v_and_b32_e32 v3, 0xff, v3
	v_cmp_ne_u32_e32 vcc, 0, v3
	s_andn2_b64 s[12:13], s[12:13], exec
	s_and_b64 s[16:17], vcc, exec
	s_or_b64 s[12:13], s[12:13], s[16:17]
	s_or_b64 exec, exec, s[14:15]
	v_mov_b32_e32 v4, 0
	s_and_saveexec_b64 s[14:15], s[12:13]
	s_cbranch_execnz .LBB7_1016
	s_branch .LBB7_1017
.LBB7_1174:
	s_mov_b64 s[0:1], -1
                                        ; implicit-def: $vgpr0_vgpr1
	s_mov_b64 s[6:7], 0
.LBB7_1175:
	s_and_b64 vcc, exec, s[2:3]
	s_cbranch_vccz .LBB7_1178
; %bb.1176:
	s_cmp_eq_u32 s15, 44
	s_cbranch_scc0 .LBB7_1179
; %bb.1177:
	global_load_ubyte v5, v[11:12], off
	s_movk_i32 s2, 0xff
	v_bfrev_b32_e32 v7, 4
	v_mov_b32_e32 v9, 0x7ff80000
	v_bfrev_b32_e32 v14, 28
	s_mov_b64 s[0:1], 0
	s_mov_b64 s[6:7], -1
	s_waitcnt vmcnt(0)
	v_lshlrev_b32_e32 v0, 23, v5
	v_cvt_f64_f32_e32 v[0:1], v0
	v_cmp_ne_u32_e32 vcc, s2, v5
	v_cndmask_b32_e32 v0, v7, v0, vcc
	v_cndmask_b32_e32 v1, v9, v1, vcc
	v_cmp_ne_u32_e32 vcc, 0, v5
	v_cndmask_b32_e32 v1, v14, v1, vcc
	v_cndmask_b32_e32 v0, 0, v0, vcc
.LBB7_1178:
	s_branch .LBB7_1183
.LBB7_1179:
	s_mov_b64 s[0:1], -1
                                        ; implicit-def: $vgpr0_vgpr1
	s_branch .LBB7_1183
.LBB7_1180:
	s_cmp_eq_u32 s15, 29
	s_cbranch_scc0 .LBB7_1182
; %bb.1181:
	global_load_dwordx2 v[0:1], v[11:12], off
	s_mov_b64 s[0:1], 0
	s_mov_b64 s[6:7], -1
	s_mov_b64 s[2:3], 0
	s_waitcnt vmcnt(0)
	v_cvt_f64_u32_e32 v[14:15], v1
	v_cvt_f64_u32_e32 v[0:1], v0
	v_ldexp_f64 v[14:15], v[14:15], 32
	v_add_f64 v[0:1], v[14:15], v[0:1]
	s_branch .LBB7_1184
.LBB7_1182:
	s_mov_b64 s[0:1], -1
                                        ; implicit-def: $vgpr0_vgpr1
.LBB7_1183:
	s_mov_b64 s[2:3], 0
.LBB7_1184:
	s_and_b64 vcc, exec, s[2:3]
	s_cbranch_vccz .LBB7_1204
; %bb.1185:
	s_cmp_lt_i32 s15, 27
	s_cbranch_scc1 .LBB7_1188
; %bb.1186:
	s_cmp_gt_i32 s15, 27
	s_cbranch_scc0 .LBB7_1189
; %bb.1187:
	global_load_dword v0, v[11:12], off
	s_mov_b64 s[2:3], 0
	s_waitcnt vmcnt(0)
	v_cvt_f64_u32_e32 v[0:1], v0
	s_branch .LBB7_1190
.LBB7_1188:
	s_mov_b64 s[2:3], -1
                                        ; implicit-def: $vgpr0_vgpr1
	s_branch .LBB7_1193
.LBB7_1189:
	s_mov_b64 s[2:3], -1
                                        ; implicit-def: $vgpr0_vgpr1
.LBB7_1190:
	s_andn2_b64 vcc, exec, s[2:3]
	s_cbranch_vccnz .LBB7_1192
; %bb.1191:
	global_load_ushort v0, v[11:12], off
	s_waitcnt vmcnt(0)
	v_cvt_f64_u32_e32 v[0:1], v0
.LBB7_1192:
	s_mov_b64 s[2:3], 0
.LBB7_1193:
	s_andn2_b64 vcc, exec, s[2:3]
	s_cbranch_vccnz .LBB7_1203
; %bb.1194:
	global_load_ubyte v5, v[11:12], off
	s_movk_i32 s2, 0x7f
	s_waitcnt vmcnt(0)
	v_cmp_lt_i16_e32 vcc, s2, v5
	s_mov_b64 s[2:3], 0
	s_and_saveexec_b64 s[6:7], vcc
	s_xor_b64 s[6:7], exec, s[6:7]
	s_cbranch_execz .LBB7_1198
; %bb.1195:
	s_movk_i32 s2, 0x80
	v_cmp_eq_u16_e32 vcc, s2, v5
	s_mov_b64 s[2:3], -1
	s_and_saveexec_b64 s[12:13], vcc
; %bb.1196:
	s_xor_b64 s[2:3], exec, -1
; %bb.1197:
	s_or_b64 exec, exec, s[12:13]
	s_and_b64 s[2:3], s[2:3], exec
.LBB7_1198:
	s_or_saveexec_b64 s[6:7], s[6:7]
	v_bfrev_b32_e32 v0, 4
	v_mov_b32_e32 v1, 0x7ff80000
	s_xor_b64 exec, exec, s[6:7]
; %bb.1199:
	v_cmp_ne_u16_e32 vcc, 0, v5
	v_mov_b32_e32 v0, 0
	s_andn2_b64 s[2:3], s[2:3], exec
	s_and_b64 s[12:13], vcc, exec
	v_mov_b32_e32 v1, 0
	s_or_b64 s[2:3], s[2:3], s[12:13]
; %bb.1200:
	s_or_b64 exec, exec, s[6:7]
	s_and_saveexec_b64 s[6:7], s[2:3]
	s_cbranch_execz .LBB7_1202
; %bb.1201:
	v_and_b32_e32 v1, 0xffff, v5
	v_lshlrev_b32_e32 v0, 24, v5
	v_and_b32_e32 v5, 7, v1
	v_ffbh_u32_e32 v9, v5
	v_min_u32_e32 v9, 32, v9
	v_subrev_u32_e32 v14, 28, v9
	v_bfe_u32 v7, v1, 3, 4
	v_lshlrev_b32_e32 v1, v14, v1
	v_sub_u32_e32 v9, 29, v9
	v_and_b32_e32 v1, 7, v1
	v_cmp_eq_u32_e32 vcc, 0, v7
	v_cndmask_b32_e32 v7, v7, v9, vcc
	v_cndmask_b32_e32 v1, v5, v1, vcc
	v_mov_b32_e32 v5, 0x3b800000
	v_lshlrev_b32_e32 v1, 20, v1
	v_and_b32_e32 v0, 0x80000000, v0
	v_lshl_add_u32 v5, v7, 23, v5
	v_or3_b32 v0, v0, v5, v1
	v_cvt_f64_f32_e32 v[0:1], v0
.LBB7_1202:
	s_or_b64 exec, exec, s[6:7]
.LBB7_1203:
	s_mov_b64 s[6:7], -1
.LBB7_1204:
	s_branch .LBB7_1234
.LBB7_1205:
	s_cmp_gt_i32 s15, 22
	s_cbranch_scc0 .LBB7_1217
; %bb.1206:
	s_cmp_lt_i32 s15, 24
	s_cbranch_scc1 .LBB7_1218
; %bb.1207:
	s_cmp_gt_i32 s15, 24
	s_cbranch_scc0 .LBB7_1219
; %bb.1208:
	global_load_ubyte v5, v[11:12], off
	s_movk_i32 s2, 0x7f
	s_waitcnt vmcnt(0)
	v_cmp_lt_i16_e32 vcc, s2, v5
	s_mov_b64 s[2:3], 0
	s_and_saveexec_b64 s[4:5], vcc
	s_xor_b64 s[4:5], exec, s[4:5]
	s_cbranch_execz .LBB7_1212
; %bb.1209:
	s_movk_i32 s2, 0x80
	v_cmp_eq_u16_e32 vcc, s2, v5
	s_mov_b64 s[2:3], -1
	s_and_saveexec_b64 s[6:7], vcc
; %bb.1210:
	s_xor_b64 s[2:3], exec, -1
; %bb.1211:
	s_or_b64 exec, exec, s[6:7]
	s_and_b64 s[2:3], s[2:3], exec
.LBB7_1212:
	s_or_saveexec_b64 s[4:5], s[4:5]
	v_bfrev_b32_e32 v0, 4
	v_mov_b32_e32 v1, 0x7ff80000
	s_xor_b64 exec, exec, s[4:5]
; %bb.1213:
	v_cmp_ne_u16_e32 vcc, 0, v5
	v_mov_b32_e32 v0, 0
	s_andn2_b64 s[2:3], s[2:3], exec
	s_and_b64 s[6:7], vcc, exec
	v_mov_b32_e32 v1, 0
	s_or_b64 s[2:3], s[2:3], s[6:7]
; %bb.1214:
	s_or_b64 exec, exec, s[4:5]
	s_and_saveexec_b64 s[4:5], s[2:3]
	s_cbranch_execz .LBB7_1216
; %bb.1215:
	v_and_b32_e32 v1, 0xffff, v5
	v_lshlrev_b32_e32 v0, 24, v5
	v_and_b32_e32 v5, 3, v1
	v_ffbh_u32_e32 v9, v5
	v_min_u32_e32 v9, 32, v9
	v_subrev_u32_e32 v14, 29, v9
	v_bfe_u32 v7, v1, 2, 5
	v_lshlrev_b32_e32 v1, v14, v1
	v_sub_u32_e32 v9, 30, v9
	v_and_b32_e32 v1, 3, v1
	v_cmp_eq_u32_e32 vcc, 0, v7
	v_cndmask_b32_e32 v7, v7, v9, vcc
	v_cndmask_b32_e32 v1, v5, v1, vcc
	v_mov_b32_e32 v5, 0x37800000
	v_lshlrev_b32_e32 v1, 21, v1
	v_and_b32_e32 v0, 0x80000000, v0
	v_lshl_add_u32 v5, v7, 23, v5
	v_or3_b32 v0, v0, v5, v1
	v_cvt_f64_f32_e32 v[0:1], v0
.LBB7_1216:
	s_or_b64 exec, exec, s[4:5]
	s_mov_b64 s[2:3], 0
	s_branch .LBB7_1220
.LBB7_1217:
                                        ; implicit-def: $vgpr0_vgpr1
	s_mov_b64 s[4:5], 0
	s_branch .LBB7_1226
.LBB7_1218:
	s_mov_b64 s[2:3], -1
                                        ; implicit-def: $vgpr0_vgpr1
	s_branch .LBB7_1223
.LBB7_1219:
	s_mov_b64 s[2:3], -1
                                        ; implicit-def: $vgpr0_vgpr1
.LBB7_1220:
	s_and_b64 vcc, exec, s[2:3]
	s_cbranch_vccz .LBB7_1222
; %bb.1221:
	global_load_ubyte v0, v[11:12], off
	s_mov_b32 s2, 0x7f800000
	s_waitcnt vmcnt(0)
	v_lshlrev_b32_e32 v0, 24, v0
	v_and_b32_e32 v1, 0x7f000000, v0
	v_ffbh_u32_e32 v5, v1
	v_min_u32_e32 v5, 32, v5
	v_sub_u32_e64 v5, v5, 4 clamp
	v_lshlrev_b32_e32 v9, v5, v1
	v_lshlrev_b32_e32 v5, 23, v5
	v_lshrrev_b32_e32 v9, 4, v9
	v_add_u32_e32 v7, 0x1000000, v1
	v_sub_u32_e32 v5, v9, v5
	v_ashrrev_i32_e32 v7, 8, v7
	v_add_u32_e32 v5, 0x3c000000, v5
	v_and_or_b32 v5, v7, s2, v5
	v_cmp_ne_u32_e32 vcc, 0, v1
	v_cndmask_b32_e32 v1, 0, v5, vcc
	s_brev_b32 s2, 1
	v_and_or_b32 v0, v0, s2, v1
	v_cvt_f64_f32_e32 v[0:1], v0
.LBB7_1222:
	s_mov_b64 s[2:3], 0
.LBB7_1223:
	s_andn2_b64 vcc, exec, s[2:3]
	s_cbranch_vccnz .LBB7_1225
; %bb.1224:
	global_load_ubyte v0, v[11:12], off
	s_movk_i32 s2, 0x7f00
	s_brev_b32 s3, 16
	s_waitcnt vmcnt(0)
	v_lshlrev_b16_e32 v1, 8, v0
	v_lshlrev_b32_e32 v0, 25, v0
	v_lshrrev_b32_e32 v5, 4, v0
	v_and_or_b32 v7, v1, s2, 0.5
	v_or_b32_e32 v5, 0x70000000, v5
	v_add_f32_e32 v7, -0.5, v7
	v_mul_f32_e32 v5, 0x7800000, v5
	v_cmp_gt_u32_e32 vcc, s3, v0
	v_bfe_i32 v1, v1, 0, 16
	v_cndmask_b32_e32 v0, v5, v7, vcc
	s_brev_b32 s2, 1
	v_and_or_b32 v0, v1, s2, v0
	v_cvt_f64_f32_e32 v[0:1], v0
.LBB7_1225:
	s_mov_b64 s[6:7], -1
	s_mov_b64 s[4:5], 0
	s_cbranch_execnz .LBB7_1234
.LBB7_1226:
	s_cmp_gt_i32 s15, 14
	s_cbranch_scc0 .LBB7_1229
; %bb.1227:
	s_cmp_eq_u32 s15, 15
	s_cbranch_scc0 .LBB7_1230
; %bb.1228:
	global_load_ushort v0, v[11:12], off
	s_mov_b64 s[0:1], 0
	s_mov_b64 s[6:7], -1
	s_waitcnt vmcnt(0)
	v_lshlrev_b32_e32 v0, 16, v0
	v_cvt_f64_f32_e32 v[0:1], v0
	s_branch .LBB7_1231
.LBB7_1229:
	s_mov_b64 s[2:3], -1
                                        ; implicit-def: $vgpr0_vgpr1
	s_branch .LBB7_1232
.LBB7_1230:
	s_mov_b64 s[0:1], -1
                                        ; implicit-def: $vgpr0_vgpr1
.LBB7_1231:
	s_mov_b64 s[2:3], 0
.LBB7_1232:
	s_and_b64 vcc, exec, s[2:3]
	s_cbranch_vccz .LBB7_1234
; %bb.1233:
	s_cmp_lg_u32 s15, 11
	s_mov_b64 s[4:5], -1
	s_cselect_b64 s[0:1], -1, 0
.LBB7_1234:
	s_and_b64 vcc, exec, s[0:1]
	s_mov_b64 s[2:3], s[28:29]
	s_cbranch_vccnz .LBB7_1299
; %bb.1235:
	s_andn2_b64 vcc, exec, s[4:5]
	s_cbranch_vccnz .LBB7_1237
.LBB7_1236:
	global_load_ubyte v1, v[11:12], off
	v_mov_b32_e32 v5, 0x3ff00000
	v_mov_b32_e32 v0, 0
	s_mov_b64 s[6:7], -1
	s_waitcnt vmcnt(0)
	v_cmp_ne_u16_e32 vcc, 0, v1
	v_cndmask_b32_e32 v1, 0, v5, vcc
.LBB7_1237:
	s_branch .LBB7_1167
.LBB7_1238:
	s_and_b32 s4, 0xffff, s14
	s_cmp_lt_i32 s4, 5
	s_cbranch_scc1 .LBB7_1243
; %bb.1239:
	s_cmp_lt_i32 s4, 8
	s_cbranch_scc1 .LBB7_1244
; %bb.1240:
	;; [unrolled: 3-line block ×3, first 2 shown]
	s_cmp_gt_i32 s4, 9
	s_cbranch_scc0 .LBB7_1246
; %bb.1242:
	global_load_dwordx2 v[0:1], v[11:12], off
	s_mov_b64 s[0:1], 0
	s_branch .LBB7_1247
.LBB7_1243:
                                        ; implicit-def: $vgpr0_vgpr1
	s_branch .LBB7_1264
.LBB7_1244:
                                        ; implicit-def: $vgpr0_vgpr1
	s_branch .LBB7_1253
.LBB7_1245:
	s_mov_b64 s[0:1], -1
                                        ; implicit-def: $vgpr0_vgpr1
	s_branch .LBB7_1250
.LBB7_1246:
	s_mov_b64 s[0:1], -1
                                        ; implicit-def: $vgpr0_vgpr1
.LBB7_1247:
	s_andn2_b64 vcc, exec, s[0:1]
	s_cbranch_vccnz .LBB7_1249
; %bb.1248:
	global_load_dword v0, v[11:12], off
	s_waitcnt vmcnt(0)
	v_cvt_f64_f32_e32 v[0:1], v0
.LBB7_1249:
	s_mov_b64 s[0:1], 0
.LBB7_1250:
	s_andn2_b64 vcc, exec, s[0:1]
	s_cbranch_vccnz .LBB7_1252
; %bb.1251:
	global_load_dword v0, v[11:12], off
	s_waitcnt vmcnt(0)
	v_cvt_f32_f16_e32 v0, v0
	v_cvt_f64_f32_e32 v[0:1], v0
.LBB7_1252:
	s_cbranch_execnz .LBB7_1263
.LBB7_1253:
	s_cmp_lt_i32 s4, 6
	s_cbranch_scc1 .LBB7_1256
; %bb.1254:
	s_cmp_gt_i32 s4, 6
	s_cbranch_scc0 .LBB7_1257
; %bb.1255:
	global_load_dwordx2 v[0:1], v[11:12], off
	s_mov_b64 s[0:1], 0
	s_branch .LBB7_1258
.LBB7_1256:
	s_mov_b64 s[0:1], -1
                                        ; implicit-def: $vgpr0_vgpr1
	s_branch .LBB7_1261
.LBB7_1257:
	s_mov_b64 s[0:1], -1
                                        ; implicit-def: $vgpr0_vgpr1
.LBB7_1258:
	s_andn2_b64 vcc, exec, s[0:1]
	s_cbranch_vccnz .LBB7_1260
; %bb.1259:
	global_load_dword v0, v[11:12], off
	s_waitcnt vmcnt(0)
	v_cvt_f64_f32_e32 v[0:1], v0
.LBB7_1260:
	s_mov_b64 s[0:1], 0
.LBB7_1261:
	s_andn2_b64 vcc, exec, s[0:1]
	s_cbranch_vccnz .LBB7_1263
; %bb.1262:
	global_load_ushort v0, v[11:12], off
	s_waitcnt vmcnt(0)
	v_cvt_f32_f16_e32 v0, v0
	v_cvt_f64_f32_e32 v[0:1], v0
.LBB7_1263:
	s_cbranch_execnz .LBB7_1282
.LBB7_1264:
	s_cmp_lt_i32 s4, 2
	s_cbranch_scc1 .LBB7_1268
; %bb.1265:
	s_cmp_lt_i32 s4, 3
	s_cbranch_scc1 .LBB7_1269
; %bb.1266:
	s_cmp_gt_i32 s4, 3
	s_cbranch_scc0 .LBB7_1270
; %bb.1267:
	global_load_dwordx2 v[0:1], v[11:12], off
	s_mov_b64 s[0:1], 0
	s_waitcnt vmcnt(0)
	v_cvt_f64_i32_e32 v[14:15], v1
	v_cvt_f64_u32_e32 v[0:1], v0
	v_ldexp_f64 v[14:15], v[14:15], 32
	v_add_f64 v[0:1], v[14:15], v[0:1]
	s_branch .LBB7_1271
.LBB7_1268:
                                        ; implicit-def: $vgpr0_vgpr1
	s_branch .LBB7_1277
.LBB7_1269:
	s_mov_b64 s[0:1], -1
                                        ; implicit-def: $vgpr0_vgpr1
	s_branch .LBB7_1274
.LBB7_1270:
	s_mov_b64 s[0:1], -1
                                        ; implicit-def: $vgpr0_vgpr1
.LBB7_1271:
	s_andn2_b64 vcc, exec, s[0:1]
	s_cbranch_vccnz .LBB7_1273
; %bb.1272:
	global_load_dword v0, v[11:12], off
	s_waitcnt vmcnt(0)
	v_cvt_f64_i32_e32 v[0:1], v0
.LBB7_1273:
	s_mov_b64 s[0:1], 0
.LBB7_1274:
	s_andn2_b64 vcc, exec, s[0:1]
	s_cbranch_vccnz .LBB7_1276
; %bb.1275:
	global_load_sshort v0, v[11:12], off
	s_waitcnt vmcnt(0)
	v_cvt_f64_i32_e32 v[0:1], v0
.LBB7_1276:
	s_cbranch_execnz .LBB7_1282
.LBB7_1277:
	s_cmp_gt_i32 s4, 0
	s_cbranch_scc0 .LBB7_1279
; %bb.1278:
	global_load_sbyte v0, v[11:12], off
	s_mov_b64 s[0:1], 0
	s_waitcnt vmcnt(0)
	v_cvt_f64_i32_e32 v[0:1], v0
	s_branch .LBB7_1280
.LBB7_1279:
	s_mov_b64 s[0:1], -1
                                        ; implicit-def: $vgpr0_vgpr1
.LBB7_1280:
	s_andn2_b64 vcc, exec, s[0:1]
	s_cbranch_vccnz .LBB7_1282
; %bb.1281:
	global_load_ubyte v0, v[11:12], off
	s_waitcnt vmcnt(0)
	v_cvt_f64_u32_e32 v[0:1], v0
.LBB7_1282:
.LBB7_1283:
	s_mov_b32 s0, 0
	s_mov_b32 s1, 0x41d00000
	s_waitcnt vmcnt(0)
	v_cmp_nlt_f64_e64 s[0:1], |v[0:1]|, s[0:1]
                                        ; implicit-def: $vgpr5
                                        ; implicit-def: $vgpr15_vgpr16
                                        ; implicit-def: $vgpr17_vgpr18
	s_and_saveexec_b64 s[4:5], s[0:1]
	s_xor_b64 s[4:5], exec, s[4:5]
	s_cbranch_execz .LBB7_1285
; %bb.1284:
	v_trig_preop_f64 v[11:12], |v[0:1]|, 0
	s_mov_b32 s0, 0
	s_mov_b32 s1, 0x7b000000
	s_movk_i32 s6, 0xff80
	v_ldexp_f64 v[16:17], |v[0:1]|, s6
	v_cmp_ge_f64_e64 vcc, |v[0:1]|, s[0:1]
	v_trig_preop_f64 v[14:15], |v[0:1]|, 1
	v_and_b32_e32 v5, 0x7fffffff, v1
	v_trig_preop_f64 v[24:25], |v[0:1]|, 2
	s_mov_b32 s0, 0
	s_mov_b32 s1, 0x7ff00000
	v_mov_b32_e32 v34, 0
	v_mov_b32_e32 v7, 0x3ff00000
	v_cndmask_b32_e32 v17, v5, v17, vcc
	v_cndmask_b32_e32 v16, v0, v16, vcc
	v_mov_b32_e32 v5, 0x40100000
	v_mul_f64 v[18:19], v[11:12], v[16:17]
	s_mov_b32 s6, 0x33145c07
	s_mov_b32 s7, 0x3c91a626
	v_mul_f64 v[20:21], v[14:15], v[16:17]
	v_mul_f64 v[30:31], v[24:25], v[16:17]
	v_fma_f64 v[11:12], v[11:12], v[16:17], -v[18:19]
	v_fma_f64 v[14:15], v[14:15], v[16:17], -v[20:21]
	v_fma_f64 v[16:17], v[24:25], v[16:17], -v[30:31]
	v_add_f64 v[22:23], v[20:21], v[11:12]
	v_add_f64 v[26:27], v[22:23], -v[20:21]
	v_add_f64 v[32:33], v[18:19], v[22:23]
	v_add_f64 v[28:29], v[22:23], -v[26:27]
	v_add_f64 v[11:12], v[11:12], -v[26:27]
	v_add_f64 v[26:27], v[30:31], v[14:15]
	v_add_f64 v[18:19], v[32:33], -v[18:19]
	v_add_f64 v[20:21], v[20:21], -v[28:29]
	v_ldexp_f64 v[28:29], v[32:33], -2
	v_add_f64 v[36:37], v[26:27], -v[30:31]
	v_add_f64 v[18:19], v[22:23], -v[18:19]
	v_add_f64 v[11:12], v[11:12], v[20:21]
	v_fract_f64_e32 v[20:21], v[28:29]
	v_cmp_neq_f64_e64 vcc, |v[28:29]|, s[0:1]
	v_add_f64 v[14:15], v[14:15], -v[36:37]
	v_add_f64 v[22:23], v[26:27], v[11:12]
	v_ldexp_f64 v[20:21], v[20:21], 2
	v_add_f64 v[28:29], v[18:19], v[22:23]
	v_cndmask_b32_e32 v21, 0, v21, vcc
	v_cndmask_b32_e32 v20, 0, v20, vcc
	v_add_f64 v[38:39], v[22:23], -v[26:27]
	v_add_f64 v[32:33], v[28:29], v[20:21]
	v_add_f64 v[18:19], v[28:29], -v[18:19]
	v_add_f64 v[40:41], v[22:23], -v[38:39]
	;; [unrolled: 1-line block ×3, first 2 shown]
	v_cmp_gt_f64_e32 vcc, 0, v[32:33]
	v_add_f64 v[32:33], v[26:27], -v[36:37]
	v_add_f64 v[18:19], v[22:23], -v[18:19]
	;; [unrolled: 1-line block ×3, first 2 shown]
	v_cndmask_b32_e32 v35, 0, v5, vcc
	v_add_f64 v[20:21], v[20:21], v[34:35]
	v_add_f64 v[32:33], v[30:31], -v[32:33]
	v_add_f64 v[11:12], v[11:12], v[26:27]
	v_add_f64 v[42:43], v[28:29], v[20:21]
	;; [unrolled: 1-line block ×3, first 2 shown]
	v_cvt_i32_f64_e32 v5, v[42:43]
	v_add_f64 v[11:12], v[14:15], v[11:12]
	v_cvt_f64_i32_e32 v[35:36], v5
	v_add_f64 v[20:21], v[20:21], -v[35:36]
	v_add_f64 v[11:12], v[16:17], v[11:12]
	v_add_f64 v[14:15], v[28:29], v[20:21]
	;; [unrolled: 1-line block ×3, first 2 shown]
	v_add_f64 v[16:17], v[14:15], -v[20:21]
	v_cmp_le_f64_e32 vcc, 0.5, v[14:15]
	v_add_f64 v[16:17], v[28:29], -v[16:17]
	v_cndmask_b32_e32 v35, 0, v7, vcc
	v_add_f64 v[14:15], v[14:15], -v[34:35]
	v_addc_co_u32_e64 v5, s[0:1], 0, v5, vcc
	s_mov_b32 s0, 0x54442d18
	s_mov_b32 s1, 0x3ff921fb
	v_add_f64 v[11:12], v[11:12], v[16:17]
	v_add_f64 v[16:17], v[14:15], v[11:12]
	v_mul_f64 v[18:19], v[16:17], s[0:1]
	v_add_f64 v[14:15], v[16:17], -v[14:15]
	v_fma_f64 v[20:21], v[16:17], s[0:1], -v[18:19]
	v_add_f64 v[11:12], v[11:12], -v[14:15]
	v_fma_f64 v[14:15], v[16:17], s[6:7], v[20:21]
	v_fma_f64 v[11:12], v[11:12], s[0:1], v[14:15]
	v_add_f64 v[15:16], v[18:19], v[11:12]
	v_add_f64 v[17:18], v[15:16], -v[18:19]
	v_add_f64 v[17:18], v[11:12], -v[17:18]
.LBB7_1285:
	s_andn2_saveexec_b64 s[0:1], s[4:5]
	s_cbranch_execz .LBB7_1287
; %bb.1286:
	s_mov_b32 s4, 0x6dc9c883
	s_mov_b32 s5, 0x3fe45f30
	v_mul_f64 v[11:12], |v[0:1]|, s[4:5]
	s_mov_b32 s4, 0x54442d18
	s_mov_b32 s5, 0xbff921fb
	;; [unrolled: 1-line block ×4, first 2 shown]
	v_rndne_f64_e32 v[11:12], v[11:12]
	v_fma_f64 v[14:15], v[11:12], s[4:5], |v[0:1]|
	v_mul_f64 v[16:17], v[11:12], s[6:7]
	s_mov_b32 s4, 0x252049c0
	s_mov_b32 s5, 0xb97b839a
	v_cvt_i32_f64_e32 v5, v[11:12]
	v_fma_f64 v[22:23], v[11:12], s[6:7], v[14:15]
	v_add_f64 v[18:19], v[14:15], v[16:17]
	s_mov_b32 s7, 0x3c91a626
	v_add_f64 v[20:21], v[14:15], -v[18:19]
	v_add_f64 v[18:19], v[18:19], -v[22:23]
	v_add_f64 v[14:15], v[20:21], v[16:17]
	v_fma_f64 v[16:17], v[11:12], s[6:7], v[16:17]
	v_add_f64 v[14:15], v[18:19], v[14:15]
	v_add_f64 v[14:15], v[14:15], -v[16:17]
	v_fma_f64 v[17:18], v[11:12], s[4:5], v[14:15]
	v_add_f64 v[15:16], v[22:23], v[17:18]
	v_add_f64 v[19:20], v[15:16], -v[22:23]
	v_add_f64 v[17:18], v[17:18], -v[19:20]
.LBB7_1287:
	s_or_b64 exec, exec, s[0:1]
	s_lshr_b32 s0, s16, 16
	v_mov_b32_e32 v7, s11
	s_and_b32 s17, s0, 0xff
	v_add_co_u32_e32 v11, vcc, s10, v10
	s_cmp_lt_i32 s17, 11
	v_addc_co_u32_e32 v12, vcc, 0, v7, vcc
	s_cbranch_scc1 .LBB7_1294
; %bb.1288:
	s_and_b32 s18, 0xffff, s17
	s_cmp_gt_i32 s18, 25
	s_mov_b64 s[4:5], 0
	s_cbranch_scc0 .LBB7_1296
; %bb.1289:
	s_cmp_gt_i32 s18, 28
	s_cbranch_scc0 .LBB7_1297
; %bb.1290:
	s_cmp_gt_i32 s18, 43
	;; [unrolled: 3-line block ×3, first 2 shown]
	s_cbranch_scc0 .LBB7_1300
; %bb.1292:
	s_cmp_eq_u32 s18, 46
	s_mov_b64 s[12:13], 0
	s_cbranch_scc0 .LBB7_1303
; %bb.1293:
	global_load_dword v7, v[11:12], off
	s_mov_b64 s[0:1], 0
	s_mov_b64 s[6:7], -1
	s_waitcnt vmcnt(0)
	v_lshlrev_b32_e32 v7, 16, v7
	v_cvt_f64_f32_e32 v[9:10], v7
	s_branch .LBB7_1304
.LBB7_1294:
	s_mov_b64 s[6:7], 0
                                        ; implicit-def: $vgpr9_vgpr10
	s_cbranch_execnz .LBB7_1369
.LBB7_1295:
	s_andn2_b64 vcc, exec, s[6:7]
	s_cbranch_vccnz .LBB7_2120
	s_branch .LBB7_1416
.LBB7_1296:
	s_mov_b64 s[6:7], 0
	s_mov_b64 s[0:1], 0
                                        ; implicit-def: $vgpr9_vgpr10
	s_cbranch_execnz .LBB7_1335
	s_branch .LBB7_1365
.LBB7_1297:
	s_mov_b64 s[12:13], -1
	s_mov_b64 s[6:7], 0
	s_mov_b64 s[0:1], 0
                                        ; implicit-def: $vgpr9_vgpr10
	s_branch .LBB7_1314
.LBB7_1298:
	s_mov_b64 s[12:13], -1
	s_mov_b64 s[6:7], 0
	s_mov_b64 s[0:1], 0
                                        ; implicit-def: $vgpr9_vgpr10
	s_branch .LBB7_1309
.LBB7_1299:
	s_or_b64 s[2:3], s[28:29], exec
	s_trap 2
	s_cbranch_execz .LBB7_1236
	s_branch .LBB7_1237
.LBB7_1300:
	s_mov_b64 s[12:13], -1
	s_mov_b64 s[6:7], 0
	s_mov_b64 s[0:1], 0
                                        ; implicit-def: $vgpr9_vgpr10
	s_branch .LBB7_1304
.LBB7_1301:
	s_andn2_saveexec_b64 s[16:17], s[16:17]
	s_cbranch_execz .LBB7_1027
.LBB7_1302:
	s_mov_b32 s20, 0x42800000
	v_add_f32_e64 v3, |v2|, s20
	v_and_b32_e32 v3, 0xff, v3
	v_cmp_ne_u32_e32 vcc, 0, v3
	s_andn2_b64 s[14:15], s[14:15], exec
	s_and_b64 s[20:21], vcc, exec
	s_or_b64 s[14:15], s[14:15], s[20:21]
	s_or_b64 exec, exec, s[16:17]
	v_mov_b32_e32 v4, 0
	s_and_saveexec_b64 s[16:17], s[14:15]
	s_cbranch_execnz .LBB7_1028
	s_branch .LBB7_1029
.LBB7_1303:
	s_mov_b64 s[0:1], -1
                                        ; implicit-def: $vgpr9_vgpr10
	s_mov_b64 s[6:7], 0
.LBB7_1304:
	s_and_b64 vcc, exec, s[12:13]
	s_cbranch_vccz .LBB7_1308
; %bb.1305:
	s_cmp_eq_u32 s18, 44
	s_cbranch_scc0 .LBB7_1307
; %bb.1306:
	global_load_ubyte v7, v[11:12], off
	s_movk_i32 s6, 0xff
	v_bfrev_b32_e32 v14, 4
	v_mov_b32_e32 v19, 0x7ff80000
	v_bfrev_b32_e32 v20, 28
	s_mov_b64 s[0:1], 0
	s_waitcnt vmcnt(0)
	v_lshlrev_b32_e32 v9, 23, v7
	v_cvt_f64_f32_e32 v[9:10], v9
	v_cmp_ne_u32_e32 vcc, s6, v7
	s_mov_b64 s[6:7], -1
	v_cndmask_b32_e32 v9, v14, v9, vcc
	v_cndmask_b32_e32 v10, v19, v10, vcc
	v_cmp_ne_u32_e32 vcc, 0, v7
	v_cndmask_b32_e32 v10, v20, v10, vcc
	v_cndmask_b32_e32 v9, 0, v9, vcc
	s_branch .LBB7_1308
.LBB7_1307:
	s_mov_b64 s[0:1], -1
                                        ; implicit-def: $vgpr9_vgpr10
.LBB7_1308:
	s_mov_b64 s[12:13], 0
.LBB7_1309:
	s_and_b64 vcc, exec, s[12:13]
	s_cbranch_vccz .LBB7_1313
; %bb.1310:
	s_cmp_eq_u32 s18, 29
	s_cbranch_scc0 .LBB7_1312
; %bb.1311:
	global_load_dwordx2 v[9:10], v[11:12], off
	s_mov_b64 s[0:1], 0
	s_mov_b64 s[6:7], -1
	s_mov_b64 s[12:13], 0
	s_waitcnt vmcnt(0)
	v_cvt_f64_u32_e32 v[19:20], v10
	v_cvt_f64_u32_e32 v[9:10], v9
	v_ldexp_f64 v[19:20], v[19:20], 32
	v_add_f64 v[9:10], v[19:20], v[9:10]
	s_branch .LBB7_1314
.LBB7_1312:
	s_mov_b64 s[0:1], -1
                                        ; implicit-def: $vgpr9_vgpr10
.LBB7_1313:
	s_mov_b64 s[12:13], 0
.LBB7_1314:
	s_and_b64 vcc, exec, s[12:13]
	s_cbranch_vccz .LBB7_1334
; %bb.1315:
	s_cmp_lt_i32 s18, 27
	s_cbranch_scc1 .LBB7_1318
; %bb.1316:
	s_cmp_gt_i32 s18, 27
	s_cbranch_scc0 .LBB7_1319
; %bb.1317:
	global_load_dword v7, v[11:12], off
	s_mov_b64 s[6:7], 0
	s_waitcnt vmcnt(0)
	v_cvt_f64_u32_e32 v[9:10], v7
	s_branch .LBB7_1320
.LBB7_1318:
	s_mov_b64 s[6:7], -1
                                        ; implicit-def: $vgpr9_vgpr10
	s_branch .LBB7_1323
.LBB7_1319:
	s_mov_b64 s[6:7], -1
                                        ; implicit-def: $vgpr9_vgpr10
.LBB7_1320:
	s_andn2_b64 vcc, exec, s[6:7]
	s_cbranch_vccnz .LBB7_1322
; %bb.1321:
	global_load_ushort v7, v[11:12], off
	s_waitcnt vmcnt(0)
	v_cvt_f64_u32_e32 v[9:10], v7
.LBB7_1322:
	s_mov_b64 s[6:7], 0
.LBB7_1323:
	s_andn2_b64 vcc, exec, s[6:7]
	s_cbranch_vccnz .LBB7_1333
; %bb.1324:
	global_load_ubyte v7, v[11:12], off
	s_movk_i32 s6, 0x7f
	s_waitcnt vmcnt(0)
	v_cmp_lt_i16_e32 vcc, s6, v7
	s_mov_b64 s[6:7], 0
	s_and_saveexec_b64 s[12:13], vcc
	s_xor_b64 s[12:13], exec, s[12:13]
	s_cbranch_execz .LBB7_1328
; %bb.1325:
	s_movk_i32 s6, 0x80
	v_cmp_eq_u16_e32 vcc, s6, v7
	s_mov_b64 s[6:7], -1
	s_and_saveexec_b64 s[14:15], vcc
; %bb.1326:
	s_xor_b64 s[6:7], exec, -1
; %bb.1327:
	s_or_b64 exec, exec, s[14:15]
	s_and_b64 s[6:7], s[6:7], exec
.LBB7_1328:
	s_or_saveexec_b64 s[12:13], s[12:13]
	v_bfrev_b32_e32 v9, 4
	v_mov_b32_e32 v10, 0x7ff80000
	s_xor_b64 exec, exec, s[12:13]
; %bb.1329:
	v_cmp_ne_u16_e32 vcc, 0, v7
	v_mov_b32_e32 v9, 0
	s_andn2_b64 s[6:7], s[6:7], exec
	s_and_b64 s[14:15], vcc, exec
	v_mov_b32_e32 v10, 0
	s_or_b64 s[6:7], s[6:7], s[14:15]
; %bb.1330:
	s_or_b64 exec, exec, s[12:13]
	s_and_saveexec_b64 s[12:13], s[6:7]
	s_cbranch_execz .LBB7_1332
; %bb.1331:
	v_lshlrev_b32_e32 v9, 24, v7
	v_and_b32_e32 v7, 0xffff, v7
	v_and_b32_e32 v10, 7, v7
	v_ffbh_u32_e32 v19, v10
	v_min_u32_e32 v19, 32, v19
	v_subrev_u32_e32 v20, 28, v19
	v_bfe_u32 v14, v7, 3, 4
	v_lshlrev_b32_e32 v7, v20, v7
	v_sub_u32_e32 v19, 29, v19
	v_and_b32_e32 v7, 7, v7
	v_cmp_eq_u32_e32 vcc, 0, v14
	v_cndmask_b32_e32 v14, v14, v19, vcc
	v_cndmask_b32_e32 v7, v10, v7, vcc
	v_mov_b32_e32 v10, 0x3b800000
	v_lshlrev_b32_e32 v7, 20, v7
	v_and_b32_e32 v9, 0x80000000, v9
	v_lshl_add_u32 v10, v14, 23, v10
	v_or3_b32 v7, v9, v10, v7
	v_cvt_f64_f32_e32 v[9:10], v7
.LBB7_1332:
	s_or_b64 exec, exec, s[12:13]
.LBB7_1333:
	s_mov_b64 s[6:7], -1
.LBB7_1334:
	s_branch .LBB7_1365
.LBB7_1335:
	s_cmp_gt_i32 s18, 22
	s_cbranch_scc0 .LBB7_1347
; %bb.1336:
	s_cmp_lt_i32 s18, 24
	s_cbranch_scc1 .LBB7_1348
; %bb.1337:
	s_cmp_gt_i32 s18, 24
	s_cbranch_scc0 .LBB7_1349
; %bb.1338:
	global_load_ubyte v7, v[11:12], off
	s_movk_i32 s4, 0x7f
	s_waitcnt vmcnt(0)
	v_cmp_lt_i16_e32 vcc, s4, v7
	s_mov_b64 s[4:5], 0
	s_and_saveexec_b64 s[6:7], vcc
	s_xor_b64 s[6:7], exec, s[6:7]
	s_cbranch_execz .LBB7_1342
; %bb.1339:
	s_movk_i32 s4, 0x80
	v_cmp_eq_u16_e32 vcc, s4, v7
	s_mov_b64 s[4:5], -1
	s_and_saveexec_b64 s[12:13], vcc
; %bb.1340:
	s_xor_b64 s[4:5], exec, -1
; %bb.1341:
	s_or_b64 exec, exec, s[12:13]
	s_and_b64 s[4:5], s[4:5], exec
.LBB7_1342:
	s_or_saveexec_b64 s[6:7], s[6:7]
	v_bfrev_b32_e32 v9, 4
	v_mov_b32_e32 v10, 0x7ff80000
	s_xor_b64 exec, exec, s[6:7]
; %bb.1343:
	v_cmp_ne_u16_e32 vcc, 0, v7
	v_mov_b32_e32 v9, 0
	s_andn2_b64 s[4:5], s[4:5], exec
	s_and_b64 s[12:13], vcc, exec
	v_mov_b32_e32 v10, 0
	s_or_b64 s[4:5], s[4:5], s[12:13]
; %bb.1344:
	s_or_b64 exec, exec, s[6:7]
	s_and_saveexec_b64 s[6:7], s[4:5]
	s_cbranch_execz .LBB7_1346
; %bb.1345:
	v_lshlrev_b32_e32 v9, 24, v7
	v_and_b32_e32 v7, 0xffff, v7
	v_and_b32_e32 v10, 3, v7
	v_ffbh_u32_e32 v19, v10
	v_min_u32_e32 v19, 32, v19
	v_subrev_u32_e32 v20, 29, v19
	v_bfe_u32 v14, v7, 2, 5
	v_lshlrev_b32_e32 v7, v20, v7
	v_sub_u32_e32 v19, 30, v19
	v_and_b32_e32 v7, 3, v7
	v_cmp_eq_u32_e32 vcc, 0, v14
	v_cndmask_b32_e32 v14, v14, v19, vcc
	v_cndmask_b32_e32 v7, v10, v7, vcc
	v_mov_b32_e32 v10, 0x37800000
	v_lshlrev_b32_e32 v7, 21, v7
	v_and_b32_e32 v9, 0x80000000, v9
	v_lshl_add_u32 v10, v14, 23, v10
	v_or3_b32 v7, v9, v10, v7
	v_cvt_f64_f32_e32 v[9:10], v7
.LBB7_1346:
	s_or_b64 exec, exec, s[6:7]
	s_mov_b64 s[4:5], 0
	s_branch .LBB7_1350
.LBB7_1347:
	s_mov_b64 s[4:5], -1
                                        ; implicit-def: $vgpr9_vgpr10
	s_branch .LBB7_1356
.LBB7_1348:
	s_mov_b64 s[4:5], -1
                                        ; implicit-def: $vgpr9_vgpr10
	s_branch .LBB7_1353
.LBB7_1349:
	s_mov_b64 s[4:5], -1
                                        ; implicit-def: $vgpr9_vgpr10
.LBB7_1350:
	s_and_b64 vcc, exec, s[4:5]
	s_cbranch_vccz .LBB7_1352
; %bb.1351:
	global_load_ubyte v7, v[11:12], off
	s_mov_b32 s4, 0x7f800000
	s_waitcnt vmcnt(0)
	v_lshlrev_b32_e32 v7, 24, v7
	v_and_b32_e32 v9, 0x7f000000, v7
	v_ffbh_u32_e32 v10, v9
	v_min_u32_e32 v10, 32, v10
	v_sub_u32_e64 v10, v10, 4 clamp
	v_lshlrev_b32_e32 v19, v10, v9
	v_lshlrev_b32_e32 v10, 23, v10
	v_lshrrev_b32_e32 v19, 4, v19
	v_add_u32_e32 v14, 0x1000000, v9
	v_sub_u32_e32 v10, v19, v10
	v_ashrrev_i32_e32 v14, 8, v14
	v_add_u32_e32 v10, 0x3c000000, v10
	v_and_or_b32 v10, v14, s4, v10
	v_cmp_ne_u32_e32 vcc, 0, v9
	v_cndmask_b32_e32 v9, 0, v10, vcc
	s_brev_b32 s4, 1
	v_and_or_b32 v7, v7, s4, v9
	v_cvt_f64_f32_e32 v[9:10], v7
.LBB7_1352:
	s_mov_b64 s[4:5], 0
.LBB7_1353:
	s_andn2_b64 vcc, exec, s[4:5]
	s_cbranch_vccnz .LBB7_1355
; %bb.1354:
	global_load_ubyte v7, v[11:12], off
	s_movk_i32 s4, 0x7f00
	s_brev_b32 s5, 16
	s_waitcnt vmcnt(0)
	v_lshlrev_b16_e32 v9, 8, v7
	v_lshlrev_b32_e32 v7, 25, v7
	v_lshrrev_b32_e32 v10, 4, v7
	v_and_or_b32 v14, v9, s4, 0.5
	v_or_b32_e32 v10, 0x70000000, v10
	v_add_f32_e32 v14, -0.5, v14
	v_mul_f32_e32 v10, 0x7800000, v10
	v_cmp_gt_u32_e32 vcc, s5, v7
	v_bfe_i32 v9, v9, 0, 16
	v_cndmask_b32_e32 v7, v10, v14, vcc
	s_brev_b32 s4, 1
	v_and_or_b32 v7, v9, s4, v7
	v_cvt_f64_f32_e32 v[9:10], v7
.LBB7_1355:
	s_mov_b64 s[4:5], 0
	s_mov_b64 s[6:7], -1
.LBB7_1356:
	s_andn2_b64 vcc, exec, s[4:5]
	s_mov_b64 s[4:5], 0
	s_cbranch_vccnz .LBB7_1365
; %bb.1357:
	s_cmp_gt_i32 s18, 14
	s_cbranch_scc0 .LBB7_1360
; %bb.1358:
	s_cmp_eq_u32 s18, 15
	s_cbranch_scc0 .LBB7_1361
; %bb.1359:
	global_load_ushort v7, v[11:12], off
	s_mov_b64 s[0:1], 0
	s_mov_b64 s[6:7], -1
	s_waitcnt vmcnt(0)
	v_lshlrev_b32_e32 v7, 16, v7
	v_cvt_f64_f32_e32 v[9:10], v7
	s_branch .LBB7_1362
.LBB7_1360:
	s_mov_b64 s[12:13], -1
                                        ; implicit-def: $vgpr9_vgpr10
	s_branch .LBB7_1363
.LBB7_1361:
	s_mov_b64 s[0:1], -1
                                        ; implicit-def: $vgpr9_vgpr10
.LBB7_1362:
	s_mov_b64 s[12:13], 0
.LBB7_1363:
	s_and_b64 vcc, exec, s[12:13]
	s_cbranch_vccz .LBB7_1365
; %bb.1364:
	s_cmp_lg_u32 s18, 11
	s_mov_b64 s[4:5], -1
	s_cselect_b64 s[0:1], -1, 0
.LBB7_1365:
	s_and_b64 vcc, exec, s[0:1]
	s_cbranch_vccnz .LBB7_1432
; %bb.1366:
	s_andn2_b64 vcc, exec, s[4:5]
	s_cbranch_vccnz .LBB7_1368
.LBB7_1367:
	global_load_ubyte v7, v[11:12], off
	v_mov_b32_e32 v10, 0x3ff00000
	v_mov_b32_e32 v9, 0
	s_mov_b64 s[6:7], -1
	s_waitcnt vmcnt(0)
	v_cmp_ne_u16_e32 vcc, 0, v7
	v_cndmask_b32_e32 v10, 0, v10, vcc
.LBB7_1368:
	s_branch .LBB7_1295
.LBB7_1369:
	s_and_b32 s4, 0xffff, s17
	s_cmp_lt_i32 s4, 5
	s_cbranch_scc1 .LBB7_1374
; %bb.1370:
	s_cmp_lt_i32 s4, 8
	s_cbranch_scc1 .LBB7_1375
; %bb.1371:
	;; [unrolled: 3-line block ×3, first 2 shown]
	s_cmp_gt_i32 s4, 9
	s_cbranch_scc0 .LBB7_1377
; %bb.1373:
	global_load_dwordx2 v[9:10], v[11:12], off
	s_mov_b64 s[0:1], 0
	s_branch .LBB7_1378
.LBB7_1374:
                                        ; implicit-def: $vgpr9_vgpr10
	s_branch .LBB7_1396
.LBB7_1375:
	s_mov_b64 s[0:1], -1
                                        ; implicit-def: $vgpr9_vgpr10
	s_branch .LBB7_1384
.LBB7_1376:
	s_mov_b64 s[0:1], -1
                                        ; implicit-def: $vgpr9_vgpr10
	s_branch .LBB7_1381
.LBB7_1377:
	s_mov_b64 s[0:1], -1
                                        ; implicit-def: $vgpr9_vgpr10
.LBB7_1378:
	s_andn2_b64 vcc, exec, s[0:1]
	s_cbranch_vccnz .LBB7_1380
; %bb.1379:
	global_load_dword v7, v[11:12], off
	s_waitcnt vmcnt(0)
	v_cvt_f64_f32_e32 v[9:10], v7
.LBB7_1380:
	s_mov_b64 s[0:1], 0
.LBB7_1381:
	s_andn2_b64 vcc, exec, s[0:1]
	s_cbranch_vccnz .LBB7_1383
; %bb.1382:
	global_load_dword v7, v[11:12], off
	s_waitcnt vmcnt(0)
	v_cvt_f32_f16_e32 v7, v7
	v_cvt_f64_f32_e32 v[9:10], v7
.LBB7_1383:
	s_mov_b64 s[0:1], 0
.LBB7_1384:
	s_andn2_b64 vcc, exec, s[0:1]
	s_cbranch_vccnz .LBB7_1395
; %bb.1385:
	s_cmp_lt_i32 s4, 6
	s_cbranch_scc1 .LBB7_1388
; %bb.1386:
	s_cmp_gt_i32 s4, 6
	s_cbranch_scc0 .LBB7_1389
; %bb.1387:
	global_load_dwordx2 v[9:10], v[11:12], off
	s_mov_b64 s[0:1], 0
	s_branch .LBB7_1390
.LBB7_1388:
	s_mov_b64 s[0:1], -1
                                        ; implicit-def: $vgpr9_vgpr10
	s_branch .LBB7_1393
.LBB7_1389:
	s_mov_b64 s[0:1], -1
                                        ; implicit-def: $vgpr9_vgpr10
.LBB7_1390:
	s_andn2_b64 vcc, exec, s[0:1]
	s_cbranch_vccnz .LBB7_1392
; %bb.1391:
	global_load_dword v7, v[11:12], off
	s_waitcnt vmcnt(0)
	v_cvt_f64_f32_e32 v[9:10], v7
.LBB7_1392:
	s_mov_b64 s[0:1], 0
.LBB7_1393:
	s_andn2_b64 vcc, exec, s[0:1]
	s_cbranch_vccnz .LBB7_1395
; %bb.1394:
	global_load_ushort v7, v[11:12], off
	s_waitcnt vmcnt(0)
	v_cvt_f32_f16_e32 v7, v7
	v_cvt_f64_f32_e32 v[9:10], v7
.LBB7_1395:
	s_cbranch_execnz .LBB7_1415
.LBB7_1396:
	s_cmp_lt_i32 s4, 2
	s_cbranch_scc1 .LBB7_1400
; %bb.1397:
	s_cmp_lt_i32 s4, 3
	s_cbranch_scc1 .LBB7_1401
; %bb.1398:
	s_cmp_gt_i32 s4, 3
	s_cbranch_scc0 .LBB7_1402
; %bb.1399:
	global_load_dwordx2 v[9:10], v[11:12], off
	s_mov_b64 s[0:1], 0
	s_waitcnt vmcnt(0)
	v_cvt_f64_i32_e32 v[19:20], v10
	v_cvt_f64_u32_e32 v[9:10], v9
	v_ldexp_f64 v[19:20], v[19:20], 32
	v_add_f64 v[9:10], v[19:20], v[9:10]
	s_branch .LBB7_1403
.LBB7_1400:
	s_mov_b64 s[0:1], -1
                                        ; implicit-def: $vgpr9_vgpr10
	s_branch .LBB7_1409
.LBB7_1401:
	s_mov_b64 s[0:1], -1
                                        ; implicit-def: $vgpr9_vgpr10
	s_branch .LBB7_1406
.LBB7_1402:
	s_mov_b64 s[0:1], -1
                                        ; implicit-def: $vgpr9_vgpr10
.LBB7_1403:
	s_andn2_b64 vcc, exec, s[0:1]
	s_cbranch_vccnz .LBB7_1405
; %bb.1404:
	global_load_dword v7, v[11:12], off
	s_waitcnt vmcnt(0)
	v_cvt_f64_i32_e32 v[9:10], v7
.LBB7_1405:
	s_mov_b64 s[0:1], 0
.LBB7_1406:
	s_andn2_b64 vcc, exec, s[0:1]
	s_cbranch_vccnz .LBB7_1408
; %bb.1407:
	global_load_sshort v7, v[11:12], off
	s_waitcnt vmcnt(0)
	v_cvt_f64_i32_e32 v[9:10], v7
.LBB7_1408:
	s_mov_b64 s[0:1], 0
.LBB7_1409:
	s_andn2_b64 vcc, exec, s[0:1]
	s_cbranch_vccnz .LBB7_1415
; %bb.1410:
	s_cmp_gt_i32 s4, 0
	s_cbranch_scc0 .LBB7_1412
; %bb.1411:
	global_load_sbyte v7, v[11:12], off
	s_mov_b64 s[0:1], 0
	s_waitcnt vmcnt(0)
	v_cvt_f64_i32_e32 v[9:10], v7
	s_branch .LBB7_1413
.LBB7_1412:
	s_mov_b64 s[0:1], -1
                                        ; implicit-def: $vgpr9_vgpr10
.LBB7_1413:
	s_andn2_b64 vcc, exec, s[0:1]
	s_cbranch_vccnz .LBB7_1415
; %bb.1414:
	global_load_ubyte v7, v[11:12], off
	s_waitcnt vmcnt(0)
	v_cvt_f64_u32_e32 v[9:10], v7
.LBB7_1415:
.LBB7_1416:
	s_mov_b32 s0, 0
	s_mov_b32 s1, 0x41d00000
	s_waitcnt vmcnt(0)
	v_cmp_nlt_f64_e64 s[0:1], |v[9:10]|, s[0:1]
                                        ; implicit-def: $vgpr7
                                        ; implicit-def: $vgpr19_vgpr20
                                        ; implicit-def: $vgpr21_vgpr22
	s_and_saveexec_b64 s[4:5], s[0:1]
	s_xor_b64 s[4:5], exec, s[4:5]
	s_cbranch_execz .LBB7_1418
; %bb.1417:
	v_trig_preop_f64 v[11:12], |v[9:10]|, 0
	s_mov_b32 s0, 0
	s_mov_b32 s1, 0x7b000000
	s_movk_i32 s6, 0xff80
	v_ldexp_f64 v[21:22], |v[9:10]|, s6
	v_cmp_ge_f64_e64 vcc, |v[9:10]|, s[0:1]
	v_trig_preop_f64 v[19:20], |v[9:10]|, 1
	v_and_b32_e32 v7, 0x7fffffff, v10
	v_trig_preop_f64 v[29:30], |v[9:10]|, 2
	s_mov_b32 s0, 0
	s_mov_b32 s1, 0x7ff00000
	v_mov_b32_e32 v39, 0
	v_mov_b32_e32 v14, 0x3ff00000
	v_cndmask_b32_e32 v22, v7, v22, vcc
	v_cndmask_b32_e32 v21, v9, v21, vcc
	v_mov_b32_e32 v7, 0x40100000
	v_mul_f64 v[23:24], v[11:12], v[21:22]
	s_mov_b32 s6, 0x33145c07
	s_mov_b32 s7, 0x3c91a626
	v_mul_f64 v[25:26], v[19:20], v[21:22]
	v_mul_f64 v[35:36], v[29:30], v[21:22]
	v_fma_f64 v[11:12], v[11:12], v[21:22], -v[23:24]
	v_fma_f64 v[19:20], v[19:20], v[21:22], -v[25:26]
	;; [unrolled: 1-line block ×3, first 2 shown]
	v_add_f64 v[27:28], v[25:26], v[11:12]
	v_add_f64 v[31:32], v[27:28], -v[25:26]
	v_add_f64 v[37:38], v[23:24], v[27:28]
	v_add_f64 v[33:34], v[27:28], -v[31:32]
	v_add_f64 v[11:12], v[11:12], -v[31:32]
	v_add_f64 v[31:32], v[35:36], v[19:20]
	v_add_f64 v[23:24], v[37:38], -v[23:24]
	v_add_f64 v[25:26], v[25:26], -v[33:34]
	v_ldexp_f64 v[33:34], v[37:38], -2
	v_add_f64 v[41:42], v[31:32], -v[35:36]
	v_add_f64 v[23:24], v[27:28], -v[23:24]
	v_add_f64 v[11:12], v[11:12], v[25:26]
	v_fract_f64_e32 v[25:26], v[33:34]
	v_cmp_neq_f64_e64 vcc, |v[33:34]|, s[0:1]
	v_add_f64 v[19:20], v[19:20], -v[41:42]
	v_add_f64 v[27:28], v[31:32], v[11:12]
	v_ldexp_f64 v[25:26], v[25:26], 2
	v_add_f64 v[33:34], v[23:24], v[27:28]
	v_cndmask_b32_e32 v26, 0, v26, vcc
	v_cndmask_b32_e32 v25, 0, v25, vcc
	v_add_f64 v[43:44], v[27:28], -v[31:32]
	v_add_f64 v[37:38], v[33:34], v[25:26]
	v_add_f64 v[23:24], v[33:34], -v[23:24]
	v_add_f64 v[45:46], v[27:28], -v[43:44]
	;; [unrolled: 1-line block ×3, first 2 shown]
	v_cmp_gt_f64_e32 vcc, 0, v[37:38]
	v_add_f64 v[37:38], v[31:32], -v[41:42]
	v_add_f64 v[23:24], v[27:28], -v[23:24]
	;; [unrolled: 1-line block ×3, first 2 shown]
	v_cndmask_b32_e32 v40, 0, v7, vcc
	v_add_f64 v[25:26], v[25:26], v[39:40]
	v_add_f64 v[37:38], v[35:36], -v[37:38]
	v_add_f64 v[11:12], v[11:12], v[31:32]
	v_add_f64 v[47:48], v[33:34], v[25:26]
	;; [unrolled: 1-line block ×3, first 2 shown]
	v_cvt_i32_f64_e32 v7, v[47:48]
	v_add_f64 v[11:12], v[19:20], v[11:12]
	v_cvt_f64_i32_e32 v[40:41], v7
	v_add_f64 v[25:26], v[25:26], -v[40:41]
	v_add_f64 v[11:12], v[21:22], v[11:12]
	v_add_f64 v[19:20], v[33:34], v[25:26]
	;; [unrolled: 1-line block ×3, first 2 shown]
	v_add_f64 v[21:22], v[19:20], -v[25:26]
	v_cmp_le_f64_e32 vcc, 0.5, v[19:20]
	v_add_f64 v[21:22], v[33:34], -v[21:22]
	v_cndmask_b32_e32 v40, 0, v14, vcc
	v_add_f64 v[19:20], v[19:20], -v[39:40]
	v_addc_co_u32_e64 v7, s[0:1], 0, v7, vcc
	s_mov_b32 s0, 0x54442d18
	s_mov_b32 s1, 0x3ff921fb
	v_add_f64 v[11:12], v[11:12], v[21:22]
	v_add_f64 v[21:22], v[19:20], v[11:12]
	v_mul_f64 v[23:24], v[21:22], s[0:1]
	v_add_f64 v[19:20], v[21:22], -v[19:20]
	v_fma_f64 v[25:26], v[21:22], s[0:1], -v[23:24]
	v_add_f64 v[11:12], v[11:12], -v[19:20]
	v_fma_f64 v[19:20], v[21:22], s[6:7], v[25:26]
	v_fma_f64 v[11:12], v[11:12], s[0:1], v[19:20]
	v_add_f64 v[19:20], v[23:24], v[11:12]
	v_add_f64 v[21:22], v[19:20], -v[23:24]
	v_add_f64 v[21:22], v[11:12], -v[21:22]
.LBB7_1418:
	s_andn2_saveexec_b64 s[0:1], s[4:5]
	s_cbranch_execz .LBB7_1420
; %bb.1419:
	s_mov_b32 s4, 0x6dc9c883
	s_mov_b32 s5, 0x3fe45f30
	v_mul_f64 v[11:12], |v[9:10]|, s[4:5]
	s_mov_b32 s4, 0x54442d18
	s_mov_b32 s5, 0xbff921fb
	;; [unrolled: 1-line block ×4, first 2 shown]
	v_rndne_f64_e32 v[11:12], v[11:12]
	v_fma_f64 v[19:20], v[11:12], s[4:5], |v[9:10]|
	v_mul_f64 v[21:22], v[11:12], s[6:7]
	s_mov_b32 s4, 0x252049c0
	s_mov_b32 s5, 0xb97b839a
	v_cvt_i32_f64_e32 v7, v[11:12]
	v_fma_f64 v[27:28], v[11:12], s[6:7], v[19:20]
	v_add_f64 v[23:24], v[19:20], v[21:22]
	s_mov_b32 s7, 0x3c91a626
	v_add_f64 v[25:26], v[19:20], -v[23:24]
	v_add_f64 v[23:24], v[23:24], -v[27:28]
	v_add_f64 v[19:20], v[25:26], v[21:22]
	v_fma_f64 v[21:22], v[11:12], s[6:7], v[21:22]
	v_add_f64 v[19:20], v[23:24], v[19:20]
	v_add_f64 v[19:20], v[19:20], -v[21:22]
	v_fma_f64 v[21:22], v[11:12], s[4:5], v[19:20]
	v_add_f64 v[19:20], v[27:28], v[21:22]
	v_add_f64 v[23:24], v[19:20], -v[27:28]
	v_add_f64 v[21:22], v[21:22], -v[23:24]
.LBB7_1420:
	s_or_b64 exec, exec, s[0:1]
	v_mov_b32_e32 v11, s11
	v_add_co_u32_e32 v23, vcc, s10, v3
	s_cmp_lt_i32 s17, 11
	v_addc_co_u32_e32 v24, vcc, 0, v11, vcc
	s_cbranch_scc1 .LBB7_1427
; %bb.1421:
	s_and_b32 s18, 0xffff, s17
	s_cmp_gt_i32 s18, 25
	s_mov_b64 s[4:5], 0
	s_cbranch_scc0 .LBB7_1429
; %bb.1422:
	s_cmp_gt_i32 s18, 28
	s_cbranch_scc0 .LBB7_1430
; %bb.1423:
	s_cmp_gt_i32 s18, 43
	;; [unrolled: 3-line block ×3, first 2 shown]
	s_cbranch_scc0 .LBB7_1433
; %bb.1425:
	s_cmp_eq_u32 s18, 46
	s_mov_b64 s[12:13], 0
	s_cbranch_scc0 .LBB7_1434
; %bb.1426:
	global_load_dword v3, v[23:24], off
	s_mov_b64 s[0:1], 0
	s_mov_b64 s[6:7], -1
	s_waitcnt vmcnt(0)
	v_lshlrev_b32_e32 v3, 16, v3
	v_cvt_f64_f32_e32 v[11:12], v3
	s_branch .LBB7_1435
.LBB7_1427:
	s_mov_b64 s[6:7], 0
                                        ; implicit-def: $vgpr11_vgpr12
	s_cbranch_execnz .LBB7_1501
.LBB7_1428:
	s_andn2_b64 vcc, exec, s[6:7]
	s_cbranch_vccnz .LBB7_2120
	s_branch .LBB7_1549
.LBB7_1429:
	s_mov_b64 s[12:13], -1
	s_mov_b64 s[6:7], 0
	s_mov_b64 s[0:1], 0
                                        ; implicit-def: $vgpr11_vgpr12
	s_branch .LBB7_1466
.LBB7_1430:
	s_mov_b64 s[12:13], -1
	s_mov_b64 s[6:7], 0
	s_mov_b64 s[0:1], 0
                                        ; implicit-def: $vgpr11_vgpr12
	s_branch .LBB7_1445
.LBB7_1431:
	s_mov_b64 s[12:13], -1
	s_mov_b64 s[6:7], 0
	s_mov_b64 s[0:1], 0
                                        ; implicit-def: $vgpr11_vgpr12
	s_branch .LBB7_1440
.LBB7_1432:
	s_trap 2
	s_or_b64 s[2:3], s[2:3], exec
	s_cbranch_execz .LBB7_1367
	s_branch .LBB7_1368
.LBB7_1433:
	s_mov_b64 s[12:13], -1
	s_mov_b64 s[6:7], 0
	s_mov_b64 s[0:1], 0
                                        ; implicit-def: $vgpr11_vgpr12
	s_branch .LBB7_1435
.LBB7_1434:
	s_mov_b64 s[0:1], -1
                                        ; implicit-def: $vgpr11_vgpr12
	s_mov_b64 s[6:7], 0
.LBB7_1435:
	s_and_b64 vcc, exec, s[12:13]
	s_cbranch_vccz .LBB7_1439
; %bb.1436:
	s_cmp_eq_u32 s18, 44
	s_cbranch_scc0 .LBB7_1438
; %bb.1437:
	global_load_ubyte v3, v[23:24], off
	s_movk_i32 s6, 0xff
	v_bfrev_b32_e32 v14, 4
	v_mov_b32_e32 v25, 0x7ff80000
	v_bfrev_b32_e32 v26, 28
	s_mov_b64 s[0:1], 0
	s_waitcnt vmcnt(0)
	v_lshlrev_b32_e32 v11, 23, v3
	v_cvt_f64_f32_e32 v[11:12], v11
	v_cmp_ne_u32_e32 vcc, s6, v3
	s_mov_b64 s[6:7], -1
	v_cndmask_b32_e32 v11, v14, v11, vcc
	v_cndmask_b32_e32 v12, v25, v12, vcc
	v_cmp_ne_u32_e32 vcc, 0, v3
	v_cndmask_b32_e32 v12, v26, v12, vcc
	v_cndmask_b32_e32 v11, 0, v11, vcc
	s_branch .LBB7_1439
.LBB7_1438:
	s_mov_b64 s[0:1], -1
                                        ; implicit-def: $vgpr11_vgpr12
.LBB7_1439:
	s_mov_b64 s[12:13], 0
.LBB7_1440:
	s_and_b64 vcc, exec, s[12:13]
	s_cbranch_vccz .LBB7_1444
; %bb.1441:
	s_cmp_eq_u32 s18, 29
	s_cbranch_scc0 .LBB7_1443
; %bb.1442:
	global_load_dwordx2 v[11:12], v[23:24], off
	s_mov_b64 s[0:1], 0
	s_mov_b64 s[6:7], -1
	s_mov_b64 s[12:13], 0
	s_waitcnt vmcnt(0)
	v_cvt_f64_u32_e32 v[25:26], v12
	v_cvt_f64_u32_e32 v[11:12], v11
	v_ldexp_f64 v[25:26], v[25:26], 32
	v_add_f64 v[11:12], v[25:26], v[11:12]
	s_branch .LBB7_1445
.LBB7_1443:
	s_mov_b64 s[0:1], -1
                                        ; implicit-def: $vgpr11_vgpr12
.LBB7_1444:
	s_mov_b64 s[12:13], 0
.LBB7_1445:
	s_and_b64 vcc, exec, s[12:13]
	s_cbranch_vccz .LBB7_1465
; %bb.1446:
	s_cmp_lt_i32 s18, 27
	s_cbranch_scc1 .LBB7_1449
; %bb.1447:
	s_cmp_gt_i32 s18, 27
	s_cbranch_scc0 .LBB7_1450
; %bb.1448:
	global_load_dword v3, v[23:24], off
	s_mov_b64 s[6:7], 0
	s_waitcnt vmcnt(0)
	v_cvt_f64_u32_e32 v[11:12], v3
	s_branch .LBB7_1451
.LBB7_1449:
	s_mov_b64 s[6:7], -1
                                        ; implicit-def: $vgpr11_vgpr12
	s_branch .LBB7_1454
.LBB7_1450:
	s_mov_b64 s[6:7], -1
                                        ; implicit-def: $vgpr11_vgpr12
.LBB7_1451:
	s_andn2_b64 vcc, exec, s[6:7]
	s_cbranch_vccnz .LBB7_1453
; %bb.1452:
	global_load_ushort v3, v[23:24], off
	s_waitcnt vmcnt(0)
	v_cvt_f64_u32_e32 v[11:12], v3
.LBB7_1453:
	s_mov_b64 s[6:7], 0
.LBB7_1454:
	s_andn2_b64 vcc, exec, s[6:7]
	s_cbranch_vccnz .LBB7_1464
; %bb.1455:
	global_load_ubyte v3, v[23:24], off
	s_movk_i32 s6, 0x7f
	s_waitcnt vmcnt(0)
	v_cmp_lt_i16_e32 vcc, s6, v3
	s_mov_b64 s[6:7], 0
	s_and_saveexec_b64 s[12:13], vcc
	s_xor_b64 s[12:13], exec, s[12:13]
	s_cbranch_execz .LBB7_1459
; %bb.1456:
	s_movk_i32 s6, 0x80
	v_cmp_eq_u16_e32 vcc, s6, v3
	s_mov_b64 s[6:7], -1
	s_and_saveexec_b64 s[14:15], vcc
; %bb.1457:
	s_xor_b64 s[6:7], exec, -1
; %bb.1458:
	s_or_b64 exec, exec, s[14:15]
	s_and_b64 s[6:7], s[6:7], exec
.LBB7_1459:
	s_or_saveexec_b64 s[12:13], s[12:13]
	v_bfrev_b32_e32 v11, 4
	v_mov_b32_e32 v12, 0x7ff80000
	s_xor_b64 exec, exec, s[12:13]
; %bb.1460:
	v_cmp_ne_u16_e32 vcc, 0, v3
	v_mov_b32_e32 v11, 0
	s_andn2_b64 s[6:7], s[6:7], exec
	s_and_b64 s[14:15], vcc, exec
	v_mov_b32_e32 v12, 0
	s_or_b64 s[6:7], s[6:7], s[14:15]
; %bb.1461:
	s_or_b64 exec, exec, s[12:13]
	s_and_saveexec_b64 s[12:13], s[6:7]
	s_cbranch_execz .LBB7_1463
; %bb.1462:
	v_lshlrev_b32_e32 v11, 24, v3
	v_and_b32_e32 v3, 0xffff, v3
	v_and_b32_e32 v12, 7, v3
	v_ffbh_u32_e32 v25, v12
	v_min_u32_e32 v25, 32, v25
	v_subrev_u32_e32 v26, 28, v25
	v_bfe_u32 v14, v3, 3, 4
	v_lshlrev_b32_e32 v3, v26, v3
	v_sub_u32_e32 v25, 29, v25
	v_and_b32_e32 v3, 7, v3
	v_cmp_eq_u32_e32 vcc, 0, v14
	v_cndmask_b32_e32 v14, v14, v25, vcc
	v_cndmask_b32_e32 v3, v12, v3, vcc
	v_mov_b32_e32 v12, 0x3b800000
	v_lshlrev_b32_e32 v3, 20, v3
	v_and_b32_e32 v11, 0x80000000, v11
	v_lshl_add_u32 v12, v14, 23, v12
	v_or3_b32 v3, v11, v12, v3
	v_cvt_f64_f32_e32 v[11:12], v3
.LBB7_1463:
	s_or_b64 exec, exec, s[12:13]
.LBB7_1464:
	s_mov_b64 s[6:7], -1
.LBB7_1465:
	s_mov_b64 s[12:13], 0
.LBB7_1466:
	s_and_b64 vcc, exec, s[12:13]
	s_cbranch_vccz .LBB7_1497
; %bb.1467:
	s_cmp_gt_i32 s18, 22
	s_cbranch_scc0 .LBB7_1479
; %bb.1468:
	s_cmp_lt_i32 s18, 24
	s_cbranch_scc1 .LBB7_1480
; %bb.1469:
	s_cmp_gt_i32 s18, 24
	s_cbranch_scc0 .LBB7_1481
; %bb.1470:
	global_load_ubyte v3, v[23:24], off
	s_movk_i32 s4, 0x7f
	s_waitcnt vmcnt(0)
	v_cmp_lt_i16_e32 vcc, s4, v3
	s_mov_b64 s[4:5], 0
	s_and_saveexec_b64 s[6:7], vcc
	s_xor_b64 s[6:7], exec, s[6:7]
	s_cbranch_execz .LBB7_1474
; %bb.1471:
	s_movk_i32 s4, 0x80
	v_cmp_eq_u16_e32 vcc, s4, v3
	s_mov_b64 s[4:5], -1
	s_and_saveexec_b64 s[12:13], vcc
; %bb.1472:
	s_xor_b64 s[4:5], exec, -1
; %bb.1473:
	s_or_b64 exec, exec, s[12:13]
	s_and_b64 s[4:5], s[4:5], exec
.LBB7_1474:
	s_or_saveexec_b64 s[6:7], s[6:7]
	v_bfrev_b32_e32 v11, 4
	v_mov_b32_e32 v12, 0x7ff80000
	s_xor_b64 exec, exec, s[6:7]
; %bb.1475:
	v_cmp_ne_u16_e32 vcc, 0, v3
	v_mov_b32_e32 v11, 0
	s_andn2_b64 s[4:5], s[4:5], exec
	s_and_b64 s[12:13], vcc, exec
	v_mov_b32_e32 v12, 0
	s_or_b64 s[4:5], s[4:5], s[12:13]
; %bb.1476:
	s_or_b64 exec, exec, s[6:7]
	s_and_saveexec_b64 s[6:7], s[4:5]
	s_cbranch_execz .LBB7_1478
; %bb.1477:
	v_lshlrev_b32_e32 v11, 24, v3
	v_and_b32_e32 v3, 0xffff, v3
	v_and_b32_e32 v12, 3, v3
	v_ffbh_u32_e32 v25, v12
	v_min_u32_e32 v25, 32, v25
	v_subrev_u32_e32 v26, 29, v25
	v_bfe_u32 v14, v3, 2, 5
	v_lshlrev_b32_e32 v3, v26, v3
	v_sub_u32_e32 v25, 30, v25
	v_and_b32_e32 v3, 3, v3
	v_cmp_eq_u32_e32 vcc, 0, v14
	v_cndmask_b32_e32 v14, v14, v25, vcc
	v_cndmask_b32_e32 v3, v12, v3, vcc
	v_mov_b32_e32 v12, 0x37800000
	v_lshlrev_b32_e32 v3, 21, v3
	v_and_b32_e32 v11, 0x80000000, v11
	v_lshl_add_u32 v12, v14, 23, v12
	v_or3_b32 v3, v11, v12, v3
	v_cvt_f64_f32_e32 v[11:12], v3
.LBB7_1478:
	s_or_b64 exec, exec, s[6:7]
	s_mov_b64 s[4:5], 0
	s_branch .LBB7_1482
.LBB7_1479:
	s_mov_b64 s[4:5], -1
                                        ; implicit-def: $vgpr11_vgpr12
	s_branch .LBB7_1488
.LBB7_1480:
	s_mov_b64 s[4:5], -1
                                        ; implicit-def: $vgpr11_vgpr12
	s_branch .LBB7_1485
.LBB7_1481:
	s_mov_b64 s[4:5], -1
                                        ; implicit-def: $vgpr11_vgpr12
.LBB7_1482:
	s_and_b64 vcc, exec, s[4:5]
	s_cbranch_vccz .LBB7_1484
; %bb.1483:
	global_load_ubyte v3, v[23:24], off
	s_mov_b32 s4, 0x7f800000
	s_waitcnt vmcnt(0)
	v_lshlrev_b32_e32 v3, 24, v3
	v_and_b32_e32 v11, 0x7f000000, v3
	v_ffbh_u32_e32 v12, v11
	v_min_u32_e32 v12, 32, v12
	v_sub_u32_e64 v12, v12, 4 clamp
	v_lshlrev_b32_e32 v25, v12, v11
	v_lshlrev_b32_e32 v12, 23, v12
	v_lshrrev_b32_e32 v25, 4, v25
	v_add_u32_e32 v14, 0x1000000, v11
	v_sub_u32_e32 v12, v25, v12
	v_ashrrev_i32_e32 v14, 8, v14
	v_add_u32_e32 v12, 0x3c000000, v12
	v_and_or_b32 v12, v14, s4, v12
	v_cmp_ne_u32_e32 vcc, 0, v11
	v_cndmask_b32_e32 v11, 0, v12, vcc
	s_brev_b32 s4, 1
	v_and_or_b32 v3, v3, s4, v11
	v_cvt_f64_f32_e32 v[11:12], v3
.LBB7_1484:
	s_mov_b64 s[4:5], 0
.LBB7_1485:
	s_andn2_b64 vcc, exec, s[4:5]
	s_cbranch_vccnz .LBB7_1487
; %bb.1486:
	global_load_ubyte v3, v[23:24], off
	s_movk_i32 s4, 0x7f00
	s_brev_b32 s5, 16
	s_waitcnt vmcnt(0)
	v_lshlrev_b16_e32 v11, 8, v3
	v_lshlrev_b32_e32 v3, 25, v3
	v_lshrrev_b32_e32 v12, 4, v3
	v_and_or_b32 v14, v11, s4, 0.5
	v_or_b32_e32 v12, 0x70000000, v12
	v_add_f32_e32 v14, -0.5, v14
	v_mul_f32_e32 v12, 0x7800000, v12
	v_cmp_gt_u32_e32 vcc, s5, v3
	v_bfe_i32 v11, v11, 0, 16
	v_cndmask_b32_e32 v3, v12, v14, vcc
	s_brev_b32 s4, 1
	v_and_or_b32 v3, v11, s4, v3
	v_cvt_f64_f32_e32 v[11:12], v3
.LBB7_1487:
	s_mov_b64 s[4:5], 0
	s_mov_b64 s[6:7], -1
.LBB7_1488:
	s_andn2_b64 vcc, exec, s[4:5]
	s_mov_b64 s[4:5], 0
	s_cbranch_vccnz .LBB7_1497
; %bb.1489:
	s_cmp_gt_i32 s18, 14
	s_cbranch_scc0 .LBB7_1492
; %bb.1490:
	s_cmp_eq_u32 s18, 15
	s_cbranch_scc0 .LBB7_1493
; %bb.1491:
	global_load_ushort v3, v[23:24], off
	s_mov_b64 s[0:1], 0
	s_mov_b64 s[6:7], -1
	s_waitcnt vmcnt(0)
	v_lshlrev_b32_e32 v3, 16, v3
	v_cvt_f64_f32_e32 v[11:12], v3
	s_branch .LBB7_1494
.LBB7_1492:
	s_mov_b64 s[12:13], -1
                                        ; implicit-def: $vgpr11_vgpr12
	s_branch .LBB7_1495
.LBB7_1493:
	s_mov_b64 s[0:1], -1
                                        ; implicit-def: $vgpr11_vgpr12
.LBB7_1494:
	s_mov_b64 s[12:13], 0
.LBB7_1495:
	s_and_b64 vcc, exec, s[12:13]
	s_cbranch_vccz .LBB7_1497
; %bb.1496:
	s_cmp_lg_u32 s18, 11
	s_mov_b64 s[4:5], -1
	s_cselect_b64 s[0:1], -1, 0
.LBB7_1497:
	s_and_b64 vcc, exec, s[0:1]
	s_cbranch_vccnz .LBB7_1564
; %bb.1498:
	s_andn2_b64 vcc, exec, s[4:5]
	s_cbranch_vccnz .LBB7_1500
.LBB7_1499:
	global_load_ubyte v3, v[23:24], off
	v_mov_b32_e32 v12, 0x3ff00000
	v_mov_b32_e32 v11, 0
	s_mov_b64 s[6:7], -1
	s_waitcnt vmcnt(0)
	v_cmp_ne_u16_e32 vcc, 0, v3
	v_cndmask_b32_e32 v12, 0, v12, vcc
.LBB7_1500:
	s_branch .LBB7_1428
.LBB7_1501:
	s_and_b32 s4, 0xffff, s17
	s_cmp_lt_i32 s4, 5
	s_cbranch_scc1 .LBB7_1506
; %bb.1502:
	s_cmp_lt_i32 s4, 8
	s_cbranch_scc1 .LBB7_1507
; %bb.1503:
	;; [unrolled: 3-line block ×3, first 2 shown]
	s_cmp_gt_i32 s4, 9
	s_cbranch_scc0 .LBB7_1509
; %bb.1505:
	global_load_dwordx2 v[11:12], v[23:24], off
	s_mov_b64 s[0:1], 0
	s_branch .LBB7_1510
.LBB7_1506:
	s_mov_b64 s[0:1], -1
                                        ; implicit-def: $vgpr11_vgpr12
	s_branch .LBB7_1528
.LBB7_1507:
	s_mov_b64 s[0:1], -1
                                        ; implicit-def: $vgpr11_vgpr12
	s_branch .LBB7_1516
.LBB7_1508:
	s_mov_b64 s[0:1], -1
                                        ; implicit-def: $vgpr11_vgpr12
	s_branch .LBB7_1513
.LBB7_1509:
	s_mov_b64 s[0:1], -1
                                        ; implicit-def: $vgpr11_vgpr12
.LBB7_1510:
	s_andn2_b64 vcc, exec, s[0:1]
	s_cbranch_vccnz .LBB7_1512
; %bb.1511:
	global_load_dword v3, v[23:24], off
	s_waitcnt vmcnt(0)
	v_cvt_f64_f32_e32 v[11:12], v3
.LBB7_1512:
	s_mov_b64 s[0:1], 0
.LBB7_1513:
	s_andn2_b64 vcc, exec, s[0:1]
	s_cbranch_vccnz .LBB7_1515
; %bb.1514:
	global_load_dword v3, v[23:24], off
	s_waitcnt vmcnt(0)
	v_cvt_f32_f16_e32 v3, v3
	v_cvt_f64_f32_e32 v[11:12], v3
.LBB7_1515:
	s_mov_b64 s[0:1], 0
.LBB7_1516:
	s_andn2_b64 vcc, exec, s[0:1]
	s_cbranch_vccnz .LBB7_1527
; %bb.1517:
	s_cmp_lt_i32 s4, 6
	s_cbranch_scc1 .LBB7_1520
; %bb.1518:
	s_cmp_gt_i32 s4, 6
	s_cbranch_scc0 .LBB7_1521
; %bb.1519:
	global_load_dwordx2 v[11:12], v[23:24], off
	s_mov_b64 s[0:1], 0
	s_branch .LBB7_1522
.LBB7_1520:
	s_mov_b64 s[0:1], -1
                                        ; implicit-def: $vgpr11_vgpr12
	s_branch .LBB7_1525
.LBB7_1521:
	s_mov_b64 s[0:1], -1
                                        ; implicit-def: $vgpr11_vgpr12
.LBB7_1522:
	s_andn2_b64 vcc, exec, s[0:1]
	s_cbranch_vccnz .LBB7_1524
; %bb.1523:
	global_load_dword v3, v[23:24], off
	s_waitcnt vmcnt(0)
	v_cvt_f64_f32_e32 v[11:12], v3
.LBB7_1524:
	s_mov_b64 s[0:1], 0
.LBB7_1525:
	s_andn2_b64 vcc, exec, s[0:1]
	s_cbranch_vccnz .LBB7_1527
; %bb.1526:
	global_load_ushort v3, v[23:24], off
	s_waitcnt vmcnt(0)
	v_cvt_f32_f16_e32 v3, v3
	v_cvt_f64_f32_e32 v[11:12], v3
.LBB7_1527:
	s_mov_b64 s[0:1], 0
.LBB7_1528:
	s_andn2_b64 vcc, exec, s[0:1]
	s_cbranch_vccnz .LBB7_1548
; %bb.1529:
	s_cmp_lt_i32 s4, 2
	s_cbranch_scc1 .LBB7_1533
; %bb.1530:
	s_cmp_lt_i32 s4, 3
	s_cbranch_scc1 .LBB7_1534
; %bb.1531:
	s_cmp_gt_i32 s4, 3
	s_cbranch_scc0 .LBB7_1535
; %bb.1532:
	global_load_dwordx2 v[11:12], v[23:24], off
	s_mov_b64 s[0:1], 0
	s_waitcnt vmcnt(0)
	v_cvt_f64_i32_e32 v[25:26], v12
	v_cvt_f64_u32_e32 v[11:12], v11
	v_ldexp_f64 v[25:26], v[25:26], 32
	v_add_f64 v[11:12], v[25:26], v[11:12]
	s_branch .LBB7_1536
.LBB7_1533:
	s_mov_b64 s[0:1], -1
                                        ; implicit-def: $vgpr11_vgpr12
	s_branch .LBB7_1542
.LBB7_1534:
	s_mov_b64 s[0:1], -1
                                        ; implicit-def: $vgpr11_vgpr12
	s_branch .LBB7_1539
.LBB7_1535:
	s_mov_b64 s[0:1], -1
                                        ; implicit-def: $vgpr11_vgpr12
.LBB7_1536:
	s_andn2_b64 vcc, exec, s[0:1]
	s_cbranch_vccnz .LBB7_1538
; %bb.1537:
	global_load_dword v3, v[23:24], off
	s_waitcnt vmcnt(0)
	v_cvt_f64_i32_e32 v[11:12], v3
.LBB7_1538:
	s_mov_b64 s[0:1], 0
.LBB7_1539:
	s_andn2_b64 vcc, exec, s[0:1]
	s_cbranch_vccnz .LBB7_1541
; %bb.1540:
	global_load_sshort v3, v[23:24], off
	s_waitcnt vmcnt(0)
	v_cvt_f64_i32_e32 v[11:12], v3
.LBB7_1541:
	s_mov_b64 s[0:1], 0
.LBB7_1542:
	s_andn2_b64 vcc, exec, s[0:1]
	s_cbranch_vccnz .LBB7_1548
; %bb.1543:
	s_cmp_gt_i32 s4, 0
	s_cbranch_scc0 .LBB7_1545
; %bb.1544:
	global_load_sbyte v3, v[23:24], off
	s_mov_b64 s[0:1], 0
	s_waitcnt vmcnt(0)
	v_cvt_f64_i32_e32 v[11:12], v3
	s_branch .LBB7_1546
.LBB7_1545:
	s_mov_b64 s[0:1], -1
                                        ; implicit-def: $vgpr11_vgpr12
.LBB7_1546:
	s_andn2_b64 vcc, exec, s[0:1]
	s_cbranch_vccnz .LBB7_1548
; %bb.1547:
	global_load_ubyte v3, v[23:24], off
	s_waitcnt vmcnt(0)
	v_cvt_f64_u32_e32 v[11:12], v3
.LBB7_1548:
.LBB7_1549:
	s_mov_b32 s0, 0
	s_mov_b32 s1, 0x41d00000
	s_waitcnt vmcnt(0)
	v_cmp_nlt_f64_e64 s[0:1], |v[11:12]|, s[0:1]
                                        ; implicit-def: $vgpr32
                                        ; implicit-def: $vgpr23_vgpr24
                                        ; implicit-def: $vgpr25_vgpr26
	s_and_saveexec_b64 s[4:5], s[0:1]
	s_xor_b64 s[0:1], exec, s[4:5]
	s_cbranch_execz .LBB7_1551
; %bb.1550:
	v_trig_preop_f64 v[23:24], |v[11:12]|, 0
	s_mov_b32 s4, 0
	s_mov_b32 s5, 0x7b000000
	s_movk_i32 s6, 0xff80
	v_ldexp_f64 v[25:26], |v[11:12]|, s6
	v_cmp_ge_f64_e64 vcc, |v[11:12]|, s[4:5]
	v_trig_preop_f64 v[27:28], |v[11:12]|, 1
	v_and_b32_e32 v3, 0x7fffffff, v12
	v_trig_preop_f64 v[35:36], |v[11:12]|, 2
	s_mov_b32 s4, 0
	s_mov_b32 s5, 0x7ff00000
	v_mov_b32_e32 v45, 0
	v_mov_b32_e32 v14, 0x3ff00000
	v_cndmask_b32_e32 v26, v3, v26, vcc
	v_cndmask_b32_e32 v25, v11, v25, vcc
	v_mov_b32_e32 v3, 0x40100000
	v_mul_f64 v[29:30], v[23:24], v[25:26]
	s_mov_b32 s6, 0x33145c07
	s_mov_b32 s7, 0x3c91a626
	v_mul_f64 v[31:32], v[27:28], v[25:26]
	v_mul_f64 v[41:42], v[35:36], v[25:26]
	v_fma_f64 v[23:24], v[23:24], v[25:26], -v[29:30]
	v_fma_f64 v[27:28], v[27:28], v[25:26], -v[31:32]
	;; [unrolled: 1-line block ×3, first 2 shown]
	v_add_f64 v[33:34], v[31:32], v[23:24]
	v_add_f64 v[37:38], v[33:34], -v[31:32]
	v_add_f64 v[43:44], v[29:30], v[33:34]
	v_add_f64 v[39:40], v[33:34], -v[37:38]
	v_add_f64 v[23:24], v[23:24], -v[37:38]
	v_add_f64 v[37:38], v[41:42], v[27:28]
	v_add_f64 v[29:30], v[43:44], -v[29:30]
	v_add_f64 v[31:32], v[31:32], -v[39:40]
	v_ldexp_f64 v[39:40], v[43:44], -2
	v_add_f64 v[29:30], v[33:34], -v[29:30]
	v_add_f64 v[23:24], v[23:24], v[31:32]
	v_fract_f64_e32 v[31:32], v[39:40]
	v_cmp_neq_f64_e64 vcc, |v[39:40]|, s[4:5]
	s_mov_b32 s4, 0x54442d18
	s_mov_b32 s5, 0x3ff921fb
	v_add_f64 v[33:34], v[37:38], v[23:24]
	v_ldexp_f64 v[31:32], v[31:32], 2
	v_add_f64 v[39:40], v[29:30], v[33:34]
	v_cndmask_b32_e32 v32, 0, v32, vcc
	v_cndmask_b32_e32 v31, 0, v31, vcc
	v_add_f64 v[47:48], v[33:34], -v[37:38]
	v_add_f64 v[43:44], v[39:40], v[31:32]
	v_add_f64 v[29:30], v[39:40], -v[29:30]
	v_add_f64 v[51:52], v[33:34], -v[47:48]
	;; [unrolled: 1-line block ×3, first 2 shown]
	v_cmp_gt_f64_e32 vcc, 0, v[43:44]
	v_add_f64 v[43:44], v[37:38], -v[41:42]
	v_add_f64 v[29:30], v[33:34], -v[29:30]
	v_cndmask_b32_e32 v46, 0, v3, vcc
	v_add_f64 v[31:32], v[31:32], v[45:46]
	v_add_f64 v[49:50], v[37:38], -v[43:44]
	v_add_f64 v[27:28], v[27:28], -v[43:44]
	;; [unrolled: 1-line block ×3, first 2 shown]
	v_add_f64 v[53:54], v[39:40], v[31:32]
	v_add_f64 v[43:44], v[41:42], -v[49:50]
	v_add_f64 v[23:24], v[23:24], v[37:38]
	v_cvt_i32_f64_e32 v3, v[53:54]
	v_add_f64 v[27:28], v[27:28], v[43:44]
	v_cvt_f64_i32_e32 v[46:47], v3
	v_add_f64 v[31:32], v[31:32], -v[46:47]
	v_add_f64 v[23:24], v[27:28], v[23:24]
	v_add_f64 v[27:28], v[39:40], v[31:32]
	;; [unrolled: 1-line block ×3, first 2 shown]
	v_add_f64 v[25:26], v[27:28], -v[31:32]
	v_cmp_le_f64_e32 vcc, 0.5, v[27:28]
	v_add_f64 v[23:24], v[29:30], v[23:24]
	v_add_f64 v[25:26], v[39:40], -v[25:26]
	v_cndmask_b32_e32 v46, 0, v14, vcc
	v_add_f64 v[23:24], v[23:24], v[25:26]
	v_add_f64 v[25:26], v[27:28], -v[45:46]
	v_add_f64 v[27:28], v[25:26], v[23:24]
	v_mul_f64 v[29:30], v[27:28], s[4:5]
	v_add_f64 v[25:26], v[27:28], -v[25:26]
	v_fma_f64 v[31:32], v[27:28], s[4:5], -v[29:30]
	v_add_f64 v[23:24], v[23:24], -v[25:26]
	v_fma_f64 v[25:26], v[27:28], s[6:7], v[31:32]
	v_addc_co_u32_e32 v32, vcc, 0, v3, vcc
	v_fma_f64 v[25:26], v[23:24], s[4:5], v[25:26]
	v_add_f64 v[23:24], v[29:30], v[25:26]
	v_add_f64 v[27:28], v[23:24], -v[29:30]
	v_add_f64 v[25:26], v[25:26], -v[27:28]
.LBB7_1551:
	s_andn2_saveexec_b64 s[0:1], s[0:1]
	s_cbranch_execz .LBB7_1553
; %bb.1552:
	s_mov_b32 s4, 0x6dc9c883
	s_mov_b32 s5, 0x3fe45f30
	v_mul_f64 v[23:24], |v[11:12]|, s[4:5]
	s_mov_b32 s4, 0x54442d18
	s_mov_b32 s5, 0xbff921fb
	s_mov_b32 s7, 0xbc91a626
	s_mov_b32 s6, 0x33145c00
	v_rndne_f64_e32 v[27:28], v[23:24]
	v_fma_f64 v[23:24], v[27:28], s[4:5], |v[11:12]|
	v_mul_f64 v[25:26], v[27:28], s[6:7]
	s_mov_b32 s4, 0x252049c0
	s_mov_b32 s5, 0xb97b839a
	v_fma_f64 v[33:34], v[27:28], s[6:7], v[23:24]
	v_add_f64 v[29:30], v[23:24], v[25:26]
	s_mov_b32 s7, 0x3c91a626
	v_add_f64 v[31:32], v[23:24], -v[29:30]
	v_add_f64 v[29:30], v[29:30], -v[33:34]
	v_add_f64 v[23:24], v[31:32], v[25:26]
	v_fma_f64 v[25:26], v[27:28], s[6:7], v[25:26]
	v_cvt_i32_f64_e32 v32, v[27:28]
	v_add_f64 v[23:24], v[29:30], v[23:24]
	v_add_f64 v[23:24], v[23:24], -v[25:26]
	v_fma_f64 v[25:26], v[27:28], s[4:5], v[23:24]
	v_add_f64 v[23:24], v[33:34], v[25:26]
	v_add_f64 v[29:30], v[23:24], -v[33:34]
	v_add_f64 v[25:26], v[25:26], -v[29:30]
.LBB7_1553:
	s_or_b64 exec, exec, s[0:1]
	v_mov_b32_e32 v3, s11
	v_add_co_u32_e32 v27, vcc, s10, v13
	s_cmp_lt_i32 s17, 11
	v_addc_co_u32_e32 v28, vcc, 0, v3, vcc
	s_cbranch_scc1 .LBB7_1560
; %bb.1554:
	s_and_b32 s14, 0xffff, s17
	s_cmp_gt_i32 s14, 25
	s_mov_b64 s[4:5], 0
	s_cbranch_scc0 .LBB7_1561
; %bb.1555:
	s_cmp_gt_i32 s14, 28
	s_cbranch_scc0 .LBB7_1562
; %bb.1556:
	s_cmp_gt_i32 s14, 43
	;; [unrolled: 3-line block ×3, first 2 shown]
	s_cbranch_scc0 .LBB7_1565
; %bb.1558:
	s_cmp_eq_u32 s14, 46
	s_mov_b64 s[10:11], 0
	s_cbranch_scc0 .LBB7_1566
; %bb.1559:
	global_load_dword v3, v[27:28], off
	s_mov_b64 s[0:1], 0
	s_mov_b64 s[6:7], -1
	s_waitcnt vmcnt(0)
	v_lshlrev_b32_e32 v3, 16, v3
	v_cvt_f64_f32_e32 v[13:14], v3
	s_branch .LBB7_1567
.LBB7_1560:
	s_mov_b64 s[0:1], -1
	s_mov_b64 s[6:7], 0
                                        ; implicit-def: $vgpr13_vgpr14
	s_branch .LBB7_1633
.LBB7_1561:
	s_mov_b64 s[10:11], -1
	s_mov_b64 s[6:7], 0
	s_mov_b64 s[0:1], 0
                                        ; implicit-def: $vgpr13_vgpr14
	s_branch .LBB7_1598
.LBB7_1562:
	s_mov_b64 s[10:11], -1
	s_mov_b64 s[6:7], 0
	s_mov_b64 s[0:1], 0
                                        ; implicit-def: $vgpr13_vgpr14
	s_branch .LBB7_1577
.LBB7_1563:
	s_mov_b64 s[10:11], -1
	s_mov_b64 s[6:7], 0
	s_mov_b64 s[0:1], 0
                                        ; implicit-def: $vgpr13_vgpr14
	s_branch .LBB7_1572
.LBB7_1564:
	s_trap 2
	s_or_b64 s[2:3], s[2:3], exec
	s_cbranch_execz .LBB7_1499
	s_branch .LBB7_1500
.LBB7_1565:
	s_mov_b64 s[10:11], -1
	s_mov_b64 s[6:7], 0
	s_mov_b64 s[0:1], 0
                                        ; implicit-def: $vgpr13_vgpr14
	s_branch .LBB7_1567
.LBB7_1566:
	s_mov_b64 s[0:1], -1
                                        ; implicit-def: $vgpr13_vgpr14
	s_mov_b64 s[6:7], 0
.LBB7_1567:
	s_and_b64 vcc, exec, s[10:11]
	s_cbranch_vccz .LBB7_1571
; %bb.1568:
	s_cmp_eq_u32 s14, 44
	s_cbranch_scc0 .LBB7_1570
; %bb.1569:
	global_load_ubyte v3, v[27:28], off
	s_movk_i32 s6, 0xff
	v_bfrev_b32_e32 v29, 4
	v_mov_b32_e32 v30, 0x7ff80000
	v_bfrev_b32_e32 v31, 28
	s_mov_b64 s[0:1], 0
	s_waitcnt vmcnt(0)
	v_lshlrev_b32_e32 v13, 23, v3
	v_cvt_f64_f32_e32 v[13:14], v13
	v_cmp_ne_u32_e32 vcc, s6, v3
	s_mov_b64 s[6:7], -1
	v_cndmask_b32_e32 v13, v29, v13, vcc
	v_cndmask_b32_e32 v14, v30, v14, vcc
	v_cmp_ne_u32_e32 vcc, 0, v3
	v_cndmask_b32_e32 v14, v31, v14, vcc
	v_cndmask_b32_e32 v13, 0, v13, vcc
	s_branch .LBB7_1571
.LBB7_1570:
	s_mov_b64 s[0:1], -1
                                        ; implicit-def: $vgpr13_vgpr14
.LBB7_1571:
	s_mov_b64 s[10:11], 0
.LBB7_1572:
	s_and_b64 vcc, exec, s[10:11]
	s_cbranch_vccz .LBB7_1576
; %bb.1573:
	s_cmp_eq_u32 s14, 29
	s_cbranch_scc0 .LBB7_1575
; %bb.1574:
	global_load_dwordx2 v[13:14], v[27:28], off
	s_mov_b64 s[0:1], 0
	s_mov_b64 s[6:7], -1
	s_mov_b64 s[10:11], 0
	s_waitcnt vmcnt(0)
	v_cvt_f64_u32_e32 v[29:30], v14
	v_cvt_f64_u32_e32 v[13:14], v13
	v_ldexp_f64 v[29:30], v[29:30], 32
	v_add_f64 v[13:14], v[29:30], v[13:14]
	s_branch .LBB7_1577
.LBB7_1575:
	s_mov_b64 s[0:1], -1
                                        ; implicit-def: $vgpr13_vgpr14
.LBB7_1576:
	s_mov_b64 s[10:11], 0
.LBB7_1577:
	s_and_b64 vcc, exec, s[10:11]
	s_cbranch_vccz .LBB7_1597
; %bb.1578:
	s_cmp_lt_i32 s14, 27
	s_cbranch_scc1 .LBB7_1581
; %bb.1579:
	s_cmp_gt_i32 s14, 27
	s_cbranch_scc0 .LBB7_1582
; %bb.1580:
	global_load_dword v3, v[27:28], off
	s_mov_b64 s[6:7], 0
	s_waitcnt vmcnt(0)
	v_cvt_f64_u32_e32 v[13:14], v3
	s_branch .LBB7_1583
.LBB7_1581:
	s_mov_b64 s[6:7], -1
                                        ; implicit-def: $vgpr13_vgpr14
	s_branch .LBB7_1586
.LBB7_1582:
	s_mov_b64 s[6:7], -1
                                        ; implicit-def: $vgpr13_vgpr14
.LBB7_1583:
	s_andn2_b64 vcc, exec, s[6:7]
	s_cbranch_vccnz .LBB7_1585
; %bb.1584:
	global_load_ushort v3, v[27:28], off
	s_waitcnt vmcnt(0)
	v_cvt_f64_u32_e32 v[13:14], v3
.LBB7_1585:
	s_mov_b64 s[6:7], 0
.LBB7_1586:
	s_andn2_b64 vcc, exec, s[6:7]
	s_cbranch_vccnz .LBB7_1596
; %bb.1587:
	global_load_ubyte v3, v[27:28], off
	s_movk_i32 s6, 0x7f
	s_waitcnt vmcnt(0)
	v_cmp_lt_i16_e32 vcc, s6, v3
	s_mov_b64 s[6:7], 0
	s_and_saveexec_b64 s[10:11], vcc
	s_xor_b64 s[10:11], exec, s[10:11]
	s_cbranch_execz .LBB7_1591
; %bb.1588:
	s_movk_i32 s6, 0x80
	v_cmp_eq_u16_e32 vcc, s6, v3
	s_mov_b64 s[6:7], -1
	s_and_saveexec_b64 s[12:13], vcc
; %bb.1589:
	s_xor_b64 s[6:7], exec, -1
; %bb.1590:
	s_or_b64 exec, exec, s[12:13]
	s_and_b64 s[6:7], s[6:7], exec
.LBB7_1591:
	s_or_saveexec_b64 s[10:11], s[10:11]
	v_bfrev_b32_e32 v13, 4
	v_mov_b32_e32 v14, 0x7ff80000
	s_xor_b64 exec, exec, s[10:11]
; %bb.1592:
	v_cmp_ne_u16_e32 vcc, 0, v3
	v_mov_b32_e32 v13, 0
	s_andn2_b64 s[6:7], s[6:7], exec
	s_and_b64 s[12:13], vcc, exec
	v_mov_b32_e32 v14, 0
	s_or_b64 s[6:7], s[6:7], s[12:13]
; %bb.1593:
	s_or_b64 exec, exec, s[10:11]
	s_and_saveexec_b64 s[10:11], s[6:7]
	s_cbranch_execz .LBB7_1595
; %bb.1594:
	v_lshlrev_b32_e32 v13, 24, v3
	v_and_b32_e32 v3, 0xffff, v3
	v_and_b32_e32 v14, 7, v3
	v_ffbh_u32_e32 v30, v14
	v_min_u32_e32 v30, 32, v30
	v_subrev_u32_e32 v31, 28, v30
	v_bfe_u32 v29, v3, 3, 4
	v_lshlrev_b32_e32 v3, v31, v3
	v_sub_u32_e32 v30, 29, v30
	v_and_b32_e32 v3, 7, v3
	v_cmp_eq_u32_e32 vcc, 0, v29
	v_cndmask_b32_e32 v29, v29, v30, vcc
	v_cndmask_b32_e32 v3, v14, v3, vcc
	v_mov_b32_e32 v14, 0x3b800000
	v_lshlrev_b32_e32 v3, 20, v3
	v_and_b32_e32 v13, 0x80000000, v13
	v_lshl_add_u32 v14, v29, 23, v14
	v_or3_b32 v3, v13, v14, v3
	v_cvt_f64_f32_e32 v[13:14], v3
.LBB7_1595:
	s_or_b64 exec, exec, s[10:11]
.LBB7_1596:
	s_mov_b64 s[6:7], -1
.LBB7_1597:
	s_mov_b64 s[10:11], 0
.LBB7_1598:
	s_and_b64 vcc, exec, s[10:11]
	s_cbranch_vccz .LBB7_1629
; %bb.1599:
	s_cmp_gt_i32 s14, 22
	s_cbranch_scc0 .LBB7_1611
; %bb.1600:
	s_cmp_lt_i32 s14, 24
	s_cbranch_scc1 .LBB7_1612
; %bb.1601:
	s_cmp_gt_i32 s14, 24
	s_cbranch_scc0 .LBB7_1613
; %bb.1602:
	global_load_ubyte v3, v[27:28], off
	s_movk_i32 s4, 0x7f
	s_waitcnt vmcnt(0)
	v_cmp_lt_i16_e32 vcc, s4, v3
	s_mov_b64 s[4:5], 0
	s_and_saveexec_b64 s[6:7], vcc
	s_xor_b64 s[6:7], exec, s[6:7]
	s_cbranch_execz .LBB7_1606
; %bb.1603:
	s_movk_i32 s4, 0x80
	v_cmp_eq_u16_e32 vcc, s4, v3
	s_mov_b64 s[4:5], -1
	s_and_saveexec_b64 s[10:11], vcc
; %bb.1604:
	s_xor_b64 s[4:5], exec, -1
; %bb.1605:
	s_or_b64 exec, exec, s[10:11]
	s_and_b64 s[4:5], s[4:5], exec
.LBB7_1606:
	s_or_saveexec_b64 s[6:7], s[6:7]
	v_bfrev_b32_e32 v13, 4
	v_mov_b32_e32 v14, 0x7ff80000
	s_xor_b64 exec, exec, s[6:7]
; %bb.1607:
	v_cmp_ne_u16_e32 vcc, 0, v3
	v_mov_b32_e32 v13, 0
	s_andn2_b64 s[4:5], s[4:5], exec
	s_and_b64 s[10:11], vcc, exec
	v_mov_b32_e32 v14, 0
	s_or_b64 s[4:5], s[4:5], s[10:11]
; %bb.1608:
	s_or_b64 exec, exec, s[6:7]
	s_and_saveexec_b64 s[6:7], s[4:5]
	s_cbranch_execz .LBB7_1610
; %bb.1609:
	v_lshlrev_b32_e32 v13, 24, v3
	v_and_b32_e32 v3, 0xffff, v3
	v_and_b32_e32 v14, 3, v3
	v_ffbh_u32_e32 v30, v14
	v_min_u32_e32 v30, 32, v30
	v_subrev_u32_e32 v31, 29, v30
	v_bfe_u32 v29, v3, 2, 5
	v_lshlrev_b32_e32 v3, v31, v3
	v_sub_u32_e32 v30, 30, v30
	v_and_b32_e32 v3, 3, v3
	v_cmp_eq_u32_e32 vcc, 0, v29
	v_cndmask_b32_e32 v29, v29, v30, vcc
	v_cndmask_b32_e32 v3, v14, v3, vcc
	v_mov_b32_e32 v14, 0x37800000
	v_lshlrev_b32_e32 v3, 21, v3
	v_and_b32_e32 v13, 0x80000000, v13
	v_lshl_add_u32 v14, v29, 23, v14
	v_or3_b32 v3, v13, v14, v3
	v_cvt_f64_f32_e32 v[13:14], v3
.LBB7_1610:
	s_or_b64 exec, exec, s[6:7]
	s_mov_b64 s[4:5], 0
	s_branch .LBB7_1614
.LBB7_1611:
	s_mov_b64 s[4:5], -1
                                        ; implicit-def: $vgpr13_vgpr14
	s_branch .LBB7_1620
.LBB7_1612:
	s_mov_b64 s[4:5], -1
                                        ; implicit-def: $vgpr13_vgpr14
	s_branch .LBB7_1617
.LBB7_1613:
	s_mov_b64 s[4:5], -1
                                        ; implicit-def: $vgpr13_vgpr14
.LBB7_1614:
	s_and_b64 vcc, exec, s[4:5]
	s_cbranch_vccz .LBB7_1616
; %bb.1615:
	global_load_ubyte v3, v[27:28], off
	s_mov_b32 s4, 0x7f800000
	s_waitcnt vmcnt(0)
	v_lshlrev_b32_e32 v3, 24, v3
	v_and_b32_e32 v13, 0x7f000000, v3
	v_ffbh_u32_e32 v14, v13
	v_min_u32_e32 v14, 32, v14
	v_sub_u32_e64 v14, v14, 4 clamp
	v_lshlrev_b32_e32 v30, v14, v13
	v_lshlrev_b32_e32 v14, 23, v14
	v_lshrrev_b32_e32 v30, 4, v30
	v_add_u32_e32 v29, 0x1000000, v13
	v_sub_u32_e32 v14, v30, v14
	v_ashrrev_i32_e32 v29, 8, v29
	v_add_u32_e32 v14, 0x3c000000, v14
	v_and_or_b32 v14, v29, s4, v14
	v_cmp_ne_u32_e32 vcc, 0, v13
	v_cndmask_b32_e32 v13, 0, v14, vcc
	s_brev_b32 s4, 1
	v_and_or_b32 v3, v3, s4, v13
	v_cvt_f64_f32_e32 v[13:14], v3
.LBB7_1616:
	s_mov_b64 s[4:5], 0
.LBB7_1617:
	s_andn2_b64 vcc, exec, s[4:5]
	s_cbranch_vccnz .LBB7_1619
; %bb.1618:
	global_load_ubyte v3, v[27:28], off
	s_movk_i32 s4, 0x7f00
	s_brev_b32 s5, 16
	s_waitcnt vmcnt(0)
	v_lshlrev_b16_e32 v13, 8, v3
	v_lshlrev_b32_e32 v3, 25, v3
	v_lshrrev_b32_e32 v14, 4, v3
	v_and_or_b32 v29, v13, s4, 0.5
	v_or_b32_e32 v14, 0x70000000, v14
	v_add_f32_e32 v29, -0.5, v29
	v_mul_f32_e32 v14, 0x7800000, v14
	v_cmp_gt_u32_e32 vcc, s5, v3
	v_bfe_i32 v13, v13, 0, 16
	v_cndmask_b32_e32 v3, v14, v29, vcc
	s_brev_b32 s4, 1
	v_and_or_b32 v3, v13, s4, v3
	v_cvt_f64_f32_e32 v[13:14], v3
.LBB7_1619:
	s_mov_b64 s[4:5], 0
	s_mov_b64 s[6:7], -1
.LBB7_1620:
	s_andn2_b64 vcc, exec, s[4:5]
	s_mov_b64 s[4:5], 0
	s_cbranch_vccnz .LBB7_1629
; %bb.1621:
	s_cmp_gt_i32 s14, 14
	s_cbranch_scc0 .LBB7_1624
; %bb.1622:
	s_cmp_eq_u32 s14, 15
	s_cbranch_scc0 .LBB7_1625
; %bb.1623:
	global_load_ushort v3, v[27:28], off
	s_mov_b64 s[0:1], 0
	s_mov_b64 s[6:7], -1
	s_waitcnt vmcnt(0)
	v_lshlrev_b32_e32 v3, 16, v3
	v_cvt_f64_f32_e32 v[13:14], v3
	s_branch .LBB7_1626
.LBB7_1624:
	s_mov_b64 s[10:11], -1
                                        ; implicit-def: $vgpr13_vgpr14
	s_branch .LBB7_1627
.LBB7_1625:
	s_mov_b64 s[0:1], -1
                                        ; implicit-def: $vgpr13_vgpr14
.LBB7_1626:
	s_mov_b64 s[10:11], 0
.LBB7_1627:
	s_and_b64 vcc, exec, s[10:11]
	s_cbranch_vccz .LBB7_1629
; %bb.1628:
	s_cmp_lg_u32 s14, 11
	s_mov_b64 s[4:5], -1
	s_cselect_b64 s[0:1], -1, 0
.LBB7_1629:
	s_and_b64 vcc, exec, s[0:1]
	s_cbranch_vccnz .LBB7_2166
; %bb.1630:
	s_andn2_b64 vcc, exec, s[4:5]
	s_cbranch_vccnz .LBB7_1632
.LBB7_1631:
	global_load_ubyte v3, v[27:28], off
	v_mov_b32_e32 v14, 0x3ff00000
	v_mov_b32_e32 v13, 0
	s_mov_b64 s[6:7], -1
	s_waitcnt vmcnt(0)
	v_cmp_ne_u16_e32 vcc, 0, v3
	v_cndmask_b32_e32 v14, 0, v14, vcc
.LBB7_1632:
	s_mov_b64 s[0:1], 0
.LBB7_1633:
	s_and_b64 vcc, exec, s[0:1]
	s_cbranch_vccz .LBB7_1682
; %bb.1634:
	s_and_b32 s4, 0xffff, s17
	s_cmp_lt_i32 s4, 5
	s_cbranch_scc1 .LBB7_1639
; %bb.1635:
	s_cmp_lt_i32 s4, 8
	s_cbranch_scc1 .LBB7_1640
; %bb.1636:
	;; [unrolled: 3-line block ×3, first 2 shown]
	s_cmp_gt_i32 s4, 9
	s_cbranch_scc0 .LBB7_1642
; %bb.1638:
	global_load_dwordx2 v[13:14], v[27:28], off
	s_mov_b64 s[0:1], 0
	s_branch .LBB7_1643
.LBB7_1639:
	s_mov_b64 s[0:1], -1
                                        ; implicit-def: $vgpr13_vgpr14
	s_branch .LBB7_1661
.LBB7_1640:
	s_mov_b64 s[0:1], -1
                                        ; implicit-def: $vgpr13_vgpr14
	s_branch .LBB7_1649
.LBB7_1641:
	s_mov_b64 s[0:1], -1
                                        ; implicit-def: $vgpr13_vgpr14
	s_branch .LBB7_1646
.LBB7_1642:
	s_mov_b64 s[0:1], -1
                                        ; implicit-def: $vgpr13_vgpr14
.LBB7_1643:
	s_andn2_b64 vcc, exec, s[0:1]
	s_cbranch_vccnz .LBB7_1645
; %bb.1644:
	global_load_dword v3, v[27:28], off
	s_waitcnt vmcnt(0)
	v_cvt_f64_f32_e32 v[13:14], v3
.LBB7_1645:
	s_mov_b64 s[0:1], 0
.LBB7_1646:
	s_andn2_b64 vcc, exec, s[0:1]
	s_cbranch_vccnz .LBB7_1648
; %bb.1647:
	global_load_dword v3, v[27:28], off
	s_waitcnt vmcnt(0)
	v_cvt_f32_f16_e32 v3, v3
	v_cvt_f64_f32_e32 v[13:14], v3
.LBB7_1648:
	s_mov_b64 s[0:1], 0
.LBB7_1649:
	s_andn2_b64 vcc, exec, s[0:1]
	s_cbranch_vccnz .LBB7_1660
; %bb.1650:
	s_cmp_lt_i32 s4, 6
	s_cbranch_scc1 .LBB7_1653
; %bb.1651:
	s_cmp_gt_i32 s4, 6
	s_cbranch_scc0 .LBB7_1654
; %bb.1652:
	global_load_dwordx2 v[13:14], v[27:28], off
	s_mov_b64 s[0:1], 0
	s_branch .LBB7_1655
.LBB7_1653:
	s_mov_b64 s[0:1], -1
                                        ; implicit-def: $vgpr13_vgpr14
	s_branch .LBB7_1658
.LBB7_1654:
	s_mov_b64 s[0:1], -1
                                        ; implicit-def: $vgpr13_vgpr14
.LBB7_1655:
	s_andn2_b64 vcc, exec, s[0:1]
	s_cbranch_vccnz .LBB7_1657
; %bb.1656:
	global_load_dword v3, v[27:28], off
	s_waitcnt vmcnt(0)
	v_cvt_f64_f32_e32 v[13:14], v3
.LBB7_1657:
	s_mov_b64 s[0:1], 0
.LBB7_1658:
	s_andn2_b64 vcc, exec, s[0:1]
	s_cbranch_vccnz .LBB7_1660
; %bb.1659:
	global_load_ushort v3, v[27:28], off
	s_waitcnt vmcnt(0)
	v_cvt_f32_f16_e32 v3, v3
	v_cvt_f64_f32_e32 v[13:14], v3
.LBB7_1660:
	s_mov_b64 s[0:1], 0
.LBB7_1661:
	s_andn2_b64 vcc, exec, s[0:1]
	s_cbranch_vccnz .LBB7_1681
; %bb.1662:
	s_cmp_lt_i32 s4, 2
	s_cbranch_scc1 .LBB7_1666
; %bb.1663:
	s_cmp_lt_i32 s4, 3
	s_cbranch_scc1 .LBB7_1667
; %bb.1664:
	s_cmp_gt_i32 s4, 3
	s_cbranch_scc0 .LBB7_1668
; %bb.1665:
	global_load_dwordx2 v[13:14], v[27:28], off
	s_mov_b64 s[0:1], 0
	s_waitcnt vmcnt(0)
	v_cvt_f64_i32_e32 v[29:30], v14
	v_cvt_f64_u32_e32 v[13:14], v13
	v_ldexp_f64 v[29:30], v[29:30], 32
	v_add_f64 v[13:14], v[29:30], v[13:14]
	s_branch .LBB7_1669
.LBB7_1666:
	s_mov_b64 s[0:1], -1
                                        ; implicit-def: $vgpr13_vgpr14
	s_branch .LBB7_1675
.LBB7_1667:
	s_mov_b64 s[0:1], -1
                                        ; implicit-def: $vgpr13_vgpr14
	s_branch .LBB7_1672
.LBB7_1668:
	s_mov_b64 s[0:1], -1
                                        ; implicit-def: $vgpr13_vgpr14
.LBB7_1669:
	s_andn2_b64 vcc, exec, s[0:1]
	s_cbranch_vccnz .LBB7_1671
; %bb.1670:
	global_load_dword v3, v[27:28], off
	s_waitcnt vmcnt(0)
	v_cvt_f64_i32_e32 v[13:14], v3
.LBB7_1671:
	s_mov_b64 s[0:1], 0
.LBB7_1672:
	s_andn2_b64 vcc, exec, s[0:1]
	s_cbranch_vccnz .LBB7_1674
; %bb.1673:
	global_load_sshort v3, v[27:28], off
	s_waitcnt vmcnt(0)
	v_cvt_f64_i32_e32 v[13:14], v3
.LBB7_1674:
	s_mov_b64 s[0:1], 0
.LBB7_1675:
	s_andn2_b64 vcc, exec, s[0:1]
	s_cbranch_vccnz .LBB7_1681
; %bb.1676:
	s_cmp_gt_i32 s4, 0
	s_cbranch_scc0 .LBB7_1678
; %bb.1677:
	global_load_sbyte v3, v[27:28], off
	s_mov_b64 s[0:1], 0
	s_waitcnt vmcnt(0)
	v_cvt_f64_i32_e32 v[13:14], v3
	s_branch .LBB7_1679
.LBB7_1678:
	s_mov_b64 s[0:1], -1
                                        ; implicit-def: $vgpr13_vgpr14
.LBB7_1679:
	s_andn2_b64 vcc, exec, s[0:1]
	s_cbranch_vccnz .LBB7_1681
; %bb.1680:
	global_load_ubyte v3, v[27:28], off
	s_waitcnt vmcnt(0)
	v_cvt_f64_u32_e32 v[13:14], v3
.LBB7_1681:
	s_mov_b64 s[6:7], -1
.LBB7_1682:
	s_andn2_b64 vcc, exec, s[6:7]
	s_cbranch_vccnz .LBB7_2120
; %bb.1683:
	s_mov_b32 s0, 0
	s_mov_b32 s1, 0x41d00000
	s_waitcnt vmcnt(0)
	v_cmp_nlt_f64_e64 s[0:1], |v[13:14]|, s[0:1]
                                        ; implicit-def: $vgpr31
                                        ; implicit-def: $vgpr27_vgpr28
                                        ; implicit-def: $vgpr29_vgpr30
	s_and_saveexec_b64 s[4:5], s[0:1]
	s_xor_b64 s[4:5], exec, s[4:5]
	s_cbranch_execz .LBB7_1685
; %bb.1684:
	v_trig_preop_f64 v[27:28], |v[13:14]|, 0
	s_mov_b32 s0, 0
	s_mov_b32 s1, 0x7b000000
	s_movk_i32 s6, 0xff80
	v_ldexp_f64 v[33:34], |v[13:14]|, s6
	v_cmp_ge_f64_e64 vcc, |v[13:14]|, s[0:1]
	v_trig_preop_f64 v[29:30], |v[13:14]|, 1
	v_and_b32_e32 v3, 0x7fffffff, v14
	v_trig_preop_f64 v[41:42], |v[13:14]|, 2
	s_mov_b32 s0, 0
	s_mov_b32 s1, 0x7ff00000
	v_mov_b32_e32 v51, 0
	s_mov_b32 s6, 0x33145c07
	v_cndmask_b32_e32 v34, v3, v34, vcc
	v_cndmask_b32_e32 v33, v13, v33, vcc
	v_mov_b32_e32 v3, 0x40100000
	v_mul_f64 v[35:36], v[27:28], v[33:34]
	s_mov_b32 s7, 0x3c91a626
	v_mul_f64 v[37:38], v[29:30], v[33:34]
	v_mul_f64 v[47:48], v[41:42], v[33:34]
	v_fma_f64 v[27:28], v[27:28], v[33:34], -v[35:36]
	v_fma_f64 v[29:30], v[29:30], v[33:34], -v[37:38]
	;; [unrolled: 1-line block ×3, first 2 shown]
	v_add_f64 v[39:40], v[37:38], v[27:28]
	v_add_f64 v[43:44], v[39:40], -v[37:38]
	v_add_f64 v[49:50], v[35:36], v[39:40]
	v_add_f64 v[45:46], v[39:40], -v[43:44]
	v_add_f64 v[27:28], v[27:28], -v[43:44]
	v_add_f64 v[43:44], v[47:48], v[29:30]
	v_add_f64 v[35:36], v[49:50], -v[35:36]
	v_add_f64 v[37:38], v[37:38], -v[45:46]
	v_ldexp_f64 v[45:46], v[49:50], -2
	v_add_f64 v[53:54], v[43:44], -v[47:48]
	v_add_f64 v[35:36], v[39:40], -v[35:36]
	v_add_f64 v[27:28], v[27:28], v[37:38]
	v_fract_f64_e32 v[37:38], v[45:46]
	v_cmp_neq_f64_e64 vcc, |v[45:46]|, s[0:1]
	v_add_f64 v[29:30], v[29:30], -v[53:54]
	v_add_f64 v[39:40], v[43:44], v[27:28]
	v_ldexp_f64 v[37:38], v[37:38], 2
	v_add_f64 v[45:46], v[35:36], v[39:40]
	v_cndmask_b32_e32 v38, 0, v38, vcc
	v_cndmask_b32_e32 v37, 0, v37, vcc
	v_add_f64 v[55:56], v[39:40], -v[43:44]
	v_add_f64 v[49:50], v[45:46], v[37:38]
	v_add_f64 v[35:36], v[45:46], -v[35:36]
	v_add_f64 v[57:58], v[39:40], -v[55:56]
	;; [unrolled: 1-line block ×3, first 2 shown]
	v_cmp_gt_f64_e32 vcc, 0, v[49:50]
	v_add_f64 v[49:50], v[43:44], -v[53:54]
	v_add_f64 v[35:36], v[39:40], -v[35:36]
	;; [unrolled: 1-line block ×3, first 2 shown]
	v_cndmask_b32_e32 v52, 0, v3, vcc
	v_add_f64 v[37:38], v[37:38], v[51:52]
	v_add_f64 v[49:50], v[47:48], -v[49:50]
	v_add_f64 v[27:28], v[27:28], v[43:44]
	v_add_f64 v[59:60], v[45:46], v[37:38]
	;; [unrolled: 1-line block ×3, first 2 shown]
	v_cvt_i32_f64_e32 v3, v[59:60]
	v_add_f64 v[27:28], v[29:30], v[27:28]
	v_cvt_f64_i32_e32 v[52:53], v3
	v_add_f64 v[37:38], v[37:38], -v[52:53]
	v_add_f64 v[27:28], v[33:34], v[27:28]
	v_add_f64 v[29:30], v[45:46], v[37:38]
	;; [unrolled: 1-line block ×3, first 2 shown]
	v_mov_b32_e32 v35, 0x3ff00000
	v_add_f64 v[33:34], v[29:30], -v[37:38]
	v_cmp_le_f64_e32 vcc, 0.5, v[29:30]
	v_add_f64 v[33:34], v[45:46], -v[33:34]
	v_cndmask_b32_e32 v52, 0, v35, vcc
	v_add_f64 v[29:30], v[29:30], -v[51:52]
	v_addc_co_u32_e64 v31, s[0:1], 0, v3, vcc
	s_mov_b32 s0, 0x54442d18
	s_mov_b32 s1, 0x3ff921fb
	v_add_f64 v[27:28], v[27:28], v[33:34]
	v_add_f64 v[33:34], v[29:30], v[27:28]
	v_mul_f64 v[35:36], v[33:34], s[0:1]
	v_add_f64 v[29:30], v[33:34], -v[29:30]
	v_fma_f64 v[37:38], v[33:34], s[0:1], -v[35:36]
	v_add_f64 v[27:28], v[27:28], -v[29:30]
	v_fma_f64 v[29:30], v[33:34], s[6:7], v[37:38]
	v_fma_f64 v[29:30], v[27:28], s[0:1], v[29:30]
	v_add_f64 v[27:28], v[35:36], v[29:30]
	v_add_f64 v[33:34], v[27:28], -v[35:36]
	v_add_f64 v[29:30], v[29:30], -v[33:34]
.LBB7_1685:
	s_andn2_saveexec_b64 s[0:1], s[4:5]
	s_cbranch_execz .LBB7_1687
; %bb.1686:
	s_mov_b32 s4, 0x6dc9c883
	s_mov_b32 s5, 0x3fe45f30
	v_mul_f64 v[27:28], |v[13:14]|, s[4:5]
	s_mov_b32 s4, 0x54442d18
	s_mov_b32 s5, 0xbff921fb
	;; [unrolled: 1-line block ×4, first 2 shown]
	v_rndne_f64_e32 v[33:34], v[27:28]
	v_fma_f64 v[27:28], v[33:34], s[4:5], |v[13:14]|
	v_mul_f64 v[29:30], v[33:34], s[6:7]
	s_mov_b32 s4, 0x252049c0
	s_mov_b32 s5, 0xb97b839a
	v_cvt_i32_f64_e32 v31, v[33:34]
	v_fma_f64 v[39:40], v[33:34], s[6:7], v[27:28]
	v_add_f64 v[35:36], v[27:28], v[29:30]
	s_mov_b32 s7, 0x3c91a626
	v_add_f64 v[37:38], v[27:28], -v[35:36]
	v_add_f64 v[35:36], v[35:36], -v[39:40]
	v_add_f64 v[27:28], v[37:38], v[29:30]
	v_fma_f64 v[29:30], v[33:34], s[6:7], v[29:30]
	v_add_f64 v[27:28], v[35:36], v[27:28]
	v_add_f64 v[27:28], v[27:28], -v[29:30]
	v_fma_f64 v[29:30], v[33:34], s[4:5], v[27:28]
	v_add_f64 v[27:28], v[39:40], v[29:30]
	v_add_f64 v[35:36], v[27:28], -v[39:40]
	v_add_f64 v[29:30], v[29:30], -v[35:36]
.LBB7_1687:
	s_or_b64 exec, exec, s[0:1]
	v_mul_f64 v[33:34], v[15:16], v[15:16]
	s_mov_b32 s0, 0xf9a43bb8
	v_mov_b32_e32 v36, 0xb42fdfa7
	v_mov_b32_e32 v37, 0xbe5ae600
	s_mov_b32 s1, 0x3de5e0b2
	s_mov_b32 s4, 0x796cde01
	v_mov_b32_e32 v35, 0x9037ab78
	s_mov_b32 s5, 0x3ec71de3
	v_fma_f64 v[37:38], v[33:34], s[0:1], v[36:37]
	s_mov_b32 s0, 0x46cc5e42
	v_mov_b32_e32 v36, 0x3e21eeb6
	s_mov_b32 s1, 0xbda907db
	v_fma_f64 v[35:36], v[33:34], s[0:1], v[35:36]
	v_mul_f64 v[39:40], v[33:34], 0.5
	s_mov_b32 s0, 0xa17f65f6
	s_mov_b32 s6, 0x19e83e5c
	v_fma_f64 v[37:38], v[33:34], v[37:38], s[4:5]
	s_mov_b32 s1, 0xbe927e4f
	s_mov_b32 s7, 0xbf2a01a0
	;; [unrolled: 1-line block ×3, first 2 shown]
	v_fma_f64 v[35:36], v[33:34], v[35:36], s[0:1]
	v_add_f64 v[41:42], -v[39:40], 1.0
	s_mov_b32 s0, 0x11110bb3
	s_mov_b32 s5, 0x3efa01a0
	v_fma_f64 v[37:38], v[33:34], v[37:38], s[6:7]
	s_mov_b32 s1, 0x3f811111
	v_mul_f64 v[43:44], v[17:18], 0.5
	v_mul_f64 v[45:46], v[15:16], -v[33:34]
	v_fma_f64 v[35:36], v[33:34], v[35:36], s[4:5]
	v_add_f64 v[47:48], -v[41:42], 1.0
	v_and_b32_e32 v3, 1, v5
	v_lshlrev_b32_e32 v5, 30, v5
	v_fma_f64 v[37:38], v[33:34], v[37:38], s[0:1]
	s_mov_b32 s0, 0x16c16967
	s_mov_b32 s1, 0xbf56c16c
	v_cmp_eq_u32_e32 vcc, 0, v3
	v_fma_f64 v[35:36], v[33:34], v[35:36], s[0:1]
	v_add_f64 v[39:40], v[47:48], -v[39:40]
	s_mov_b32 s1, 0x3fa55555
	s_mov_b32 s0, 0x55555555
	v_fma_f64 v[37:38], v[45:46], v[37:38], v[43:44]
	v_mul_f64 v[43:44], v[33:34], v[33:34]
	s_bfe_u32 s14, s16, 0x80008
	s_cmp_lt_i32 s14, 11
	v_fma_f64 v[35:36], v[33:34], v[35:36], s[0:1]
	v_fma_f64 v[39:40], v[15:16], -v[17:18], v[39:40]
	s_mov_b32 s1, 0xbfc55555
	v_fma_f64 v[17:18], v[33:34], v[37:38], -v[17:18]
	v_fma_f64 v[33:34], v[43:44], v[35:36], v[39:40]
	v_fma_f64 v[17:18], v[45:46], s[0:1], v[17:18]
	s_movk_i32 s0, 0x1f8
	v_cmp_class_f64_e64 s[0:1], v[0:1], s0
	v_xor_b32_e32 v0, v5, v1
	v_and_b32_e32 v0, 0x80000000, v0
	v_add_f64 v[33:34], v[41:42], v[33:34]
	v_add_f64 v[15:16], v[15:16], -v[17:18]
	v_mov_b32_e32 v17, 0x7ff80000
	v_mov_b32_e32 v18, s9
	v_cndmask_b32_e32 v1, v34, v16, vcc
	v_cndmask_b32_e32 v3, v33, v15, vcc
	v_xor_b32_e32 v1, v1, v0
	v_add_co_u32_e32 v15, vcc, s8, v2
	v_cndmask_b32_e64 v0, 0, v3, s[0:1]
	v_cndmask_b32_e64 v1, v17, v1, s[0:1]
	v_addc_co_u32_e32 v16, vcc, 0, v18, vcc
	s_cbranch_scc1 .LBB7_1765
; %bb.1688:
	s_and_b32 s15, 0xffff, s14
	s_mov_b64 s[10:11], -1
	s_mov_b64 s[4:5], 0
	s_cmp_gt_i32 s15, 25
	s_mov_b64 s[6:7], 0
	s_mov_b64 s[0:1], 0
	s_cbranch_scc0 .LBB7_1721
; %bb.1689:
	s_cmp_gt_i32 s15, 28
	s_cbranch_scc0 .LBB7_1704
; %bb.1690:
	s_cmp_gt_i32 s15, 43
	;; [unrolled: 3-line block ×3, first 2 shown]
	s_cbranch_scc0 .LBB7_1694
; %bb.1692:
	s_mov_b64 s[0:1], -1
	s_mov_b64 s[10:11], 0
	s_cmp_eq_u32 s15, 46
	s_cbranch_scc0 .LBB7_1694
; %bb.1693:
	v_cvt_f32_f64_e32 v2, v[0:1]
	s_movk_i32 s0, 0x7fff
	v_mov_b32_e32 v3, 0x7fc0
	s_mov_b64 s[6:7], -1
	v_bfe_u32 v5, v2, 16, 1
	v_cmp_o_f32_e32 vcc, v2, v2
	v_add3_u32 v2, v2, v5, s0
	v_cndmask_b32_sdwa v2, v3, v2, vcc dst_sel:DWORD dst_unused:UNUSED_PAD src0_sel:DWORD src1_sel:WORD_1
	global_store_dword v[15:16], v2, off
	s_mov_b64 s[0:1], 0
.LBB7_1694:
	s_and_b64 vcc, exec, s[10:11]
	s_cbranch_vccz .LBB7_1699
; %bb.1695:
	s_cmp_eq_u32 s15, 44
	s_mov_b64 s[0:1], -1
	s_cbranch_scc0 .LBB7_1699
; %bb.1696:
	v_cvt_f32_f64_e32 v2, v[0:1]
	s_movk_i32 s0, 0xff
	v_mov_b32_e32 v5, 0xff
	v_bfe_u32 v3, v2, 23, 8
	v_cmp_ne_u32_e32 vcc, s0, v3
	s_and_saveexec_b64 s[6:7], vcc
; %bb.1697:
	s_mov_b32 s0, 0x3fffff
	v_lshrrev_b32_e32 v5, 23, v2
	v_and_b32_e32 v17, 0x400000, v2
	v_and_or_b32 v2, v2, s0, v3
	v_cmp_ne_u32_e32 vcc, 0, v17
	v_cmp_ne_u32_e64 s[0:1], 0, v2
	s_and_b64 s[0:1], vcc, s[0:1]
	v_cndmask_b32_e64 v2, 0, 1, s[0:1]
	v_add_u32_e32 v5, v5, v2
; %bb.1698:
	s_or_b64 exec, exec, s[6:7]
	s_mov_b64 s[0:1], 0
	s_mov_b64 s[6:7], -1
	global_store_byte v[15:16], v5, off
.LBB7_1699:
	s_mov_b64 s[10:11], 0
.LBB7_1700:
	s_and_b64 vcc, exec, s[10:11]
	s_cbranch_vccz .LBB7_1703
; %bb.1701:
	s_cmp_eq_u32 s15, 29
	s_mov_b64 s[0:1], -1
	s_cbranch_scc0 .LBB7_1703
; %bb.1702:
	v_trunc_f64_e32 v[2:3], v[0:1]
	s_movk_i32 s0, 0xffe0
	s_mov_b64 s[6:7], -1
	v_ldexp_f64 v[17:18], v[2:3], s0
	s_mov_b32 s0, 0
	s_mov_b32 s1, 0xc1f00000
	v_floor_f64_e32 v[17:18], v[17:18]
	v_fma_f64 v[2:3], v[17:18], s[0:1], v[2:3]
	v_cvt_u32_f64_e32 v18, v[17:18]
	s_mov_b64 s[0:1], 0
	v_cvt_u32_f64_e32 v17, v[2:3]
	global_store_dwordx2 v[15:16], v[17:18], off
.LBB7_1703:
	s_mov_b64 s[10:11], 0
.LBB7_1704:
	s_and_b64 vcc, exec, s[10:11]
	s_cbranch_vccz .LBB7_1720
; %bb.1705:
	s_cmp_lt_i32 s15, 27
	s_mov_b64 s[6:7], -1
	s_cbranch_scc1 .LBB7_1711
; %bb.1706:
	v_cvt_u32_f64_e32 v2, v[0:1]
	s_cmp_gt_i32 s15, 27
	s_cbranch_scc0 .LBB7_1708
; %bb.1707:
	s_mov_b64 s[6:7], 0
	global_store_dword v[15:16], v2, off
.LBB7_1708:
	s_andn2_b64 vcc, exec, s[6:7]
	s_cbranch_vccnz .LBB7_1710
; %bb.1709:
	global_store_short v[15:16], v2, off
.LBB7_1710:
	s_mov_b64 s[6:7], 0
.LBB7_1711:
	s_andn2_b64 vcc, exec, s[6:7]
	s_cbranch_vccnz .LBB7_1719
; %bb.1712:
	v_cvt_f32_f64_e32 v2, v[0:1]
	s_mov_b32 s6, 0x43800000
	v_mov_b32_e32 v5, 0x80
	v_and_b32_e32 v3, 0x7fffffff, v2
	v_cmp_gt_u32_e32 vcc, s6, v3
	s_and_saveexec_b64 s[6:7], vcc
	s_cbranch_execz .LBB7_1718
; %bb.1713:
	s_mov_b32 s10, 0x3bffffff
	v_cmp_lt_u32_e32 vcc, s10, v3
	s_mov_b64 s[10:11], 0
                                        ; implicit-def: $vgpr3
	s_and_saveexec_b64 s[12:13], vcc
	s_xor_b64 s[12:13], exec, s[12:13]
	s_cbranch_execz .LBB7_2167
; %bb.1714:
	v_bfe_u32 v3, v2, 20, 1
	s_mov_b32 s17, 0x487ffff
	v_add3_u32 v3, v2, v3, s17
	s_mov_b64 s[10:11], exec
	v_lshrrev_b32_e32 v3, 20, v3
	s_andn2_saveexec_b64 s[12:13], s[12:13]
	s_cbranch_execnz .LBB7_2168
.LBB7_1715:
	s_or_b64 exec, exec, s[12:13]
	v_mov_b32_e32 v5, 0
	s_and_saveexec_b64 s[12:13], s[10:11]
.LBB7_1716:
	v_lshrrev_b32_e32 v2, 24, v2
	s_movk_i32 s10, 0x80
	v_and_or_b32 v5, v2, s10, v3
.LBB7_1717:
	s_or_b64 exec, exec, s[12:13]
.LBB7_1718:
	s_or_b64 exec, exec, s[6:7]
	global_store_byte v[15:16], v5, off
.LBB7_1719:
	s_mov_b64 s[6:7], -1
.LBB7_1720:
	s_mov_b64 s[10:11], 0
.LBB7_1721:
	s_and_b64 vcc, exec, s[10:11]
	s_cbranch_vccz .LBB7_1761
; %bb.1722:
	s_cmp_gt_i32 s15, 22
	s_mov_b64 s[4:5], -1
	s_cbranch_scc0 .LBB7_1754
; %bb.1723:
	s_cmp_lt_i32 s15, 24
	s_cbranch_scc1 .LBB7_1743
; %bb.1724:
	s_cmp_gt_i32 s15, 24
	s_cbranch_scc0 .LBB7_1732
; %bb.1725:
	v_cvt_f32_f64_e32 v2, v[0:1]
	s_mov_b32 s4, 0x47800000
	v_mov_b32_e32 v5, 0x80
	v_and_b32_e32 v3, 0x7fffffff, v2
	v_cmp_gt_u32_e32 vcc, s4, v3
	s_and_saveexec_b64 s[4:5], vcc
	s_cbranch_execz .LBB7_1731
; %bb.1726:
	s_mov_b32 s6, 0x37ffffff
	v_cmp_lt_u32_e32 vcc, s6, v3
	s_mov_b64 s[6:7], 0
                                        ; implicit-def: $vgpr3
	s_and_saveexec_b64 s[10:11], vcc
	s_xor_b64 s[10:11], exec, s[10:11]
	s_cbranch_execz .LBB7_2170
; %bb.1727:
	v_bfe_u32 v3, v2, 21, 1
	s_mov_b32 s12, 0x88fffff
	v_add3_u32 v3, v2, v3, s12
	s_mov_b64 s[6:7], exec
	v_lshrrev_b32_e32 v3, 21, v3
	s_andn2_saveexec_b64 s[10:11], s[10:11]
	s_cbranch_execnz .LBB7_2171
.LBB7_1728:
	s_or_b64 exec, exec, s[10:11]
	v_mov_b32_e32 v5, 0
	s_and_saveexec_b64 s[10:11], s[6:7]
.LBB7_1729:
	v_lshrrev_b32_e32 v2, 24, v2
	s_movk_i32 s6, 0x80
	v_and_or_b32 v5, v2, s6, v3
.LBB7_1730:
	s_or_b64 exec, exec, s[10:11]
.LBB7_1731:
	s_or_b64 exec, exec, s[4:5]
	s_mov_b64 s[4:5], 0
	global_store_byte v[15:16], v5, off
.LBB7_1732:
	s_and_b64 vcc, exec, s[4:5]
	s_cbranch_vccz .LBB7_1742
; %bb.1733:
	v_cvt_f32_f64_e32 v2, v[0:1]
	s_mov_b32 s4, 0x43f00000
                                        ; implicit-def: $vgpr3
	v_and_b32_e32 v5, 0x7fffffff, v2
	v_cmp_gt_u32_e32 vcc, s4, v5
	s_and_saveexec_b64 s[4:5], vcc
	s_xor_b64 s[4:5], exec, s[4:5]
	s_cbranch_execz .LBB7_1739
; %bb.1734:
	s_mov_b32 s6, 0x3c7fffff
	v_cmp_lt_u32_e32 vcc, s6, v5
                                        ; implicit-def: $vgpr3
	s_and_saveexec_b64 s[6:7], vcc
	s_xor_b64 s[6:7], exec, s[6:7]
; %bb.1735:
	v_bfe_u32 v3, v2, 20, 1
	s_mov_b32 s10, 0x407ffff
	v_add3_u32 v3, v2, v3, s10
	v_lshrrev_b32_e32 v5, 20, v3
	v_and_b32_e32 v3, 0xff00000, v3
	s_mov_b32 s10, 0x7f00000
	v_mov_b32_e32 v17, 0x7e
	v_cmp_ne_u32_e32 vcc, s10, v3
	v_cndmask_b32_e32 v3, v17, v5, vcc
; %bb.1736:
	s_andn2_saveexec_b64 s[6:7], s[6:7]
; %bb.1737:
	s_mov_b32 s10, 0x46800000
	v_add_f32_e64 v3, |v2|, s10
; %bb.1738:
	s_or_b64 exec, exec, s[6:7]
                                        ; implicit-def: $vgpr5
.LBB7_1739:
	s_andn2_saveexec_b64 s[4:5], s[4:5]
; %bb.1740:
	s_mov_b32 s6, 0x7f800000
	v_mov_b32_e32 v3, 0x7e
	v_mov_b32_e32 v17, 0x7f
	v_cmp_lt_u32_e32 vcc, s6, v5
	v_cndmask_b32_e32 v3, v3, v17, vcc
; %bb.1741:
	s_or_b64 exec, exec, s[4:5]
	v_lshrrev_b32_e32 v2, 24, v2
	s_movk_i32 s4, 0x80
	v_and_or_b32 v2, v2, s4, v3
	global_store_byte v[15:16], v2, off
.LBB7_1742:
	s_mov_b64 s[4:5], 0
.LBB7_1743:
	s_andn2_b64 vcc, exec, s[4:5]
	s_cbranch_vccnz .LBB7_1753
; %bb.1744:
	v_cvt_f32_f64_e32 v2, v[0:1]
	s_mov_b32 s4, 0x47800000
                                        ; implicit-def: $vgpr3
	v_and_b32_e32 v5, 0x7fffffff, v2
	v_cmp_gt_u32_e32 vcc, s4, v5
	s_and_saveexec_b64 s[4:5], vcc
	s_xor_b64 s[4:5], exec, s[4:5]
	s_cbranch_execz .LBB7_1750
; %bb.1745:
	s_mov_b32 s6, 0x387fffff
	v_cmp_lt_u32_e32 vcc, s6, v5
                                        ; implicit-def: $vgpr3
	s_and_saveexec_b64 s[6:7], vcc
	s_xor_b64 s[6:7], exec, s[6:7]
; %bb.1746:
	v_bfe_u32 v3, v2, 21, 1
	s_mov_b32 s10, 0x80fffff
	v_add3_u32 v3, v2, v3, s10
	v_lshrrev_b32_e32 v3, 21, v3
; %bb.1747:
	s_andn2_saveexec_b64 s[6:7], s[6:7]
; %bb.1748:
	s_mov_b32 s10, 0x43000000
	v_add_f32_e64 v3, |v2|, s10
; %bb.1749:
	s_or_b64 exec, exec, s[6:7]
                                        ; implicit-def: $vgpr5
.LBB7_1750:
	s_andn2_saveexec_b64 s[4:5], s[4:5]
; %bb.1751:
	s_mov_b32 s6, 0x7f800000
	v_mov_b32_e32 v3, 0x7c
	v_mov_b32_e32 v17, 0x7f
	v_cmp_lt_u32_e32 vcc, s6, v5
	v_cndmask_b32_e32 v3, v3, v17, vcc
; %bb.1752:
	s_or_b64 exec, exec, s[4:5]
	v_lshrrev_b32_e32 v2, 24, v2
	s_movk_i32 s4, 0x80
	v_and_or_b32 v2, v2, s4, v3
	global_store_byte v[15:16], v2, off
.LBB7_1753:
	s_mov_b64 s[4:5], 0
	s_mov_b64 s[6:7], -1
.LBB7_1754:
	s_andn2_b64 vcc, exec, s[4:5]
	s_mov_b64 s[4:5], 0
	s_cbranch_vccnz .LBB7_1761
; %bb.1755:
	s_cmp_gt_i32 s15, 14
	s_mov_b64 s[10:11], -1
	s_cbranch_scc0 .LBB7_1759
; %bb.1756:
	s_cmp_eq_u32 s15, 15
	s_mov_b64 s[0:1], -1
	s_cbranch_scc0 .LBB7_1758
; %bb.1757:
	v_cvt_f32_f64_e32 v2, v[0:1]
	s_movk_i32 s0, 0x7fff
	v_mov_b32_e32 v3, 0x7fc0
	s_mov_b64 s[6:7], -1
	v_bfe_u32 v5, v2, 16, 1
	v_cmp_o_f32_e32 vcc, v2, v2
	v_add3_u32 v2, v2, v5, s0
	v_cndmask_b32_sdwa v2, v3, v2, vcc dst_sel:DWORD dst_unused:UNUSED_PAD src0_sel:DWORD src1_sel:WORD_1
	global_store_short v[15:16], v2, off
	s_mov_b64 s[0:1], 0
.LBB7_1758:
	s_mov_b64 s[10:11], 0
.LBB7_1759:
	s_and_b64 vcc, exec, s[10:11]
	s_cbranch_vccz .LBB7_1761
; %bb.1760:
	s_cmp_lg_u32 s15, 11
	s_mov_b64 s[4:5], -1
	s_cselect_b64 s[0:1], -1, 0
.LBB7_1761:
	s_and_b64 vcc, exec, s[0:1]
	s_cbranch_vccnz .LBB7_2169
; %bb.1762:
	s_andn2_b64 vcc, exec, s[4:5]
	s_cbranch_vccnz .LBB7_1764
.LBB7_1763:
	v_cmp_neq_f64_e32 vcc, 0, v[0:1]
	s_mov_b64 s[6:7], -1
	v_cndmask_b32_e64 v2, 0, 1, vcc
	global_store_byte v[15:16], v2, off
.LBB7_1764:
	s_mov_b64 s[0:1], 0
	s_branch .LBB7_1766
.LBB7_1765:
	s_mov_b64 s[0:1], -1
	s_mov_b64 s[6:7], 0
.LBB7_1766:
	s_and_b64 vcc, exec, s[0:1]
	s_cbranch_vccz .LBB7_1805
; %bb.1767:
	s_and_b32 s4, 0xffff, s14
	s_cmp_lt_i32 s4, 5
	s_mov_b64 s[0:1], -1
	s_cbranch_scc1 .LBB7_1788
; %bb.1768:
	s_cmp_lt_i32 s4, 8
	s_cbranch_scc1 .LBB7_1778
; %bb.1769:
	s_cmp_lt_i32 s4, 9
	s_cbranch_scc1 .LBB7_1775
; %bb.1770:
	s_cmp_gt_i32 s4, 9
	s_cbranch_scc0 .LBB7_1772
; %bb.1771:
	v_mov_b32_e32 v2, 0
	v_mov_b32_e32 v3, v2
	global_store_dwordx4 v[15:16], v[0:3], off
	s_mov_b64 s[0:1], 0
.LBB7_1772:
	s_andn2_b64 vcc, exec, s[0:1]
	s_cbranch_vccnz .LBB7_1774
; %bb.1773:
	v_cvt_f32_f64_e32 v2, v[0:1]
	v_mov_b32_e32 v3, 0
	global_store_dwordx2 v[15:16], v[2:3], off
.LBB7_1774:
	s_mov_b64 s[0:1], 0
.LBB7_1775:
	s_andn2_b64 vcc, exec, s[0:1]
	s_cbranch_vccnz .LBB7_1777
; %bb.1776:
	s_movk_i32 s0, 0x1ff
	v_and_or_b32 v2, v1, s0, v0
	v_cmp_ne_u32_e32 vcc, 0, v2
	v_cndmask_b32_e64 v2, 0, 1, vcc
	v_lshrrev_b32_e32 v3, 8, v1
	s_movk_i32 s0, 0xffe
	v_bfe_u32 v5, v1, 20, 11
	v_and_or_b32 v2, v3, s0, v2
	v_sub_u32_e32 v17, 0x3f1, v5
	v_or_b32_e32 v3, 0x1000, v2
	v_med3_i32 v17, v17, 0, 13
	v_lshrrev_b32_e32 v18, v17, v3
	v_lshlrev_b32_e32 v17, v17, v18
	v_cmp_ne_u32_e32 vcc, v17, v3
	v_cndmask_b32_e64 v3, 0, 1, vcc
	v_add_u32_e32 v5, 0xfffffc10, v5
	v_or_b32_e32 v3, v18, v3
	v_lshl_or_b32 v17, v5, 12, v2
	v_cmp_gt_i32_e32 vcc, 1, v5
	v_cndmask_b32_e32 v3, v17, v3, vcc
	v_and_b32_e32 v17, 7, v3
	v_cmp_lt_i32_e32 vcc, 5, v17
	v_cndmask_b32_e64 v18, 0, 1, vcc
	v_cmp_eq_u32_e32 vcc, 3, v17
	v_cndmask_b32_e64 v17, 0, 1, vcc
	v_or_b32_e32 v17, v17, v18
	v_lshrrev_b32_e32 v3, 2, v3
	v_add_u32_e32 v3, v3, v17
	v_mov_b32_e32 v17, 0x7c00
	v_cmp_gt_i32_e32 vcc, 31, v5
	v_cndmask_b32_e32 v3, v17, v3, vcc
	v_mov_b32_e32 v18, 0x7e00
	v_cmp_ne_u32_e32 vcc, 0, v2
	s_movk_i32 s0, 0x40f
	v_cndmask_b32_e32 v2, v17, v18, vcc
	v_cmp_eq_u32_e32 vcc, s0, v5
	v_cndmask_b32_e32 v2, v3, v2, vcc
	v_lshrrev_b32_e32 v3, 16, v1
	s_mov_b32 s0, 0x8000
	v_and_or_b32 v2, v3, s0, v2
	v_and_b32_e32 v2, 0xffff, v2
	global_store_dword v[15:16], v2, off
.LBB7_1777:
	s_mov_b64 s[0:1], 0
.LBB7_1778:
	s_andn2_b64 vcc, exec, s[0:1]
	s_cbranch_vccnz .LBB7_1787
; %bb.1779:
	s_cmp_lt_i32 s4, 6
	s_mov_b64 s[0:1], -1
	s_cbranch_scc1 .LBB7_1785
; %bb.1780:
	s_cmp_gt_i32 s4, 6
	s_cbranch_scc0 .LBB7_1782
; %bb.1781:
	global_store_dwordx2 v[15:16], v[0:1], off
	s_mov_b64 s[0:1], 0
.LBB7_1782:
	s_andn2_b64 vcc, exec, s[0:1]
	s_cbranch_vccnz .LBB7_1784
; %bb.1783:
	v_cvt_f32_f64_e32 v2, v[0:1]
	global_store_dword v[15:16], v2, off
.LBB7_1784:
	s_mov_b64 s[0:1], 0
.LBB7_1785:
	s_andn2_b64 vcc, exec, s[0:1]
	s_cbranch_vccnz .LBB7_1787
; %bb.1786:
	s_movk_i32 s0, 0x1ff
	v_and_or_b32 v2, v1, s0, v0
	v_cmp_ne_u32_e32 vcc, 0, v2
	v_cndmask_b32_e64 v2, 0, 1, vcc
	v_lshrrev_b32_e32 v3, 8, v1
	s_movk_i32 s0, 0xffe
	v_bfe_u32 v5, v1, 20, 11
	v_and_or_b32 v2, v3, s0, v2
	v_sub_u32_e32 v17, 0x3f1, v5
	v_or_b32_e32 v3, 0x1000, v2
	v_med3_i32 v17, v17, 0, 13
	v_lshrrev_b32_e32 v18, v17, v3
	v_lshlrev_b32_e32 v17, v17, v18
	v_cmp_ne_u32_e32 vcc, v17, v3
	v_cndmask_b32_e64 v3, 0, 1, vcc
	v_add_u32_e32 v5, 0xfffffc10, v5
	v_or_b32_e32 v3, v18, v3
	v_lshl_or_b32 v17, v5, 12, v2
	v_cmp_gt_i32_e32 vcc, 1, v5
	v_cndmask_b32_e32 v3, v17, v3, vcc
	v_and_b32_e32 v17, 7, v3
	v_cmp_lt_i32_e32 vcc, 5, v17
	v_cndmask_b32_e64 v18, 0, 1, vcc
	v_cmp_eq_u32_e32 vcc, 3, v17
	v_cndmask_b32_e64 v17, 0, 1, vcc
	v_or_b32_e32 v17, v17, v18
	v_lshrrev_b32_e32 v3, 2, v3
	v_add_u32_e32 v3, v3, v17
	v_mov_b32_e32 v17, 0x7c00
	v_cmp_gt_i32_e32 vcc, 31, v5
	v_cndmask_b32_e32 v3, v17, v3, vcc
	v_mov_b32_e32 v18, 0x7e00
	v_cmp_ne_u32_e32 vcc, 0, v2
	s_movk_i32 s0, 0x40f
	v_cndmask_b32_e32 v2, v17, v18, vcc
	v_cmp_eq_u32_e32 vcc, s0, v5
	v_cndmask_b32_e32 v2, v3, v2, vcc
	v_lshrrev_b32_e32 v3, 16, v1
	s_mov_b32 s0, 0x8000
	v_and_or_b32 v2, v3, s0, v2
	global_store_short v[15:16], v2, off
.LBB7_1787:
	s_mov_b64 s[0:1], 0
.LBB7_1788:
	s_andn2_b64 vcc, exec, s[0:1]
	s_cbranch_vccnz .LBB7_1804
; %bb.1789:
	s_cmp_lt_i32 s4, 2
	s_mov_b64 s[0:1], -1
	s_cbranch_scc1 .LBB7_1799
; %bb.1790:
	s_cmp_lt_i32 s4, 3
	s_cbranch_scc1 .LBB7_1796
; %bb.1791:
	s_cmp_gt_i32 s4, 3
	s_cbranch_scc0 .LBB7_1793
; %bb.1792:
	v_trunc_f64_e32 v[2:3], v[0:1]
	s_movk_i32 s0, 0xffe0
	v_ldexp_f64 v[17:18], v[2:3], s0
	s_mov_b32 s0, 0
	s_mov_b32 s1, 0xc1f00000
	v_floor_f64_e32 v[17:18], v[17:18]
	v_fma_f64 v[2:3], v[17:18], s[0:1], v[2:3]
	v_cvt_i32_f64_e32 v18, v[17:18]
	s_mov_b64 s[0:1], 0
	v_cvt_u32_f64_e32 v17, v[2:3]
	global_store_dwordx2 v[15:16], v[17:18], off
.LBB7_1793:
	s_andn2_b64 vcc, exec, s[0:1]
	s_cbranch_vccnz .LBB7_1795
; %bb.1794:
	v_cvt_i32_f64_e32 v2, v[0:1]
	global_store_dword v[15:16], v2, off
.LBB7_1795:
	s_mov_b64 s[0:1], 0
.LBB7_1796:
	s_andn2_b64 vcc, exec, s[0:1]
	s_cbranch_vccnz .LBB7_1798
; %bb.1797:
	v_cvt_i32_f64_e32 v2, v[0:1]
	global_store_short v[15:16], v2, off
.LBB7_1798:
	s_mov_b64 s[0:1], 0
.LBB7_1799:
	s_andn2_b64 vcc, exec, s[0:1]
	s_cbranch_vccnz .LBB7_1804
; %bb.1800:
	s_cmp_gt_i32 s4, 0
	s_mov_b64 s[0:1], -1
	s_cbranch_scc0 .LBB7_1802
; %bb.1801:
	v_cvt_i32_f64_e32 v2, v[0:1]
	s_mov_b64 s[0:1], 0
	global_store_byte v[15:16], v2, off
.LBB7_1802:
	s_andn2_b64 vcc, exec, s[0:1]
	s_cbranch_vccnz .LBB7_1804
; %bb.1803:
	v_trunc_f64_e32 v[0:1], v[0:1]
	s_movk_i32 s0, 0xffe0
	v_ldexp_f64 v[2:3], v[0:1], s0
	s_mov_b32 s0, 0
	s_mov_b32 s1, 0xc1f00000
	v_floor_f64_e32 v[2:3], v[2:3]
	v_fma_f64 v[0:1], v[2:3], s[0:1], v[0:1]
	v_cvt_u32_f64_e32 v0, v[0:1]
	global_store_byte v[15:16], v0, off
.LBB7_1804:
	s_mov_b64 s[6:7], -1
.LBB7_1805:
	s_andn2_b64 vcc, exec, s[6:7]
	s_cbranch_vccnz .LBB7_2120
; %bb.1806:
	v_mul_f64 v[0:1], v[19:20], v[19:20]
	s_mov_b32 s0, 0xf9a43bb8
	v_mov_b32_e32 v15, 0xb42fdfa7
	v_mov_b32_e32 v16, 0xbe5ae600
	s_mov_b32 s1, 0x3de5e0b2
	s_mov_b32 s4, 0x796cde01
	v_mov_b32_e32 v2, 0x9037ab78
	v_mov_b32_e32 v3, 0x3e21eeb6
	v_fma_f64 v[15:16], v[0:1], s[0:1], v[15:16]
	s_mov_b32 s0, 0x46cc5e42
	s_mov_b32 s1, 0xbda907db
	;; [unrolled: 1-line block ×3, first 2 shown]
	v_fma_f64 v[2:3], v[0:1], s[0:1], v[2:3]
	v_mul_f64 v[17:18], v[0:1], 0.5
	s_mov_b32 s0, 0xa17f65f6
	s_mov_b32 s6, 0x19e83e5c
	v_fma_f64 v[15:16], v[0:1], v[15:16], s[4:5]
	s_mov_b32 s1, 0xbe927e4f
	s_mov_b32 s7, 0xbf2a01a0
	;; [unrolled: 1-line block ×3, first 2 shown]
	v_fma_f64 v[2:3], v[0:1], v[2:3], s[0:1]
	v_add_f64 v[33:34], -v[17:18], 1.0
	s_mov_b32 s0, 0x11110bb3
	s_mov_b32 s5, 0x3efa01a0
	v_fma_f64 v[15:16], v[0:1], v[15:16], s[6:7]
	s_mov_b32 s1, 0x3f811111
	v_mul_f64 v[35:36], v[21:22], 0.5
	v_mul_f64 v[37:38], v[19:20], -v[0:1]
	v_fma_f64 v[2:3], v[0:1], v[2:3], s[4:5]
	v_add_f64 v[39:40], -v[33:34], 1.0
	v_and_b32_e32 v5, 1, v7
	v_lshlrev_b32_e32 v7, 30, v7
	v_fma_f64 v[15:16], v[0:1], v[15:16], s[0:1]
	s_mov_b32 s0, 0x16c16967
	s_mov_b32 s1, 0xbf56c16c
	v_cmp_eq_u32_e32 vcc, 0, v5
	v_fma_f64 v[2:3], v[0:1], v[2:3], s[0:1]
	v_add_f64 v[17:18], v[39:40], -v[17:18]
	s_mov_b32 s1, 0x3fa55555
	s_mov_b32 s0, 0x55555555
	v_fma_f64 v[15:16], v[37:38], v[15:16], v[35:36]
	v_mul_f64 v[35:36], v[0:1], v[0:1]
	s_lshr_b32 s4, s16, 8
	s_and_b32 s14, s4, 0xff
	v_fma_f64 v[2:3], v[0:1], v[2:3], s[0:1]
	v_fma_f64 v[17:18], v[19:20], -v[21:22], v[17:18]
	s_mov_b32 s1, 0xbfc55555
	s_cmp_lt_i32 s14, 11
	v_fma_f64 v[0:1], v[0:1], v[15:16], -v[21:22]
	v_mov_b32_e32 v15, 0x7ff80000
	v_mov_b32_e32 v16, s9
	v_fma_f64 v[2:3], v[35:36], v[2:3], v[17:18]
	v_fma_f64 v[0:1], v[37:38], s[0:1], v[0:1]
	s_movk_i32 s0, 0x1f8
	v_cmp_class_f64_e64 s[0:1], v[9:10], s0
	v_add_f64 v[2:3], v[33:34], v[2:3]
	v_add_f64 v[0:1], v[19:20], -v[0:1]
	v_cndmask_b32_e32 v0, v2, v0, vcc
	v_xor_b32_e32 v2, v7, v10
	v_and_b32_e32 v2, 0x80000000, v2
	v_cndmask_b32_e32 v1, v3, v1, vcc
	v_xor_b32_e32 v1, v1, v2
	v_add_co_u32_e32 v7, vcc, s8, v8
	v_cndmask_b32_e64 v0, 0, v0, s[0:1]
	v_cndmask_b32_e64 v1, v15, v1, s[0:1]
	v_addc_co_u32_e32 v8, vcc, 0, v16, vcc
	s_cbranch_scc1 .LBB7_1884
; %bb.1807:
	s_and_b32 s15, 0xffff, s14
	s_mov_b64 s[10:11], -1
	s_mov_b64 s[4:5], 0
	s_cmp_gt_i32 s15, 25
	s_mov_b64 s[6:7], 0
	s_mov_b64 s[0:1], 0
	s_cbranch_scc0 .LBB7_1840
; %bb.1808:
	s_cmp_gt_i32 s15, 28
	s_cbranch_scc0 .LBB7_1823
; %bb.1809:
	s_cmp_gt_i32 s15, 43
	;; [unrolled: 3-line block ×3, first 2 shown]
	s_cbranch_scc0 .LBB7_1813
; %bb.1811:
	s_mov_b64 s[0:1], -1
	s_mov_b64 s[10:11], 0
	s_cmp_eq_u32 s15, 46
	s_cbranch_scc0 .LBB7_1813
; %bb.1812:
	v_cvt_f32_f64_e32 v2, v[0:1]
	s_movk_i32 s0, 0x7fff
	v_mov_b32_e32 v3, 0x7fc0
	s_mov_b64 s[6:7], -1
	v_bfe_u32 v5, v2, 16, 1
	v_cmp_o_f32_e32 vcc, v2, v2
	v_add3_u32 v2, v2, v5, s0
	v_cndmask_b32_sdwa v2, v3, v2, vcc dst_sel:DWORD dst_unused:UNUSED_PAD src0_sel:DWORD src1_sel:WORD_1
	global_store_dword v[7:8], v2, off
	s_mov_b64 s[0:1], 0
.LBB7_1813:
	s_and_b64 vcc, exec, s[10:11]
	s_cbranch_vccz .LBB7_1818
; %bb.1814:
	s_cmp_eq_u32 s15, 44
	s_mov_b64 s[0:1], -1
	s_cbranch_scc0 .LBB7_1818
; %bb.1815:
	v_cvt_f32_f64_e32 v2, v[0:1]
	s_movk_i32 s0, 0xff
	v_mov_b32_e32 v5, 0xff
	v_bfe_u32 v3, v2, 23, 8
	v_cmp_ne_u32_e32 vcc, s0, v3
	s_and_saveexec_b64 s[6:7], vcc
; %bb.1816:
	s_mov_b32 s0, 0x3fffff
	v_lshrrev_b32_e32 v5, 23, v2
	v_and_b32_e32 v9, 0x400000, v2
	v_and_or_b32 v2, v2, s0, v3
	v_cmp_ne_u32_e32 vcc, 0, v9
	v_cmp_ne_u32_e64 s[0:1], 0, v2
	s_and_b64 s[0:1], vcc, s[0:1]
	v_cndmask_b32_e64 v2, 0, 1, s[0:1]
	v_add_u32_e32 v5, v5, v2
; %bb.1817:
	s_or_b64 exec, exec, s[6:7]
	s_mov_b64 s[0:1], 0
	s_mov_b64 s[6:7], -1
	global_store_byte v[7:8], v5, off
.LBB7_1818:
	s_mov_b64 s[10:11], 0
.LBB7_1819:
	s_and_b64 vcc, exec, s[10:11]
	s_cbranch_vccz .LBB7_1822
; %bb.1820:
	s_cmp_eq_u32 s15, 29
	s_mov_b64 s[0:1], -1
	s_cbranch_scc0 .LBB7_1822
; %bb.1821:
	v_trunc_f64_e32 v[2:3], v[0:1]
	s_movk_i32 s0, 0xffe0
	s_mov_b64 s[6:7], -1
	v_ldexp_f64 v[9:10], v[2:3], s0
	s_mov_b32 s0, 0
	s_mov_b32 s1, 0xc1f00000
	v_floor_f64_e32 v[9:10], v[9:10]
	v_fma_f64 v[2:3], v[9:10], s[0:1], v[2:3]
	v_cvt_u32_f64_e32 v10, v[9:10]
	s_mov_b64 s[0:1], 0
	v_cvt_u32_f64_e32 v9, v[2:3]
	global_store_dwordx2 v[7:8], v[9:10], off
.LBB7_1822:
	s_mov_b64 s[10:11], 0
.LBB7_1823:
	s_and_b64 vcc, exec, s[10:11]
	s_cbranch_vccz .LBB7_1839
; %bb.1824:
	s_cmp_lt_i32 s15, 27
	s_mov_b64 s[6:7], -1
	s_cbranch_scc1 .LBB7_1830
; %bb.1825:
	s_cmp_gt_i32 s15, 27
	s_cbranch_scc0 .LBB7_1827
; %bb.1826:
	v_cvt_u32_f64_e32 v2, v[0:1]
	s_mov_b64 s[6:7], 0
	global_store_dword v[7:8], v2, off
.LBB7_1827:
	s_andn2_b64 vcc, exec, s[6:7]
	s_cbranch_vccnz .LBB7_1829
; %bb.1828:
	v_cvt_u32_f64_e32 v2, v[0:1]
	global_store_short v[7:8], v2, off
.LBB7_1829:
	s_mov_b64 s[6:7], 0
.LBB7_1830:
	s_andn2_b64 vcc, exec, s[6:7]
	s_cbranch_vccnz .LBB7_1838
; %bb.1831:
	v_cvt_f32_f64_e32 v2, v[0:1]
	s_mov_b32 s6, 0x43800000
	v_mov_b32_e32 v5, 0x80
	v_and_b32_e32 v3, 0x7fffffff, v2
	v_cmp_gt_u32_e32 vcc, s6, v3
	s_and_saveexec_b64 s[6:7], vcc
	s_cbranch_execz .LBB7_1837
; %bb.1832:
	s_mov_b32 s10, 0x3bffffff
	v_cmp_lt_u32_e32 vcc, s10, v3
	s_mov_b64 s[10:11], 0
                                        ; implicit-def: $vgpr3
	s_and_saveexec_b64 s[12:13], vcc
	s_xor_b64 s[12:13], exec, s[12:13]
	s_cbranch_execz .LBB7_2172
; %bb.1833:
	v_bfe_u32 v3, v2, 20, 1
	s_mov_b32 s16, 0x487ffff
	v_add3_u32 v3, v2, v3, s16
	s_mov_b64 s[10:11], exec
	v_lshrrev_b32_e32 v3, 20, v3
	s_andn2_saveexec_b64 s[12:13], s[12:13]
	s_cbranch_execnz .LBB7_2173
.LBB7_1834:
	s_or_b64 exec, exec, s[12:13]
	v_mov_b32_e32 v5, 0
	s_and_saveexec_b64 s[12:13], s[10:11]
.LBB7_1835:
	v_lshrrev_b32_e32 v2, 24, v2
	s_movk_i32 s10, 0x80
	v_and_or_b32 v5, v2, s10, v3
.LBB7_1836:
	s_or_b64 exec, exec, s[12:13]
.LBB7_1837:
	s_or_b64 exec, exec, s[6:7]
	global_store_byte v[7:8], v5, off
.LBB7_1838:
	s_mov_b64 s[6:7], -1
.LBB7_1839:
	s_mov_b64 s[10:11], 0
.LBB7_1840:
	s_and_b64 vcc, exec, s[10:11]
	s_cbranch_vccz .LBB7_1880
; %bb.1841:
	s_cmp_gt_i32 s15, 22
	s_mov_b64 s[4:5], -1
	s_cbranch_scc0 .LBB7_1873
; %bb.1842:
	s_cmp_lt_i32 s15, 24
	s_cbranch_scc1 .LBB7_1862
; %bb.1843:
	s_cmp_gt_i32 s15, 24
	s_cbranch_scc0 .LBB7_1851
; %bb.1844:
	v_cvt_f32_f64_e32 v2, v[0:1]
	s_mov_b32 s4, 0x47800000
	v_mov_b32_e32 v5, 0x80
	v_and_b32_e32 v3, 0x7fffffff, v2
	v_cmp_gt_u32_e32 vcc, s4, v3
	s_and_saveexec_b64 s[4:5], vcc
	s_cbranch_execz .LBB7_1850
; %bb.1845:
	s_mov_b32 s6, 0x37ffffff
	v_cmp_lt_u32_e32 vcc, s6, v3
	s_mov_b64 s[6:7], 0
                                        ; implicit-def: $vgpr3
	s_and_saveexec_b64 s[10:11], vcc
	s_xor_b64 s[10:11], exec, s[10:11]
	s_cbranch_execz .LBB7_2175
; %bb.1846:
	v_bfe_u32 v3, v2, 21, 1
	s_mov_b32 s12, 0x88fffff
	v_add3_u32 v3, v2, v3, s12
	s_mov_b64 s[6:7], exec
	v_lshrrev_b32_e32 v3, 21, v3
	s_andn2_saveexec_b64 s[10:11], s[10:11]
	s_cbranch_execnz .LBB7_2176
.LBB7_1847:
	s_or_b64 exec, exec, s[10:11]
	v_mov_b32_e32 v5, 0
	s_and_saveexec_b64 s[10:11], s[6:7]
.LBB7_1848:
	v_lshrrev_b32_e32 v2, 24, v2
	s_movk_i32 s6, 0x80
	v_and_or_b32 v5, v2, s6, v3
.LBB7_1849:
	s_or_b64 exec, exec, s[10:11]
.LBB7_1850:
	s_or_b64 exec, exec, s[4:5]
	s_mov_b64 s[4:5], 0
	global_store_byte v[7:8], v5, off
.LBB7_1851:
	s_and_b64 vcc, exec, s[4:5]
	s_cbranch_vccz .LBB7_1861
; %bb.1852:
	v_cvt_f32_f64_e32 v2, v[0:1]
	s_mov_b32 s4, 0x43f00000
                                        ; implicit-def: $vgpr3
	v_and_b32_e32 v5, 0x7fffffff, v2
	v_cmp_gt_u32_e32 vcc, s4, v5
	s_and_saveexec_b64 s[4:5], vcc
	s_xor_b64 s[4:5], exec, s[4:5]
	s_cbranch_execz .LBB7_1858
; %bb.1853:
	s_mov_b32 s6, 0x3c7fffff
	v_cmp_lt_u32_e32 vcc, s6, v5
                                        ; implicit-def: $vgpr3
	s_and_saveexec_b64 s[6:7], vcc
	s_xor_b64 s[6:7], exec, s[6:7]
; %bb.1854:
	v_bfe_u32 v3, v2, 20, 1
	s_mov_b32 s10, 0x407ffff
	v_add3_u32 v3, v2, v3, s10
	v_lshrrev_b32_e32 v5, 20, v3
	v_and_b32_e32 v3, 0xff00000, v3
	s_mov_b32 s10, 0x7f00000
	v_mov_b32_e32 v9, 0x7e
	v_cmp_ne_u32_e32 vcc, s10, v3
	v_cndmask_b32_e32 v3, v9, v5, vcc
; %bb.1855:
	s_andn2_saveexec_b64 s[6:7], s[6:7]
; %bb.1856:
	s_mov_b32 s10, 0x46800000
	v_add_f32_e64 v3, |v2|, s10
; %bb.1857:
	s_or_b64 exec, exec, s[6:7]
                                        ; implicit-def: $vgpr5
.LBB7_1858:
	s_andn2_saveexec_b64 s[4:5], s[4:5]
; %bb.1859:
	s_mov_b32 s6, 0x7f800000
	v_mov_b32_e32 v3, 0x7e
	v_mov_b32_e32 v9, 0x7f
	v_cmp_lt_u32_e32 vcc, s6, v5
	v_cndmask_b32_e32 v3, v3, v9, vcc
; %bb.1860:
	s_or_b64 exec, exec, s[4:5]
	v_lshrrev_b32_e32 v2, 24, v2
	s_movk_i32 s4, 0x80
	v_and_or_b32 v2, v2, s4, v3
	global_store_byte v[7:8], v2, off
.LBB7_1861:
	s_mov_b64 s[4:5], 0
.LBB7_1862:
	s_andn2_b64 vcc, exec, s[4:5]
	s_cbranch_vccnz .LBB7_1872
; %bb.1863:
	v_cvt_f32_f64_e32 v2, v[0:1]
	s_mov_b32 s4, 0x47800000
                                        ; implicit-def: $vgpr3
	v_and_b32_e32 v5, 0x7fffffff, v2
	v_cmp_gt_u32_e32 vcc, s4, v5
	s_and_saveexec_b64 s[4:5], vcc
	s_xor_b64 s[4:5], exec, s[4:5]
	s_cbranch_execz .LBB7_1869
; %bb.1864:
	s_mov_b32 s6, 0x387fffff
	v_cmp_lt_u32_e32 vcc, s6, v5
                                        ; implicit-def: $vgpr3
	s_and_saveexec_b64 s[6:7], vcc
	s_xor_b64 s[6:7], exec, s[6:7]
; %bb.1865:
	v_bfe_u32 v3, v2, 21, 1
	s_mov_b32 s10, 0x80fffff
	v_add3_u32 v3, v2, v3, s10
	v_lshrrev_b32_e32 v3, 21, v3
; %bb.1866:
	s_andn2_saveexec_b64 s[6:7], s[6:7]
; %bb.1867:
	s_mov_b32 s10, 0x43000000
	v_add_f32_e64 v3, |v2|, s10
; %bb.1868:
	s_or_b64 exec, exec, s[6:7]
                                        ; implicit-def: $vgpr5
.LBB7_1869:
	s_andn2_saveexec_b64 s[4:5], s[4:5]
; %bb.1870:
	s_mov_b32 s6, 0x7f800000
	v_mov_b32_e32 v3, 0x7c
	v_mov_b32_e32 v9, 0x7f
	v_cmp_lt_u32_e32 vcc, s6, v5
	v_cndmask_b32_e32 v3, v3, v9, vcc
; %bb.1871:
	s_or_b64 exec, exec, s[4:5]
	v_lshrrev_b32_e32 v2, 24, v2
	s_movk_i32 s4, 0x80
	v_and_or_b32 v2, v2, s4, v3
	global_store_byte v[7:8], v2, off
.LBB7_1872:
	s_mov_b64 s[4:5], 0
	s_mov_b64 s[6:7], -1
.LBB7_1873:
	s_andn2_b64 vcc, exec, s[4:5]
	s_mov_b64 s[4:5], 0
	s_cbranch_vccnz .LBB7_1880
; %bb.1874:
	s_cmp_gt_i32 s15, 14
	s_mov_b64 s[10:11], -1
	s_cbranch_scc0 .LBB7_1878
; %bb.1875:
	s_cmp_eq_u32 s15, 15
	s_mov_b64 s[0:1], -1
	s_cbranch_scc0 .LBB7_1877
; %bb.1876:
	v_cvt_f32_f64_e32 v2, v[0:1]
	s_movk_i32 s0, 0x7fff
	v_mov_b32_e32 v3, 0x7fc0
	s_mov_b64 s[6:7], -1
	v_bfe_u32 v5, v2, 16, 1
	v_cmp_o_f32_e32 vcc, v2, v2
	v_add3_u32 v2, v2, v5, s0
	v_cndmask_b32_sdwa v2, v3, v2, vcc dst_sel:DWORD dst_unused:UNUSED_PAD src0_sel:DWORD src1_sel:WORD_1
	global_store_short v[7:8], v2, off
	s_mov_b64 s[0:1], 0
.LBB7_1877:
	s_mov_b64 s[10:11], 0
.LBB7_1878:
	s_and_b64 vcc, exec, s[10:11]
	s_cbranch_vccz .LBB7_1880
; %bb.1879:
	s_cmp_lg_u32 s15, 11
	s_mov_b64 s[4:5], -1
	s_cselect_b64 s[0:1], -1, 0
.LBB7_1880:
	s_and_b64 vcc, exec, s[0:1]
	s_cbranch_vccnz .LBB7_2174
; %bb.1881:
	s_andn2_b64 vcc, exec, s[4:5]
	s_cbranch_vccnz .LBB7_1883
.LBB7_1882:
	v_cmp_neq_f64_e32 vcc, 0, v[0:1]
	s_mov_b64 s[6:7], -1
	v_cndmask_b32_e64 v2, 0, 1, vcc
	global_store_byte v[7:8], v2, off
.LBB7_1883:
	s_mov_b64 s[0:1], 0
	s_branch .LBB7_1885
.LBB7_1884:
	s_mov_b64 s[0:1], -1
	s_mov_b64 s[6:7], 0
.LBB7_1885:
	s_and_b64 vcc, exec, s[0:1]
	s_cbranch_vccz .LBB7_1924
; %bb.1886:
	s_and_b32 s4, 0xffff, s14
	s_cmp_lt_i32 s4, 5
	s_mov_b64 s[0:1], -1
	s_cbranch_scc1 .LBB7_1907
; %bb.1887:
	s_cmp_lt_i32 s4, 8
	s_cbranch_scc1 .LBB7_1897
; %bb.1888:
	s_cmp_lt_i32 s4, 9
	s_cbranch_scc1 .LBB7_1894
; %bb.1889:
	s_cmp_gt_i32 s4, 9
	s_cbranch_scc0 .LBB7_1891
; %bb.1890:
	v_mov_b32_e32 v2, 0
	v_mov_b32_e32 v3, v2
	global_store_dwordx4 v[7:8], v[0:3], off
	s_mov_b64 s[0:1], 0
.LBB7_1891:
	s_andn2_b64 vcc, exec, s[0:1]
	s_cbranch_vccnz .LBB7_1893
; %bb.1892:
	v_cvt_f32_f64_e32 v2, v[0:1]
	v_mov_b32_e32 v3, 0
	global_store_dwordx2 v[7:8], v[2:3], off
.LBB7_1893:
	s_mov_b64 s[0:1], 0
.LBB7_1894:
	s_andn2_b64 vcc, exec, s[0:1]
	s_cbranch_vccnz .LBB7_1896
; %bb.1895:
	s_movk_i32 s0, 0x1ff
	v_and_or_b32 v2, v1, s0, v0
	v_cmp_ne_u32_e32 vcc, 0, v2
	v_cndmask_b32_e64 v2, 0, 1, vcc
	v_lshrrev_b32_e32 v3, 8, v1
	s_movk_i32 s0, 0xffe
	v_bfe_u32 v5, v1, 20, 11
	v_and_or_b32 v2, v3, s0, v2
	v_sub_u32_e32 v9, 0x3f1, v5
	v_or_b32_e32 v3, 0x1000, v2
	v_med3_i32 v9, v9, 0, 13
	v_lshrrev_b32_e32 v10, v9, v3
	v_lshlrev_b32_e32 v9, v9, v10
	v_cmp_ne_u32_e32 vcc, v9, v3
	v_cndmask_b32_e64 v3, 0, 1, vcc
	v_add_u32_e32 v5, 0xfffffc10, v5
	v_or_b32_e32 v3, v10, v3
	v_lshl_or_b32 v9, v5, 12, v2
	v_cmp_gt_i32_e32 vcc, 1, v5
	v_cndmask_b32_e32 v3, v9, v3, vcc
	v_and_b32_e32 v9, 7, v3
	v_cmp_lt_i32_e32 vcc, 5, v9
	v_cndmask_b32_e64 v10, 0, 1, vcc
	v_cmp_eq_u32_e32 vcc, 3, v9
	v_cndmask_b32_e64 v9, 0, 1, vcc
	v_or_b32_e32 v9, v9, v10
	v_lshrrev_b32_e32 v3, 2, v3
	v_add_u32_e32 v3, v3, v9
	v_mov_b32_e32 v9, 0x7c00
	v_cmp_gt_i32_e32 vcc, 31, v5
	v_cndmask_b32_e32 v3, v9, v3, vcc
	v_mov_b32_e32 v10, 0x7e00
	v_cmp_ne_u32_e32 vcc, 0, v2
	s_movk_i32 s0, 0x40f
	v_cndmask_b32_e32 v2, v9, v10, vcc
	v_cmp_eq_u32_e32 vcc, s0, v5
	v_cndmask_b32_e32 v2, v3, v2, vcc
	v_lshrrev_b32_e32 v3, 16, v1
	s_mov_b32 s0, 0x8000
	v_and_or_b32 v2, v3, s0, v2
	v_and_b32_e32 v2, 0xffff, v2
	global_store_dword v[7:8], v2, off
.LBB7_1896:
	s_mov_b64 s[0:1], 0
.LBB7_1897:
	s_andn2_b64 vcc, exec, s[0:1]
	s_cbranch_vccnz .LBB7_1906
; %bb.1898:
	s_cmp_lt_i32 s4, 6
	s_mov_b64 s[0:1], -1
	s_cbranch_scc1 .LBB7_1904
; %bb.1899:
	s_cmp_gt_i32 s4, 6
	s_cbranch_scc0 .LBB7_1901
; %bb.1900:
	global_store_dwordx2 v[7:8], v[0:1], off
	s_mov_b64 s[0:1], 0
.LBB7_1901:
	s_andn2_b64 vcc, exec, s[0:1]
	s_cbranch_vccnz .LBB7_1903
; %bb.1902:
	v_cvt_f32_f64_e32 v2, v[0:1]
	global_store_dword v[7:8], v2, off
.LBB7_1903:
	s_mov_b64 s[0:1], 0
.LBB7_1904:
	s_andn2_b64 vcc, exec, s[0:1]
	s_cbranch_vccnz .LBB7_1906
; %bb.1905:
	s_movk_i32 s0, 0x1ff
	v_and_or_b32 v2, v1, s0, v0
	v_cmp_ne_u32_e32 vcc, 0, v2
	v_cndmask_b32_e64 v2, 0, 1, vcc
	v_lshrrev_b32_e32 v3, 8, v1
	s_movk_i32 s0, 0xffe
	v_bfe_u32 v5, v1, 20, 11
	v_and_or_b32 v2, v3, s0, v2
	v_sub_u32_e32 v9, 0x3f1, v5
	v_or_b32_e32 v3, 0x1000, v2
	v_med3_i32 v9, v9, 0, 13
	v_lshrrev_b32_e32 v10, v9, v3
	v_lshlrev_b32_e32 v9, v9, v10
	v_cmp_ne_u32_e32 vcc, v9, v3
	v_cndmask_b32_e64 v3, 0, 1, vcc
	v_add_u32_e32 v5, 0xfffffc10, v5
	v_or_b32_e32 v3, v10, v3
	v_lshl_or_b32 v9, v5, 12, v2
	v_cmp_gt_i32_e32 vcc, 1, v5
	v_cndmask_b32_e32 v3, v9, v3, vcc
	v_and_b32_e32 v9, 7, v3
	v_cmp_lt_i32_e32 vcc, 5, v9
	v_cndmask_b32_e64 v10, 0, 1, vcc
	v_cmp_eq_u32_e32 vcc, 3, v9
	v_cndmask_b32_e64 v9, 0, 1, vcc
	v_or_b32_e32 v9, v9, v10
	v_lshrrev_b32_e32 v3, 2, v3
	v_add_u32_e32 v3, v3, v9
	v_mov_b32_e32 v9, 0x7c00
	v_cmp_gt_i32_e32 vcc, 31, v5
	v_cndmask_b32_e32 v3, v9, v3, vcc
	v_mov_b32_e32 v10, 0x7e00
	v_cmp_ne_u32_e32 vcc, 0, v2
	s_movk_i32 s0, 0x40f
	v_cndmask_b32_e32 v2, v9, v10, vcc
	v_cmp_eq_u32_e32 vcc, s0, v5
	v_cndmask_b32_e32 v2, v3, v2, vcc
	v_lshrrev_b32_e32 v3, 16, v1
	s_mov_b32 s0, 0x8000
	v_and_or_b32 v2, v3, s0, v2
	global_store_short v[7:8], v2, off
.LBB7_1906:
	s_mov_b64 s[0:1], 0
.LBB7_1907:
	s_andn2_b64 vcc, exec, s[0:1]
	s_cbranch_vccnz .LBB7_1923
; %bb.1908:
	s_cmp_lt_i32 s4, 2
	s_mov_b64 s[0:1], -1
	s_cbranch_scc1 .LBB7_1918
; %bb.1909:
	s_cmp_lt_i32 s4, 3
	s_cbranch_scc1 .LBB7_1915
; %bb.1910:
	s_cmp_gt_i32 s4, 3
	s_cbranch_scc0 .LBB7_1912
; %bb.1911:
	v_trunc_f64_e32 v[2:3], v[0:1]
	s_movk_i32 s0, 0xffe0
	v_ldexp_f64 v[9:10], v[2:3], s0
	s_mov_b32 s0, 0
	s_mov_b32 s1, 0xc1f00000
	v_floor_f64_e32 v[9:10], v[9:10]
	v_fma_f64 v[2:3], v[9:10], s[0:1], v[2:3]
	v_cvt_i32_f64_e32 v10, v[9:10]
	s_mov_b64 s[0:1], 0
	v_cvt_u32_f64_e32 v9, v[2:3]
	global_store_dwordx2 v[7:8], v[9:10], off
.LBB7_1912:
	s_andn2_b64 vcc, exec, s[0:1]
	s_cbranch_vccnz .LBB7_1914
; %bb.1913:
	v_cvt_i32_f64_e32 v2, v[0:1]
	global_store_dword v[7:8], v2, off
.LBB7_1914:
	s_mov_b64 s[0:1], 0
.LBB7_1915:
	s_andn2_b64 vcc, exec, s[0:1]
	s_cbranch_vccnz .LBB7_1917
; %bb.1916:
	v_cvt_i32_f64_e32 v2, v[0:1]
	global_store_short v[7:8], v2, off
.LBB7_1917:
	s_mov_b64 s[0:1], 0
.LBB7_1918:
	s_andn2_b64 vcc, exec, s[0:1]
	s_cbranch_vccnz .LBB7_1923
; %bb.1919:
	s_cmp_gt_i32 s4, 0
	s_mov_b64 s[0:1], -1
	s_cbranch_scc0 .LBB7_1921
; %bb.1920:
	v_cvt_i32_f64_e32 v2, v[0:1]
	s_mov_b64 s[0:1], 0
	global_store_byte v[7:8], v2, off
.LBB7_1921:
	s_andn2_b64 vcc, exec, s[0:1]
	s_cbranch_vccnz .LBB7_1923
; %bb.1922:
	v_trunc_f64_e32 v[0:1], v[0:1]
	s_movk_i32 s0, 0xffe0
	v_ldexp_f64 v[2:3], v[0:1], s0
	s_mov_b32 s0, 0
	s_mov_b32 s1, 0xc1f00000
	v_floor_f64_e32 v[2:3], v[2:3]
	v_fma_f64 v[0:1], v[2:3], s[0:1], v[0:1]
	v_cvt_u32_f64_e32 v0, v[0:1]
	global_store_byte v[7:8], v0, off
.LBB7_1923:
	s_mov_b64 s[6:7], -1
.LBB7_1924:
	s_andn2_b64 vcc, exec, s[6:7]
	s_cbranch_vccnz .LBB7_2120
; %bb.1925:
	v_mul_f64 v[0:1], v[23:24], v[23:24]
	s_mov_b32 s0, 0xf9a43bb8
	v_mov_b32_e32 v7, 0xb42fdfa7
	v_mov_b32_e32 v8, 0xbe5ae600
	s_mov_b32 s1, 0x3de5e0b2
	s_mov_b32 s4, 0x796cde01
	v_mov_b32_e32 v2, 0x9037ab78
	v_mov_b32_e32 v3, 0x3e21eeb6
	v_fma_f64 v[7:8], v[0:1], s[0:1], v[7:8]
	s_mov_b32 s0, 0x46cc5e42
	s_mov_b32 s1, 0xbda907db
	;; [unrolled: 1-line block ×3, first 2 shown]
	v_fma_f64 v[2:3], v[0:1], s[0:1], v[2:3]
	v_mul_f64 v[9:10], v[0:1], 0.5
	s_mov_b32 s0, 0xa17f65f6
	s_mov_b32 s6, 0x19e83e5c
	v_fma_f64 v[7:8], v[0:1], v[7:8], s[4:5]
	s_mov_b32 s1, 0xbe927e4f
	s_mov_b32 s7, 0xbf2a01a0
	;; [unrolled: 1-line block ×3, first 2 shown]
	v_fma_f64 v[2:3], v[0:1], v[2:3], s[0:1]
	v_add_f64 v[15:16], -v[9:10], 1.0
	s_mov_b32 s0, 0x11110bb3
	s_mov_b32 s5, 0x3efa01a0
	v_fma_f64 v[7:8], v[0:1], v[7:8], s[6:7]
	s_mov_b32 s1, 0x3f811111
	v_mul_f64 v[17:18], v[25:26], 0.5
	v_mul_f64 v[19:20], v[23:24], -v[0:1]
	v_fma_f64 v[2:3], v[0:1], v[2:3], s[4:5]
	v_add_f64 v[21:22], -v[15:16], 1.0
	v_and_b32_e32 v5, 1, v32
	v_cmp_eq_u32_e32 vcc, 0, v5
	v_fma_f64 v[7:8], v[0:1], v[7:8], s[0:1]
	s_mov_b32 s0, 0x16c16967
	s_mov_b32 s1, 0xbf56c16c
	s_cmp_lt_i32 s14, 11
	v_fma_f64 v[2:3], v[0:1], v[2:3], s[0:1]
	v_add_f64 v[9:10], v[21:22], -v[9:10]
	s_mov_b32 s1, 0x3fa55555
	s_mov_b32 s0, 0x55555555
	v_fma_f64 v[7:8], v[19:20], v[7:8], v[17:18]
	v_mul_f64 v[17:18], v[0:1], v[0:1]
	v_fma_f64 v[2:3], v[0:1], v[2:3], s[0:1]
	v_fma_f64 v[9:10], v[23:24], -v[25:26], v[9:10]
	s_mov_b32 s1, 0xbfc55555
	v_fma_f64 v[0:1], v[0:1], v[7:8], -v[25:26]
	v_lshlrev_b32_e32 v7, 30, v32
	v_xor_b32_e32 v5, v7, v12
	v_and_b32_e32 v5, 0x80000000, v5
	v_mov_b32_e32 v8, 0x7ff80000
	v_fma_f64 v[2:3], v[17:18], v[2:3], v[9:10]
	v_fma_f64 v[0:1], v[19:20], s[0:1], v[0:1]
	s_movk_i32 s0, 0x1f8
	v_cmp_class_f64_e64 s[0:1], v[11:12], s0
	v_add_f64 v[2:3], v[15:16], v[2:3]
	v_add_f64 v[0:1], v[23:24], -v[0:1]
	v_cndmask_b32_e32 v1, v3, v1, vcc
	v_cndmask_b32_e32 v0, v2, v0, vcc
	v_mov_b32_e32 v2, s9
	v_xor_b32_e32 v1, v1, v5
	v_add_co_u32_e32 v5, vcc, s8, v6
	v_cndmask_b32_e64 v0, 0, v0, s[0:1]
	v_cndmask_b32_e64 v1, v8, v1, s[0:1]
	v_addc_co_u32_e32 v6, vcc, 0, v2, vcc
	s_cbranch_scc1 .LBB7_2003
; %bb.1926:
	s_and_b32 s15, 0xffff, s14
	s_mov_b64 s[10:11], -1
	s_mov_b64 s[4:5], 0
	s_cmp_gt_i32 s15, 25
	s_mov_b64 s[6:7], 0
	s_mov_b64 s[0:1], 0
	s_cbranch_scc0 .LBB7_1959
; %bb.1927:
	s_cmp_gt_i32 s15, 28
	s_cbranch_scc0 .LBB7_1942
; %bb.1928:
	s_cmp_gt_i32 s15, 43
	;; [unrolled: 3-line block ×3, first 2 shown]
	s_cbranch_scc0 .LBB7_1932
; %bb.1930:
	s_mov_b64 s[0:1], -1
	s_mov_b64 s[10:11], 0
	s_cmp_eq_u32 s15, 46
	s_cbranch_scc0 .LBB7_1932
; %bb.1931:
	v_cvt_f32_f64_e32 v2, v[0:1]
	s_movk_i32 s0, 0x7fff
	v_mov_b32_e32 v3, 0x7fc0
	s_mov_b64 s[6:7], -1
	v_bfe_u32 v7, v2, 16, 1
	v_cmp_o_f32_e32 vcc, v2, v2
	v_add3_u32 v2, v2, v7, s0
	v_cndmask_b32_sdwa v2, v3, v2, vcc dst_sel:DWORD dst_unused:UNUSED_PAD src0_sel:DWORD src1_sel:WORD_1
	global_store_dword v[5:6], v2, off
	s_mov_b64 s[0:1], 0
.LBB7_1932:
	s_and_b64 vcc, exec, s[10:11]
	s_cbranch_vccz .LBB7_1937
; %bb.1933:
	s_cmp_eq_u32 s15, 44
	s_mov_b64 s[0:1], -1
	s_cbranch_scc0 .LBB7_1937
; %bb.1934:
	v_cvt_f32_f64_e32 v2, v[0:1]
	s_movk_i32 s0, 0xff
	v_mov_b32_e32 v7, 0xff
	v_bfe_u32 v3, v2, 23, 8
	v_cmp_ne_u32_e32 vcc, s0, v3
	s_and_saveexec_b64 s[6:7], vcc
; %bb.1935:
	s_mov_b32 s0, 0x3fffff
	v_lshrrev_b32_e32 v7, 23, v2
	v_and_b32_e32 v8, 0x400000, v2
	v_and_or_b32 v2, v2, s0, v3
	v_cmp_ne_u32_e32 vcc, 0, v8
	v_cmp_ne_u32_e64 s[0:1], 0, v2
	s_and_b64 s[0:1], vcc, s[0:1]
	v_cndmask_b32_e64 v2, 0, 1, s[0:1]
	v_add_u32_e32 v7, v7, v2
; %bb.1936:
	s_or_b64 exec, exec, s[6:7]
	s_mov_b64 s[0:1], 0
	s_mov_b64 s[6:7], -1
	global_store_byte v[5:6], v7, off
.LBB7_1937:
	s_mov_b64 s[10:11], 0
.LBB7_1938:
	s_and_b64 vcc, exec, s[10:11]
	s_cbranch_vccz .LBB7_1941
; %bb.1939:
	s_cmp_eq_u32 s15, 29
	s_mov_b64 s[0:1], -1
	s_cbranch_scc0 .LBB7_1941
; %bb.1940:
	v_trunc_f64_e32 v[2:3], v[0:1]
	s_movk_i32 s0, 0xffe0
	s_mov_b64 s[6:7], -1
	v_ldexp_f64 v[7:8], v[2:3], s0
	s_mov_b32 s0, 0
	s_mov_b32 s1, 0xc1f00000
	v_floor_f64_e32 v[7:8], v[7:8]
	v_fma_f64 v[2:3], v[7:8], s[0:1], v[2:3]
	v_cvt_u32_f64_e32 v8, v[7:8]
	s_mov_b64 s[0:1], 0
	v_cvt_u32_f64_e32 v7, v[2:3]
	global_store_dwordx2 v[5:6], v[7:8], off
.LBB7_1941:
	s_mov_b64 s[10:11], 0
.LBB7_1942:
	s_and_b64 vcc, exec, s[10:11]
	s_cbranch_vccz .LBB7_1958
; %bb.1943:
	s_cmp_lt_i32 s15, 27
	s_mov_b64 s[6:7], -1
	s_cbranch_scc1 .LBB7_1949
; %bb.1944:
	v_cvt_u32_f64_e32 v2, v[0:1]
	s_cmp_gt_i32 s15, 27
	s_cbranch_scc0 .LBB7_1946
; %bb.1945:
	s_mov_b64 s[6:7], 0
	global_store_dword v[5:6], v2, off
.LBB7_1946:
	s_andn2_b64 vcc, exec, s[6:7]
	s_cbranch_vccnz .LBB7_1948
; %bb.1947:
	global_store_short v[5:6], v2, off
.LBB7_1948:
	s_mov_b64 s[6:7], 0
.LBB7_1949:
	s_andn2_b64 vcc, exec, s[6:7]
	s_cbranch_vccnz .LBB7_1957
; %bb.1950:
	v_cvt_f32_f64_e32 v2, v[0:1]
	s_mov_b32 s6, 0x43800000
	v_mov_b32_e32 v7, 0x80
	v_and_b32_e32 v3, 0x7fffffff, v2
	v_cmp_gt_u32_e32 vcc, s6, v3
	s_and_saveexec_b64 s[6:7], vcc
	s_cbranch_execz .LBB7_1956
; %bb.1951:
	s_mov_b32 s10, 0x3bffffff
	v_cmp_lt_u32_e32 vcc, s10, v3
	s_mov_b64 s[10:11], 0
                                        ; implicit-def: $vgpr3
	s_and_saveexec_b64 s[12:13], vcc
	s_xor_b64 s[12:13], exec, s[12:13]
	s_cbranch_execz .LBB7_2177
; %bb.1952:
	v_bfe_u32 v3, v2, 20, 1
	s_mov_b32 s16, 0x487ffff
	v_add3_u32 v3, v2, v3, s16
	s_mov_b64 s[10:11], exec
	v_lshrrev_b32_e32 v3, 20, v3
	s_andn2_saveexec_b64 s[12:13], s[12:13]
	s_cbranch_execnz .LBB7_2178
.LBB7_1953:
	s_or_b64 exec, exec, s[12:13]
	v_mov_b32_e32 v7, 0
	s_and_saveexec_b64 s[12:13], s[10:11]
.LBB7_1954:
	v_lshrrev_b32_e32 v2, 24, v2
	s_movk_i32 s10, 0x80
	v_and_or_b32 v7, v2, s10, v3
.LBB7_1955:
	s_or_b64 exec, exec, s[12:13]
.LBB7_1956:
	s_or_b64 exec, exec, s[6:7]
	global_store_byte v[5:6], v7, off
.LBB7_1957:
	s_mov_b64 s[6:7], -1
.LBB7_1958:
	s_mov_b64 s[10:11], 0
.LBB7_1959:
	s_and_b64 vcc, exec, s[10:11]
	s_cbranch_vccz .LBB7_1999
; %bb.1960:
	s_cmp_gt_i32 s15, 22
	s_mov_b64 s[4:5], -1
	s_cbranch_scc0 .LBB7_1992
; %bb.1961:
	s_cmp_lt_i32 s15, 24
	s_cbranch_scc1 .LBB7_1981
; %bb.1962:
	s_cmp_gt_i32 s15, 24
	s_cbranch_scc0 .LBB7_1970
; %bb.1963:
	v_cvt_f32_f64_e32 v2, v[0:1]
	s_mov_b32 s4, 0x47800000
	v_mov_b32_e32 v7, 0x80
	v_and_b32_e32 v3, 0x7fffffff, v2
	v_cmp_gt_u32_e32 vcc, s4, v3
	s_and_saveexec_b64 s[4:5], vcc
	s_cbranch_execz .LBB7_1969
; %bb.1964:
	s_mov_b32 s6, 0x37ffffff
	v_cmp_lt_u32_e32 vcc, s6, v3
	s_mov_b64 s[6:7], 0
                                        ; implicit-def: $vgpr3
	s_and_saveexec_b64 s[10:11], vcc
	s_xor_b64 s[10:11], exec, s[10:11]
	s_cbranch_execz .LBB7_2180
; %bb.1965:
	v_bfe_u32 v3, v2, 21, 1
	s_mov_b32 s12, 0x88fffff
	v_add3_u32 v3, v2, v3, s12
	s_mov_b64 s[6:7], exec
	v_lshrrev_b32_e32 v3, 21, v3
	s_andn2_saveexec_b64 s[10:11], s[10:11]
	s_cbranch_execnz .LBB7_2181
.LBB7_1966:
	s_or_b64 exec, exec, s[10:11]
	v_mov_b32_e32 v7, 0
	s_and_saveexec_b64 s[10:11], s[6:7]
.LBB7_1967:
	v_lshrrev_b32_e32 v2, 24, v2
	s_movk_i32 s6, 0x80
	v_and_or_b32 v7, v2, s6, v3
.LBB7_1968:
	s_or_b64 exec, exec, s[10:11]
.LBB7_1969:
	s_or_b64 exec, exec, s[4:5]
	s_mov_b64 s[4:5], 0
	global_store_byte v[5:6], v7, off
.LBB7_1970:
	s_and_b64 vcc, exec, s[4:5]
	s_cbranch_vccz .LBB7_1980
; %bb.1971:
	v_cvt_f32_f64_e32 v2, v[0:1]
	s_mov_b32 s4, 0x43f00000
                                        ; implicit-def: $vgpr3
	v_and_b32_e32 v7, 0x7fffffff, v2
	v_cmp_gt_u32_e32 vcc, s4, v7
	s_and_saveexec_b64 s[4:5], vcc
	s_xor_b64 s[4:5], exec, s[4:5]
	s_cbranch_execz .LBB7_1977
; %bb.1972:
	s_mov_b32 s6, 0x3c7fffff
	v_cmp_lt_u32_e32 vcc, s6, v7
                                        ; implicit-def: $vgpr3
	s_and_saveexec_b64 s[6:7], vcc
	s_xor_b64 s[6:7], exec, s[6:7]
; %bb.1973:
	v_bfe_u32 v3, v2, 20, 1
	s_mov_b32 s10, 0x407ffff
	v_add3_u32 v3, v2, v3, s10
	v_lshrrev_b32_e32 v7, 20, v3
	v_and_b32_e32 v3, 0xff00000, v3
	s_mov_b32 s10, 0x7f00000
	v_mov_b32_e32 v8, 0x7e
	v_cmp_ne_u32_e32 vcc, s10, v3
	v_cndmask_b32_e32 v3, v8, v7, vcc
; %bb.1974:
	s_andn2_saveexec_b64 s[6:7], s[6:7]
; %bb.1975:
	s_mov_b32 s10, 0x46800000
	v_add_f32_e64 v3, |v2|, s10
; %bb.1976:
	s_or_b64 exec, exec, s[6:7]
                                        ; implicit-def: $vgpr7
.LBB7_1977:
	s_andn2_saveexec_b64 s[4:5], s[4:5]
; %bb.1978:
	s_mov_b32 s6, 0x7f800000
	v_mov_b32_e32 v3, 0x7e
	v_mov_b32_e32 v8, 0x7f
	v_cmp_lt_u32_e32 vcc, s6, v7
	v_cndmask_b32_e32 v3, v3, v8, vcc
; %bb.1979:
	s_or_b64 exec, exec, s[4:5]
	v_lshrrev_b32_e32 v2, 24, v2
	s_movk_i32 s4, 0x80
	v_and_or_b32 v2, v2, s4, v3
	global_store_byte v[5:6], v2, off
.LBB7_1980:
	s_mov_b64 s[4:5], 0
.LBB7_1981:
	s_andn2_b64 vcc, exec, s[4:5]
	s_cbranch_vccnz .LBB7_1991
; %bb.1982:
	v_cvt_f32_f64_e32 v2, v[0:1]
	s_mov_b32 s4, 0x47800000
                                        ; implicit-def: $vgpr3
	v_and_b32_e32 v7, 0x7fffffff, v2
	v_cmp_gt_u32_e32 vcc, s4, v7
	s_and_saveexec_b64 s[4:5], vcc
	s_xor_b64 s[4:5], exec, s[4:5]
	s_cbranch_execz .LBB7_1988
; %bb.1983:
	s_mov_b32 s6, 0x387fffff
	v_cmp_lt_u32_e32 vcc, s6, v7
                                        ; implicit-def: $vgpr3
	s_and_saveexec_b64 s[6:7], vcc
	s_xor_b64 s[6:7], exec, s[6:7]
; %bb.1984:
	v_bfe_u32 v3, v2, 21, 1
	s_mov_b32 s10, 0x80fffff
	v_add3_u32 v3, v2, v3, s10
	v_lshrrev_b32_e32 v3, 21, v3
; %bb.1985:
	s_andn2_saveexec_b64 s[6:7], s[6:7]
; %bb.1986:
	s_mov_b32 s10, 0x43000000
	v_add_f32_e64 v3, |v2|, s10
; %bb.1987:
	s_or_b64 exec, exec, s[6:7]
                                        ; implicit-def: $vgpr7
.LBB7_1988:
	s_andn2_saveexec_b64 s[4:5], s[4:5]
; %bb.1989:
	s_mov_b32 s6, 0x7f800000
	v_mov_b32_e32 v3, 0x7c
	v_mov_b32_e32 v8, 0x7f
	v_cmp_lt_u32_e32 vcc, s6, v7
	v_cndmask_b32_e32 v3, v3, v8, vcc
; %bb.1990:
	s_or_b64 exec, exec, s[4:5]
	v_lshrrev_b32_e32 v2, 24, v2
	s_movk_i32 s4, 0x80
	v_and_or_b32 v2, v2, s4, v3
	global_store_byte v[5:6], v2, off
.LBB7_1991:
	s_mov_b64 s[4:5], 0
	s_mov_b64 s[6:7], -1
.LBB7_1992:
	s_andn2_b64 vcc, exec, s[4:5]
	s_mov_b64 s[4:5], 0
	s_cbranch_vccnz .LBB7_1999
; %bb.1993:
	s_cmp_gt_i32 s15, 14
	s_mov_b64 s[10:11], -1
	s_cbranch_scc0 .LBB7_1997
; %bb.1994:
	s_cmp_eq_u32 s15, 15
	s_mov_b64 s[0:1], -1
	s_cbranch_scc0 .LBB7_1996
; %bb.1995:
	v_cvt_f32_f64_e32 v2, v[0:1]
	s_movk_i32 s0, 0x7fff
	v_mov_b32_e32 v3, 0x7fc0
	s_mov_b64 s[6:7], -1
	v_bfe_u32 v7, v2, 16, 1
	v_cmp_o_f32_e32 vcc, v2, v2
	v_add3_u32 v2, v2, v7, s0
	v_cndmask_b32_sdwa v2, v3, v2, vcc dst_sel:DWORD dst_unused:UNUSED_PAD src0_sel:DWORD src1_sel:WORD_1
	global_store_short v[5:6], v2, off
	s_mov_b64 s[0:1], 0
.LBB7_1996:
	s_mov_b64 s[10:11], 0
.LBB7_1997:
	s_and_b64 vcc, exec, s[10:11]
	s_cbranch_vccz .LBB7_1999
; %bb.1998:
	s_cmp_lg_u32 s15, 11
	s_mov_b64 s[4:5], -1
	s_cselect_b64 s[0:1], -1, 0
.LBB7_1999:
	s_and_b64 vcc, exec, s[0:1]
	s_cbranch_vccnz .LBB7_2179
; %bb.2000:
	s_andn2_b64 vcc, exec, s[4:5]
	s_cbranch_vccnz .LBB7_2002
.LBB7_2001:
	v_cmp_neq_f64_e32 vcc, 0, v[0:1]
	s_mov_b64 s[6:7], -1
	v_cndmask_b32_e64 v2, 0, 1, vcc
	global_store_byte v[5:6], v2, off
.LBB7_2002:
	s_mov_b64 s[0:1], 0
	s_branch .LBB7_2004
.LBB7_2003:
	s_mov_b64 s[0:1], -1
	s_mov_b64 s[6:7], 0
.LBB7_2004:
	s_and_b64 vcc, exec, s[0:1]
	s_cbranch_vccz .LBB7_2043
; %bb.2005:
	s_and_b32 s4, 0xffff, s14
	s_cmp_lt_i32 s4, 5
	s_mov_b64 s[0:1], -1
	s_cbranch_scc1 .LBB7_2026
; %bb.2006:
	s_cmp_lt_i32 s4, 8
	s_cbranch_scc1 .LBB7_2016
; %bb.2007:
	s_cmp_lt_i32 s4, 9
	s_cbranch_scc1 .LBB7_2013
; %bb.2008:
	s_cmp_gt_i32 s4, 9
	s_cbranch_scc0 .LBB7_2010
; %bb.2009:
	v_mov_b32_e32 v2, 0
	v_mov_b32_e32 v3, v2
	global_store_dwordx4 v[5:6], v[0:3], off
	s_mov_b64 s[0:1], 0
.LBB7_2010:
	s_andn2_b64 vcc, exec, s[0:1]
	s_cbranch_vccnz .LBB7_2012
; %bb.2011:
	v_cvt_f32_f64_e32 v2, v[0:1]
	v_mov_b32_e32 v3, 0
	global_store_dwordx2 v[5:6], v[2:3], off
.LBB7_2012:
	s_mov_b64 s[0:1], 0
.LBB7_2013:
	s_andn2_b64 vcc, exec, s[0:1]
	s_cbranch_vccnz .LBB7_2015
; %bb.2014:
	s_movk_i32 s0, 0x1ff
	v_and_or_b32 v2, v1, s0, v0
	v_cmp_ne_u32_e32 vcc, 0, v2
	v_cndmask_b32_e64 v2, 0, 1, vcc
	v_lshrrev_b32_e32 v3, 8, v1
	s_movk_i32 s0, 0xffe
	v_bfe_u32 v7, v1, 20, 11
	v_and_or_b32 v2, v3, s0, v2
	v_sub_u32_e32 v8, 0x3f1, v7
	v_or_b32_e32 v3, 0x1000, v2
	v_med3_i32 v8, v8, 0, 13
	v_lshrrev_b32_e32 v9, v8, v3
	v_lshlrev_b32_e32 v8, v8, v9
	v_cmp_ne_u32_e32 vcc, v8, v3
	v_cndmask_b32_e64 v3, 0, 1, vcc
	v_add_u32_e32 v7, 0xfffffc10, v7
	v_or_b32_e32 v3, v9, v3
	v_lshl_or_b32 v8, v7, 12, v2
	v_cmp_gt_i32_e32 vcc, 1, v7
	v_cndmask_b32_e32 v3, v8, v3, vcc
	v_and_b32_e32 v8, 7, v3
	v_cmp_lt_i32_e32 vcc, 5, v8
	v_cndmask_b32_e64 v9, 0, 1, vcc
	v_cmp_eq_u32_e32 vcc, 3, v8
	v_cndmask_b32_e64 v8, 0, 1, vcc
	v_or_b32_e32 v8, v8, v9
	v_lshrrev_b32_e32 v3, 2, v3
	v_add_u32_e32 v3, v3, v8
	v_mov_b32_e32 v8, 0x7c00
	v_cmp_gt_i32_e32 vcc, 31, v7
	v_cndmask_b32_e32 v3, v8, v3, vcc
	v_mov_b32_e32 v9, 0x7e00
	v_cmp_ne_u32_e32 vcc, 0, v2
	s_movk_i32 s0, 0x40f
	v_cndmask_b32_e32 v2, v8, v9, vcc
	v_cmp_eq_u32_e32 vcc, s0, v7
	v_cndmask_b32_e32 v2, v3, v2, vcc
	v_lshrrev_b32_e32 v3, 16, v1
	s_mov_b32 s0, 0x8000
	v_and_or_b32 v2, v3, s0, v2
	v_and_b32_e32 v2, 0xffff, v2
	global_store_dword v[5:6], v2, off
.LBB7_2015:
	s_mov_b64 s[0:1], 0
.LBB7_2016:
	s_andn2_b64 vcc, exec, s[0:1]
	s_cbranch_vccnz .LBB7_2025
; %bb.2017:
	s_cmp_lt_i32 s4, 6
	s_mov_b64 s[0:1], -1
	s_cbranch_scc1 .LBB7_2023
; %bb.2018:
	s_cmp_gt_i32 s4, 6
	s_cbranch_scc0 .LBB7_2020
; %bb.2019:
	global_store_dwordx2 v[5:6], v[0:1], off
	s_mov_b64 s[0:1], 0
.LBB7_2020:
	s_andn2_b64 vcc, exec, s[0:1]
	s_cbranch_vccnz .LBB7_2022
; %bb.2021:
	v_cvt_f32_f64_e32 v2, v[0:1]
	global_store_dword v[5:6], v2, off
.LBB7_2022:
	s_mov_b64 s[0:1], 0
.LBB7_2023:
	s_andn2_b64 vcc, exec, s[0:1]
	s_cbranch_vccnz .LBB7_2025
; %bb.2024:
	s_movk_i32 s0, 0x1ff
	v_and_or_b32 v2, v1, s0, v0
	v_cmp_ne_u32_e32 vcc, 0, v2
	v_cndmask_b32_e64 v2, 0, 1, vcc
	v_lshrrev_b32_e32 v3, 8, v1
	s_movk_i32 s0, 0xffe
	v_bfe_u32 v7, v1, 20, 11
	v_and_or_b32 v2, v3, s0, v2
	v_sub_u32_e32 v8, 0x3f1, v7
	v_or_b32_e32 v3, 0x1000, v2
	v_med3_i32 v8, v8, 0, 13
	v_lshrrev_b32_e32 v9, v8, v3
	v_lshlrev_b32_e32 v8, v8, v9
	v_cmp_ne_u32_e32 vcc, v8, v3
	v_cndmask_b32_e64 v3, 0, 1, vcc
	v_add_u32_e32 v7, 0xfffffc10, v7
	v_or_b32_e32 v3, v9, v3
	v_lshl_or_b32 v8, v7, 12, v2
	v_cmp_gt_i32_e32 vcc, 1, v7
	v_cndmask_b32_e32 v3, v8, v3, vcc
	v_and_b32_e32 v8, 7, v3
	v_cmp_lt_i32_e32 vcc, 5, v8
	v_cndmask_b32_e64 v9, 0, 1, vcc
	v_cmp_eq_u32_e32 vcc, 3, v8
	v_cndmask_b32_e64 v8, 0, 1, vcc
	v_or_b32_e32 v8, v8, v9
	v_lshrrev_b32_e32 v3, 2, v3
	v_add_u32_e32 v3, v3, v8
	v_mov_b32_e32 v8, 0x7c00
	v_cmp_gt_i32_e32 vcc, 31, v7
	v_cndmask_b32_e32 v3, v8, v3, vcc
	v_mov_b32_e32 v9, 0x7e00
	v_cmp_ne_u32_e32 vcc, 0, v2
	s_movk_i32 s0, 0x40f
	v_cndmask_b32_e32 v2, v8, v9, vcc
	v_cmp_eq_u32_e32 vcc, s0, v7
	v_cndmask_b32_e32 v2, v3, v2, vcc
	v_lshrrev_b32_e32 v3, 16, v1
	s_mov_b32 s0, 0x8000
	v_and_or_b32 v2, v3, s0, v2
	global_store_short v[5:6], v2, off
.LBB7_2025:
	s_mov_b64 s[0:1], 0
.LBB7_2026:
	s_andn2_b64 vcc, exec, s[0:1]
	s_cbranch_vccnz .LBB7_2042
; %bb.2027:
	s_cmp_lt_i32 s4, 2
	s_mov_b64 s[0:1], -1
	s_cbranch_scc1 .LBB7_2037
; %bb.2028:
	s_cmp_lt_i32 s4, 3
	s_cbranch_scc1 .LBB7_2034
; %bb.2029:
	s_cmp_gt_i32 s4, 3
	s_cbranch_scc0 .LBB7_2031
; %bb.2030:
	v_trunc_f64_e32 v[2:3], v[0:1]
	s_movk_i32 s0, 0xffe0
	v_ldexp_f64 v[7:8], v[2:3], s0
	s_mov_b32 s0, 0
	s_mov_b32 s1, 0xc1f00000
	v_floor_f64_e32 v[7:8], v[7:8]
	v_fma_f64 v[2:3], v[7:8], s[0:1], v[2:3]
	v_cvt_i32_f64_e32 v8, v[7:8]
	s_mov_b64 s[0:1], 0
	v_cvt_u32_f64_e32 v7, v[2:3]
	global_store_dwordx2 v[5:6], v[7:8], off
.LBB7_2031:
	s_andn2_b64 vcc, exec, s[0:1]
	s_cbranch_vccnz .LBB7_2033
; %bb.2032:
	v_cvt_i32_f64_e32 v2, v[0:1]
	global_store_dword v[5:6], v2, off
.LBB7_2033:
	s_mov_b64 s[0:1], 0
.LBB7_2034:
	s_andn2_b64 vcc, exec, s[0:1]
	s_cbranch_vccnz .LBB7_2036
; %bb.2035:
	v_cvt_i32_f64_e32 v2, v[0:1]
	global_store_short v[5:6], v2, off
.LBB7_2036:
	s_mov_b64 s[0:1], 0
.LBB7_2037:
	s_andn2_b64 vcc, exec, s[0:1]
	s_cbranch_vccnz .LBB7_2042
; %bb.2038:
	s_cmp_gt_i32 s4, 0
	s_mov_b64 s[0:1], -1
	s_cbranch_scc0 .LBB7_2040
; %bb.2039:
	v_cvt_i32_f64_e32 v2, v[0:1]
	s_mov_b64 s[0:1], 0
	global_store_byte v[5:6], v2, off
.LBB7_2040:
	s_andn2_b64 vcc, exec, s[0:1]
	s_cbranch_vccnz .LBB7_2042
; %bb.2041:
	v_trunc_f64_e32 v[0:1], v[0:1]
	s_movk_i32 s0, 0xffe0
	v_ldexp_f64 v[2:3], v[0:1], s0
	s_mov_b32 s0, 0
	s_mov_b32 s1, 0xc1f00000
	v_floor_f64_e32 v[2:3], v[2:3]
	v_fma_f64 v[0:1], v[2:3], s[0:1], v[0:1]
	v_cvt_u32_f64_e32 v0, v[0:1]
	global_store_byte v[5:6], v0, off
.LBB7_2042:
	s_mov_b64 s[6:7], -1
.LBB7_2043:
	s_andn2_b64 vcc, exec, s[6:7]
	s_cbranch_vccnz .LBB7_2120
; %bb.2044:
	v_mul_f64 v[0:1], v[27:28], v[27:28]
	s_mov_b32 s0, 0xf9a43bb8
	v_mov_b32_e32 v5, 0xb42fdfa7
	v_mov_b32_e32 v6, 0xbe5ae600
	s_mov_b32 s1, 0x3de5e0b2
	s_mov_b32 s4, 0x796cde01
	v_mov_b32_e32 v2, 0x9037ab78
	v_mov_b32_e32 v3, 0x3e21eeb6
	v_fma_f64 v[5:6], v[0:1], s[0:1], v[5:6]
	s_mov_b32 s0, 0x46cc5e42
	s_mov_b32 s1, 0xbda907db
	;; [unrolled: 1-line block ×3, first 2 shown]
	v_fma_f64 v[2:3], v[0:1], s[0:1], v[2:3]
	v_mul_f64 v[7:8], v[0:1], 0.5
	s_mov_b32 s0, 0xa17f65f6
	s_mov_b32 s6, 0x19e83e5c
	v_fma_f64 v[5:6], v[0:1], v[5:6], s[4:5]
	s_mov_b32 s1, 0xbe927e4f
	s_mov_b32 s7, 0xbf2a01a0
	;; [unrolled: 1-line block ×3, first 2 shown]
	v_fma_f64 v[2:3], v[0:1], v[2:3], s[0:1]
	v_add_f64 v[9:10], -v[7:8], 1.0
	s_mov_b32 s0, 0x11110bb3
	s_mov_b32 s5, 0x3efa01a0
	v_fma_f64 v[5:6], v[0:1], v[5:6], s[6:7]
	s_mov_b32 s1, 0x3f811111
	v_mul_f64 v[11:12], v[29:30], 0.5
	v_mul_f64 v[15:16], v[27:28], -v[0:1]
	v_fma_f64 v[2:3], v[0:1], v[2:3], s[4:5]
	v_add_f64 v[17:18], -v[9:10], 1.0
	s_cmp_lt_i32 s14, 11
	v_fma_f64 v[5:6], v[0:1], v[5:6], s[0:1]
	s_mov_b32 s0, 0x16c16967
	s_mov_b32 s1, 0xbf56c16c
	v_fma_f64 v[2:3], v[0:1], v[2:3], s[0:1]
	v_add_f64 v[7:8], v[17:18], -v[7:8]
	s_mov_b32 s1, 0x3fa55555
	s_mov_b32 s0, 0x55555555
	v_fma_f64 v[5:6], v[15:16], v[5:6], v[11:12]
	v_mul_f64 v[11:12], v[0:1], v[0:1]
	v_fma_f64 v[2:3], v[0:1], v[2:3], s[0:1]
	v_fma_f64 v[7:8], v[27:28], -v[29:30], v[7:8]
	s_mov_b32 s1, 0xbfc55555
	v_fma_f64 v[0:1], v[0:1], v[5:6], -v[29:30]
	v_and_b32_e32 v5, 1, v31
	v_lshlrev_b32_e32 v6, 30, v31
	v_cmp_eq_u32_e32 vcc, 0, v5
	v_xor_b32_e32 v5, v6, v14
	v_fma_f64 v[2:3], v[11:12], v[2:3], v[7:8]
	v_and_b32_e32 v5, 0x80000000, v5
	v_mov_b32_e32 v7, 0x7ff80000
	v_fma_f64 v[0:1], v[15:16], s[0:1], v[0:1]
	s_movk_i32 s0, 0x1f8
	v_cmp_class_f64_e64 s[0:1], v[13:14], s0
	v_add_f64 v[2:3], v[9:10], v[2:3]
	v_add_f64 v[0:1], v[27:28], -v[0:1]
	v_cndmask_b32_e32 v1, v3, v1, vcc
	v_cndmask_b32_e32 v0, v2, v0, vcc
	v_mov_b32_e32 v2, s9
	v_xor_b32_e32 v1, v1, v5
	v_add_co_u32_e32 v4, vcc, s8, v4
	v_cndmask_b32_e64 v0, 0, v0, s[0:1]
	v_cndmask_b32_e64 v1, v7, v1, s[0:1]
	v_addc_co_u32_e32 v5, vcc, 0, v2, vcc
	s_cbranch_scc1 .LBB7_2165
; %bb.2045:
	s_and_b32 s12, 0xffff, s14
	s_mov_b64 s[6:7], -1
	s_mov_b64 s[4:5], 0
	s_cmp_gt_i32 s12, 25
	s_mov_b64 s[0:1], 0
	s_cbranch_scc0 .LBB7_2078
; %bb.2046:
	s_cmp_gt_i32 s12, 28
	s_cbranch_scc0 .LBB7_2062
; %bb.2047:
	s_cmp_gt_i32 s12, 43
	;; [unrolled: 3-line block ×3, first 2 shown]
	s_cbranch_scc0 .LBB7_2052
; %bb.2049:
	s_cmp_eq_u32 s12, 46
	s_mov_b64 s[0:1], -1
	s_cbranch_scc0 .LBB7_2051
; %bb.2050:
	v_cvt_f32_f64_e32 v2, v[0:1]
	s_movk_i32 s0, 0x7fff
	v_mov_b32_e32 v3, 0x7fc0
	v_bfe_u32 v6, v2, 16, 1
	v_cmp_o_f32_e32 vcc, v2, v2
	v_add3_u32 v2, v2, v6, s0
	v_cndmask_b32_sdwa v2, v3, v2, vcc dst_sel:DWORD dst_unused:UNUSED_PAD src0_sel:DWORD src1_sel:WORD_1
	global_store_dword v[4:5], v2, off
	s_mov_b64 s[0:1], 0
.LBB7_2051:
	s_mov_b64 s[6:7], 0
.LBB7_2052:
	s_and_b64 vcc, exec, s[6:7]
	s_cbranch_vccz .LBB7_2057
; %bb.2053:
	s_cmp_eq_u32 s12, 44
	s_mov_b64 s[0:1], -1
	s_cbranch_scc0 .LBB7_2057
; %bb.2054:
	v_cvt_f32_f64_e32 v2, v[0:1]
	s_movk_i32 s0, 0xff
	v_mov_b32_e32 v6, 0xff
	v_bfe_u32 v3, v2, 23, 8
	v_cmp_ne_u32_e32 vcc, s0, v3
	s_and_saveexec_b64 s[6:7], vcc
; %bb.2055:
	s_mov_b32 s0, 0x3fffff
	v_lshrrev_b32_e32 v6, 23, v2
	v_and_b32_e32 v7, 0x400000, v2
	v_and_or_b32 v2, v2, s0, v3
	v_cmp_ne_u32_e32 vcc, 0, v7
	v_cmp_ne_u32_e64 s[0:1], 0, v2
	s_and_b64 s[0:1], vcc, s[0:1]
	v_cndmask_b32_e64 v2, 0, 1, s[0:1]
	v_add_u32_e32 v6, v6, v2
; %bb.2056:
	s_or_b64 exec, exec, s[6:7]
	s_mov_b64 s[0:1], 0
	global_store_byte v[4:5], v6, off
.LBB7_2057:
	s_mov_b64 s[6:7], 0
.LBB7_2058:
	s_and_b64 vcc, exec, s[6:7]
	s_cbranch_vccz .LBB7_2061
; %bb.2059:
	s_cmp_eq_u32 s12, 29
	s_mov_b64 s[0:1], -1
	s_cbranch_scc0 .LBB7_2061
; %bb.2060:
	v_trunc_f64_e32 v[2:3], v[0:1]
	s_movk_i32 s0, 0xffe0
	v_ldexp_f64 v[6:7], v[2:3], s0
	s_mov_b32 s0, 0
	s_mov_b32 s1, 0xc1f00000
	v_floor_f64_e32 v[6:7], v[6:7]
	v_fma_f64 v[2:3], v[6:7], s[0:1], v[2:3]
	v_cvt_u32_f64_e32 v7, v[6:7]
	s_mov_b64 s[0:1], 0
	v_cvt_u32_f64_e32 v6, v[2:3]
	global_store_dwordx2 v[4:5], v[6:7], off
.LBB7_2061:
	s_mov_b64 s[6:7], 0
.LBB7_2062:
	s_and_b64 vcc, exec, s[6:7]
	s_cbranch_vccz .LBB7_2077
; %bb.2063:
	s_cmp_lt_i32 s12, 27
	s_mov_b64 s[6:7], -1
	s_cbranch_scc1 .LBB7_2069
; %bb.2064:
	s_cmp_gt_i32 s12, 27
	s_cbranch_scc0 .LBB7_2066
; %bb.2065:
	v_cvt_u32_f64_e32 v2, v[0:1]
	s_mov_b64 s[6:7], 0
	global_store_dword v[4:5], v2, off
.LBB7_2066:
	s_andn2_b64 vcc, exec, s[6:7]
	s_cbranch_vccnz .LBB7_2068
; %bb.2067:
	v_cvt_u32_f64_e32 v2, v[0:1]
	global_store_short v[4:5], v2, off
.LBB7_2068:
	s_mov_b64 s[6:7], 0
.LBB7_2069:
	s_andn2_b64 vcc, exec, s[6:7]
	s_cbranch_vccnz .LBB7_2077
; %bb.2070:
	v_cvt_f32_f64_e32 v2, v[0:1]
	s_mov_b32 s6, 0x43800000
	v_mov_b32_e32 v6, 0x80
	v_and_b32_e32 v3, 0x7fffffff, v2
	v_cmp_gt_u32_e32 vcc, s6, v3
	s_and_saveexec_b64 s[6:7], vcc
	s_cbranch_execz .LBB7_2076
; %bb.2071:
	s_mov_b32 s8, 0x3bffffff
	v_cmp_lt_u32_e32 vcc, s8, v3
	s_mov_b64 s[8:9], 0
                                        ; implicit-def: $vgpr3
	s_and_saveexec_b64 s[10:11], vcc
	s_xor_b64 s[10:11], exec, s[10:11]
	s_cbranch_execz .LBB7_2182
; %bb.2072:
	v_bfe_u32 v3, v2, 20, 1
	s_mov_b32 s13, 0x487ffff
	v_add3_u32 v3, v2, v3, s13
	s_mov_b64 s[8:9], exec
	v_lshrrev_b32_e32 v3, 20, v3
	s_andn2_saveexec_b64 s[10:11], s[10:11]
	s_cbranch_execnz .LBB7_2183
.LBB7_2073:
	s_or_b64 exec, exec, s[10:11]
	v_mov_b32_e32 v6, 0
	s_and_saveexec_b64 s[10:11], s[8:9]
.LBB7_2074:
	v_lshrrev_b32_e32 v2, 24, v2
	s_movk_i32 s8, 0x80
	v_and_or_b32 v6, v2, s8, v3
.LBB7_2075:
	s_or_b64 exec, exec, s[10:11]
.LBB7_2076:
	s_or_b64 exec, exec, s[6:7]
	global_store_byte v[4:5], v6, off
.LBB7_2077:
	s_mov_b64 s[6:7], 0
.LBB7_2078:
	s_and_b64 vcc, exec, s[6:7]
	s_cbranch_vccz .LBB7_2118
; %bb.2079:
	s_cmp_gt_i32 s12, 22
	s_mov_b64 s[4:5], -1
	s_cbranch_scc0 .LBB7_2111
; %bb.2080:
	s_cmp_lt_i32 s12, 24
	s_cbranch_scc1 .LBB7_2100
; %bb.2081:
	s_cmp_gt_i32 s12, 24
	s_cbranch_scc0 .LBB7_2089
; %bb.2082:
	v_cvt_f32_f64_e32 v2, v[0:1]
	s_mov_b32 s4, 0x47800000
	v_mov_b32_e32 v6, 0x80
	v_and_b32_e32 v3, 0x7fffffff, v2
	v_cmp_gt_u32_e32 vcc, s4, v3
	s_and_saveexec_b64 s[4:5], vcc
	s_cbranch_execz .LBB7_2088
; %bb.2083:
	s_mov_b32 s6, 0x37ffffff
	v_cmp_lt_u32_e32 vcc, s6, v3
	s_mov_b64 s[6:7], 0
                                        ; implicit-def: $vgpr3
	s_and_saveexec_b64 s[8:9], vcc
	s_xor_b64 s[8:9], exec, s[8:9]
	s_cbranch_execz .LBB7_2185
; %bb.2084:
	v_bfe_u32 v3, v2, 21, 1
	s_mov_b32 s10, 0x88fffff
	v_add3_u32 v3, v2, v3, s10
	s_mov_b64 s[6:7], exec
	v_lshrrev_b32_e32 v3, 21, v3
	s_andn2_saveexec_b64 s[8:9], s[8:9]
	s_cbranch_execnz .LBB7_2186
.LBB7_2085:
	s_or_b64 exec, exec, s[8:9]
	v_mov_b32_e32 v6, 0
	s_and_saveexec_b64 s[8:9], s[6:7]
.LBB7_2086:
	v_lshrrev_b32_e32 v2, 24, v2
	s_movk_i32 s6, 0x80
	v_and_or_b32 v6, v2, s6, v3
.LBB7_2087:
	s_or_b64 exec, exec, s[8:9]
.LBB7_2088:
	s_or_b64 exec, exec, s[4:5]
	s_mov_b64 s[4:5], 0
	global_store_byte v[4:5], v6, off
.LBB7_2089:
	s_and_b64 vcc, exec, s[4:5]
	s_cbranch_vccz .LBB7_2099
; %bb.2090:
	v_cvt_f32_f64_e32 v2, v[0:1]
	s_mov_b32 s4, 0x43f00000
                                        ; implicit-def: $vgpr3
	v_and_b32_e32 v6, 0x7fffffff, v2
	v_cmp_gt_u32_e32 vcc, s4, v6
	s_and_saveexec_b64 s[4:5], vcc
	s_xor_b64 s[4:5], exec, s[4:5]
	s_cbranch_execz .LBB7_2096
; %bb.2091:
	s_mov_b32 s6, 0x3c7fffff
	v_cmp_lt_u32_e32 vcc, s6, v6
                                        ; implicit-def: $vgpr3
	s_and_saveexec_b64 s[6:7], vcc
	s_xor_b64 s[6:7], exec, s[6:7]
; %bb.2092:
	v_bfe_u32 v3, v2, 20, 1
	s_mov_b32 s8, 0x407ffff
	v_add3_u32 v3, v2, v3, s8
	v_lshrrev_b32_e32 v6, 20, v3
	v_and_b32_e32 v3, 0xff00000, v3
	s_mov_b32 s8, 0x7f00000
	v_mov_b32_e32 v7, 0x7e
	v_cmp_ne_u32_e32 vcc, s8, v3
	v_cndmask_b32_e32 v3, v7, v6, vcc
; %bb.2093:
	s_andn2_saveexec_b64 s[6:7], s[6:7]
; %bb.2094:
	s_mov_b32 s8, 0x46800000
	v_add_f32_e64 v3, |v2|, s8
; %bb.2095:
	s_or_b64 exec, exec, s[6:7]
                                        ; implicit-def: $vgpr6
.LBB7_2096:
	s_andn2_saveexec_b64 s[4:5], s[4:5]
; %bb.2097:
	s_mov_b32 s6, 0x7f800000
	v_mov_b32_e32 v3, 0x7e
	v_mov_b32_e32 v7, 0x7f
	v_cmp_lt_u32_e32 vcc, s6, v6
	v_cndmask_b32_e32 v3, v3, v7, vcc
; %bb.2098:
	s_or_b64 exec, exec, s[4:5]
	v_lshrrev_b32_e32 v2, 24, v2
	s_movk_i32 s4, 0x80
	v_and_or_b32 v2, v2, s4, v3
	global_store_byte v[4:5], v2, off
.LBB7_2099:
	s_mov_b64 s[4:5], 0
.LBB7_2100:
	s_andn2_b64 vcc, exec, s[4:5]
	s_cbranch_vccnz .LBB7_2110
; %bb.2101:
	v_cvt_f32_f64_e32 v2, v[0:1]
	s_mov_b32 s4, 0x47800000
                                        ; implicit-def: $vgpr3
	v_and_b32_e32 v6, 0x7fffffff, v2
	v_cmp_gt_u32_e32 vcc, s4, v6
	s_and_saveexec_b64 s[4:5], vcc
	s_xor_b64 s[4:5], exec, s[4:5]
	s_cbranch_execz .LBB7_2107
; %bb.2102:
	s_mov_b32 s6, 0x387fffff
	v_cmp_lt_u32_e32 vcc, s6, v6
                                        ; implicit-def: $vgpr3
	s_and_saveexec_b64 s[6:7], vcc
	s_xor_b64 s[6:7], exec, s[6:7]
; %bb.2103:
	v_bfe_u32 v3, v2, 21, 1
	s_mov_b32 s8, 0x80fffff
	v_add3_u32 v3, v2, v3, s8
	v_lshrrev_b32_e32 v3, 21, v3
; %bb.2104:
	s_andn2_saveexec_b64 s[6:7], s[6:7]
; %bb.2105:
	s_mov_b32 s8, 0x43000000
	v_add_f32_e64 v3, |v2|, s8
; %bb.2106:
	s_or_b64 exec, exec, s[6:7]
                                        ; implicit-def: $vgpr6
.LBB7_2107:
	s_andn2_saveexec_b64 s[4:5], s[4:5]
; %bb.2108:
	s_mov_b32 s6, 0x7f800000
	v_mov_b32_e32 v3, 0x7c
	v_mov_b32_e32 v7, 0x7f
	v_cmp_lt_u32_e32 vcc, s6, v6
	v_cndmask_b32_e32 v3, v3, v7, vcc
; %bb.2109:
	s_or_b64 exec, exec, s[4:5]
	v_lshrrev_b32_e32 v2, 24, v2
	s_movk_i32 s4, 0x80
	v_and_or_b32 v2, v2, s4, v3
	global_store_byte v[4:5], v2, off
.LBB7_2110:
	s_mov_b64 s[4:5], 0
.LBB7_2111:
	s_andn2_b64 vcc, exec, s[4:5]
	s_mov_b64 s[4:5], 0
	s_cbranch_vccnz .LBB7_2118
; %bb.2112:
	s_cmp_gt_i32 s12, 14
	s_mov_b64 s[6:7], -1
	s_cbranch_scc0 .LBB7_2116
; %bb.2113:
	s_cmp_eq_u32 s12, 15
	s_mov_b64 s[0:1], -1
	s_cbranch_scc0 .LBB7_2115
; %bb.2114:
	v_cvt_f32_f64_e32 v2, v[0:1]
	s_movk_i32 s0, 0x7fff
	v_mov_b32_e32 v3, 0x7fc0
	v_bfe_u32 v6, v2, 16, 1
	v_cmp_o_f32_e32 vcc, v2, v2
	v_add3_u32 v2, v2, v6, s0
	v_cndmask_b32_sdwa v2, v3, v2, vcc dst_sel:DWORD dst_unused:UNUSED_PAD src0_sel:DWORD src1_sel:WORD_1
	global_store_short v[4:5], v2, off
	s_mov_b64 s[0:1], 0
.LBB7_2115:
	s_mov_b64 s[6:7], 0
.LBB7_2116:
	s_and_b64 vcc, exec, s[6:7]
	s_cbranch_vccz .LBB7_2118
; %bb.2117:
	s_cmp_lg_u32 s12, 11
	s_mov_b64 s[4:5], -1
	s_cselect_b64 s[0:1], -1, 0
.LBB7_2118:
	s_and_b64 vcc, exec, s[0:1]
	s_cbranch_vccnz .LBB7_2184
.LBB7_2119:
	s_mov_b64 s[0:1], 0
	s_branch .LBB7_2121
.LBB7_2120:
	s_mov_b64 s[0:1], 0
	s_mov_b64 s[4:5], 0
                                        ; implicit-def: $vgpr4_vgpr5
                                        ; implicit-def: $sgpr14
                                        ; implicit-def: $vgpr0_vgpr1
.LBB7_2121:
	s_and_b64 s[6:7], s[4:5], exec
	s_andn2_b64 s[4:5], s[28:29], exec
	s_and_b64 s[2:3], s[2:3], exec
	s_and_b64 s[0:1], s[0:1], exec
	s_or_b64 s[28:29], s[4:5], s[2:3]
.LBB7_2122:
	s_or_b64 exec, exec, s[30:31]
	s_and_saveexec_b64 s[2:3], s[28:29]
	s_cbranch_execz .LBB7_2125
; %bb.2123:
	; divergent unreachable
	s_or_b64 exec, exec, s[2:3]
	s_and_saveexec_b64 s[2:3], s[6:7]
	s_xor_b64 s[2:3], exec, s[2:3]
	s_cbranch_execnz .LBB7_2126
.LBB7_2124:
	s_or_b64 exec, exec, s[2:3]
	s_and_saveexec_b64 s[2:3], s[0:1]
	s_cbranch_execnz .LBB7_2127
	s_branch .LBB7_2164
.LBB7_2125:
	s_or_b64 exec, exec, s[2:3]
	s_and_saveexec_b64 s[2:3], s[6:7]
	s_xor_b64 s[2:3], exec, s[2:3]
	s_cbranch_execz .LBB7_2124
.LBB7_2126:
	s_waitcnt vmcnt(0)
	v_cmp_neq_f64_e32 vcc, 0, v[0:1]
	v_cndmask_b32_e64 v2, 0, 1, vcc
	global_store_byte v[4:5], v2, off
	s_or_b64 exec, exec, s[2:3]
	s_and_saveexec_b64 s[2:3], s[0:1]
	s_cbranch_execz .LBB7_2164
.LBB7_2127:
	s_sext_i32_i16 s2, s14
	s_cmp_lt_i32 s2, 5
	s_mov_b64 s[0:1], -1
	s_cbranch_scc1 .LBB7_2148
; %bb.2128:
	s_cmp_lt_i32 s2, 8
	s_cbranch_scc1 .LBB7_2138
; %bb.2129:
	s_cmp_lt_i32 s2, 9
	s_cbranch_scc1 .LBB7_2135
; %bb.2130:
	s_cmp_gt_i32 s2, 9
	s_cbranch_scc0 .LBB7_2132
; %bb.2131:
	v_mov_b32_e32 v2, 0
	s_waitcnt vmcnt(0)
	v_mov_b32_e32 v3, v2
	global_store_dwordx4 v[4:5], v[0:3], off
	s_mov_b64 s[0:1], 0
.LBB7_2132:
	s_andn2_b64 vcc, exec, s[0:1]
	s_cbranch_vccnz .LBB7_2134
; %bb.2133:
	s_waitcnt vmcnt(0)
	v_cvt_f32_f64_e32 v2, v[0:1]
	v_mov_b32_e32 v3, 0
	global_store_dwordx2 v[4:5], v[2:3], off
.LBB7_2134:
	s_mov_b64 s[0:1], 0
.LBB7_2135:
	s_andn2_b64 vcc, exec, s[0:1]
	s_cbranch_vccnz .LBB7_2137
; %bb.2136:
	s_movk_i32 s0, 0x1ff
	s_waitcnt vmcnt(0)
	v_and_or_b32 v2, v1, s0, v0
	v_cmp_ne_u32_e32 vcc, 0, v2
	v_cndmask_b32_e64 v2, 0, 1, vcc
	v_lshrrev_b32_e32 v3, 8, v1
	s_movk_i32 s0, 0xffe
	v_bfe_u32 v6, v1, 20, 11
	v_and_or_b32 v2, v3, s0, v2
	v_sub_u32_e32 v7, 0x3f1, v6
	v_or_b32_e32 v3, 0x1000, v2
	v_med3_i32 v7, v7, 0, 13
	v_lshrrev_b32_e32 v8, v7, v3
	v_lshlrev_b32_e32 v7, v7, v8
	v_cmp_ne_u32_e32 vcc, v7, v3
	v_cndmask_b32_e64 v3, 0, 1, vcc
	v_add_u32_e32 v6, 0xfffffc10, v6
	v_or_b32_e32 v3, v8, v3
	v_lshl_or_b32 v7, v6, 12, v2
	v_cmp_gt_i32_e32 vcc, 1, v6
	v_cndmask_b32_e32 v3, v7, v3, vcc
	v_and_b32_e32 v7, 7, v3
	v_cmp_lt_i32_e32 vcc, 5, v7
	v_cndmask_b32_e64 v8, 0, 1, vcc
	v_cmp_eq_u32_e32 vcc, 3, v7
	v_cndmask_b32_e64 v7, 0, 1, vcc
	v_or_b32_e32 v7, v7, v8
	v_lshrrev_b32_e32 v3, 2, v3
	v_add_u32_e32 v3, v3, v7
	v_mov_b32_e32 v7, 0x7c00
	v_cmp_gt_i32_e32 vcc, 31, v6
	v_cndmask_b32_e32 v3, v7, v3, vcc
	v_mov_b32_e32 v8, 0x7e00
	v_cmp_ne_u32_e32 vcc, 0, v2
	s_movk_i32 s0, 0x40f
	v_cndmask_b32_e32 v2, v7, v8, vcc
	v_cmp_eq_u32_e32 vcc, s0, v6
	v_cndmask_b32_e32 v2, v3, v2, vcc
	v_lshrrev_b32_e32 v3, 16, v1
	s_mov_b32 s0, 0x8000
	v_and_or_b32 v2, v3, s0, v2
	v_and_b32_e32 v2, 0xffff, v2
	global_store_dword v[4:5], v2, off
.LBB7_2137:
	s_mov_b64 s[0:1], 0
.LBB7_2138:
	s_andn2_b64 vcc, exec, s[0:1]
	s_cbranch_vccnz .LBB7_2147
; %bb.2139:
	s_sext_i32_i16 s2, s14
	s_cmp_lt_i32 s2, 6
	s_mov_b64 s[0:1], -1
	s_cbranch_scc1 .LBB7_2145
; %bb.2140:
	s_cmp_gt_i32 s2, 6
	s_cbranch_scc0 .LBB7_2142
; %bb.2141:
	s_waitcnt vmcnt(0)
	global_store_dwordx2 v[4:5], v[0:1], off
	s_mov_b64 s[0:1], 0
.LBB7_2142:
	s_andn2_b64 vcc, exec, s[0:1]
	s_cbranch_vccnz .LBB7_2144
; %bb.2143:
	s_waitcnt vmcnt(0)
	v_cvt_f32_f64_e32 v2, v[0:1]
	global_store_dword v[4:5], v2, off
.LBB7_2144:
	s_mov_b64 s[0:1], 0
.LBB7_2145:
	s_andn2_b64 vcc, exec, s[0:1]
	s_cbranch_vccnz .LBB7_2147
; %bb.2146:
	s_movk_i32 s0, 0x1ff
	s_waitcnt vmcnt(0)
	v_and_or_b32 v2, v1, s0, v0
	v_cmp_ne_u32_e32 vcc, 0, v2
	v_cndmask_b32_e64 v2, 0, 1, vcc
	v_lshrrev_b32_e32 v3, 8, v1
	s_movk_i32 s0, 0xffe
	v_bfe_u32 v6, v1, 20, 11
	v_and_or_b32 v2, v3, s0, v2
	v_sub_u32_e32 v7, 0x3f1, v6
	v_or_b32_e32 v3, 0x1000, v2
	v_med3_i32 v7, v7, 0, 13
	v_lshrrev_b32_e32 v8, v7, v3
	v_lshlrev_b32_e32 v7, v7, v8
	v_cmp_ne_u32_e32 vcc, v7, v3
	v_cndmask_b32_e64 v3, 0, 1, vcc
	v_add_u32_e32 v6, 0xfffffc10, v6
	v_or_b32_e32 v3, v8, v3
	v_lshl_or_b32 v7, v6, 12, v2
	v_cmp_gt_i32_e32 vcc, 1, v6
	v_cndmask_b32_e32 v3, v7, v3, vcc
	v_and_b32_e32 v7, 7, v3
	v_cmp_lt_i32_e32 vcc, 5, v7
	v_cndmask_b32_e64 v8, 0, 1, vcc
	v_cmp_eq_u32_e32 vcc, 3, v7
	v_cndmask_b32_e64 v7, 0, 1, vcc
	v_or_b32_e32 v7, v7, v8
	v_lshrrev_b32_e32 v3, 2, v3
	v_add_u32_e32 v3, v3, v7
	v_mov_b32_e32 v7, 0x7c00
	v_cmp_gt_i32_e32 vcc, 31, v6
	v_cndmask_b32_e32 v3, v7, v3, vcc
	v_mov_b32_e32 v8, 0x7e00
	v_cmp_ne_u32_e32 vcc, 0, v2
	s_movk_i32 s0, 0x40f
	v_cndmask_b32_e32 v2, v7, v8, vcc
	v_cmp_eq_u32_e32 vcc, s0, v6
	v_cndmask_b32_e32 v2, v3, v2, vcc
	v_lshrrev_b32_e32 v3, 16, v1
	s_mov_b32 s0, 0x8000
	v_and_or_b32 v2, v3, s0, v2
	global_store_short v[4:5], v2, off
.LBB7_2147:
	s_mov_b64 s[0:1], 0
.LBB7_2148:
	s_andn2_b64 vcc, exec, s[0:1]
	s_cbranch_vccnz .LBB7_2164
; %bb.2149:
	s_sext_i32_i16 s2, s14
	s_cmp_lt_i32 s2, 2
	s_mov_b64 s[0:1], -1
	s_cbranch_scc1 .LBB7_2159
; %bb.2150:
	s_cmp_lt_i32 s2, 3
	s_cbranch_scc1 .LBB7_2156
; %bb.2151:
	s_cmp_gt_i32 s2, 3
	s_cbranch_scc0 .LBB7_2153
; %bb.2152:
	s_waitcnt vmcnt(0)
	v_trunc_f64_e32 v[2:3], v[0:1]
	s_movk_i32 s0, 0xffe0
	v_ldexp_f64 v[6:7], v[2:3], s0
	s_mov_b32 s0, 0
	s_mov_b32 s1, 0xc1f00000
	v_floor_f64_e32 v[6:7], v[6:7]
	v_fma_f64 v[2:3], v[6:7], s[0:1], v[2:3]
	v_cvt_i32_f64_e32 v7, v[6:7]
	s_mov_b64 s[0:1], 0
	v_cvt_u32_f64_e32 v6, v[2:3]
	global_store_dwordx2 v[4:5], v[6:7], off
.LBB7_2153:
	s_andn2_b64 vcc, exec, s[0:1]
	s_cbranch_vccnz .LBB7_2155
; %bb.2154:
	s_waitcnt vmcnt(0)
	v_cvt_i32_f64_e32 v2, v[0:1]
	global_store_dword v[4:5], v2, off
.LBB7_2155:
	s_mov_b64 s[0:1], 0
.LBB7_2156:
	s_andn2_b64 vcc, exec, s[0:1]
	s_cbranch_vccnz .LBB7_2158
; %bb.2157:
	s_waitcnt vmcnt(0)
	v_cvt_i32_f64_e32 v2, v[0:1]
	global_store_short v[4:5], v2, off
.LBB7_2158:
	s_mov_b64 s[0:1], 0
.LBB7_2159:
	s_andn2_b64 vcc, exec, s[0:1]
	s_cbranch_vccnz .LBB7_2164
; %bb.2160:
	s_sext_i32_i16 s0, s14
	s_cmp_gt_i32 s0, 0
	s_mov_b64 s[0:1], -1
	s_cbranch_scc0 .LBB7_2162
; %bb.2161:
	s_waitcnt vmcnt(0)
	v_cvt_i32_f64_e32 v2, v[0:1]
	s_mov_b64 s[0:1], 0
	global_store_byte v[4:5], v2, off
.LBB7_2162:
	s_andn2_b64 vcc, exec, s[0:1]
	s_cbranch_vccnz .LBB7_2164
; %bb.2163:
	s_waitcnt vmcnt(0)
	v_trunc_f64_e32 v[0:1], v[0:1]
	s_movk_i32 s0, 0xffe0
	v_ldexp_f64 v[2:3], v[0:1], s0
	s_mov_b32 s0, 0
	s_mov_b32 s1, 0xc1f00000
	v_floor_f64_e32 v[2:3], v[2:3]
	v_fma_f64 v[0:1], v[2:3], s[0:1], v[0:1]
	v_cvt_u32_f64_e32 v0, v[0:1]
	global_store_byte v[4:5], v0, off
	s_endpgm
.LBB7_2164:
	s_endpgm
.LBB7_2165:
	s_mov_b64 s[4:5], 0
	s_mov_b64 s[0:1], -1
	s_branch .LBB7_2121
.LBB7_2166:
	s_trap 2
	s_or_b64 s[2:3], s[2:3], exec
	s_cbranch_execz .LBB7_1631
	s_branch .LBB7_1632
.LBB7_2167:
	s_andn2_saveexec_b64 s[12:13], s[12:13]
	s_cbranch_execz .LBB7_1715
.LBB7_2168:
	s_mov_b32 s17, 0x46000000
	v_add_f32_e64 v3, |v2|, s17
	v_and_b32_e32 v3, 0xff, v3
	v_cmp_ne_u32_e32 vcc, 0, v3
	s_andn2_b64 s[10:11], s[10:11], exec
	s_and_b64 s[18:19], vcc, exec
	s_or_b64 s[10:11], s[10:11], s[18:19]
	s_or_b64 exec, exec, s[12:13]
	v_mov_b32_e32 v5, 0
	s_and_saveexec_b64 s[12:13], s[10:11]
	s_cbranch_execnz .LBB7_1716
	s_branch .LBB7_1717
.LBB7_2169:
	s_trap 2
	s_or_b64 s[2:3], s[2:3], exec
	s_cbranch_execz .LBB7_1763
	s_branch .LBB7_1764
.LBB7_2170:
	s_andn2_saveexec_b64 s[10:11], s[10:11]
	s_cbranch_execz .LBB7_1728
.LBB7_2171:
	s_mov_b32 s12, 0x42800000
	v_add_f32_e64 v3, |v2|, s12
	v_and_b32_e32 v3, 0xff, v3
	v_cmp_ne_u32_e32 vcc, 0, v3
	s_andn2_b64 s[6:7], s[6:7], exec
	s_and_b64 s[12:13], vcc, exec
	s_or_b64 s[6:7], s[6:7], s[12:13]
	s_or_b64 exec, exec, s[10:11]
	v_mov_b32_e32 v5, 0
	s_and_saveexec_b64 s[10:11], s[6:7]
	s_cbranch_execnz .LBB7_1729
	s_branch .LBB7_1730
.LBB7_2172:
	s_andn2_saveexec_b64 s[12:13], s[12:13]
	s_cbranch_execz .LBB7_1834
.LBB7_2173:
	s_mov_b32 s16, 0x46000000
	v_add_f32_e64 v3, |v2|, s16
	v_and_b32_e32 v3, 0xff, v3
	v_cmp_ne_u32_e32 vcc, 0, v3
	s_andn2_b64 s[10:11], s[10:11], exec
	s_and_b64 s[16:17], vcc, exec
	s_or_b64 s[10:11], s[10:11], s[16:17]
	s_or_b64 exec, exec, s[12:13]
	v_mov_b32_e32 v5, 0
	s_and_saveexec_b64 s[12:13], s[10:11]
	s_cbranch_execnz .LBB7_1835
	s_branch .LBB7_1836
.LBB7_2174:
	s_trap 2
	s_or_b64 s[2:3], s[2:3], exec
	s_cbranch_execz .LBB7_1882
	s_branch .LBB7_1883
.LBB7_2175:
	s_andn2_saveexec_b64 s[10:11], s[10:11]
	s_cbranch_execz .LBB7_1847
.LBB7_2176:
	s_mov_b32 s12, 0x42800000
	v_add_f32_e64 v3, |v2|, s12
	v_and_b32_e32 v3, 0xff, v3
	v_cmp_ne_u32_e32 vcc, 0, v3
	s_andn2_b64 s[6:7], s[6:7], exec
	s_and_b64 s[12:13], vcc, exec
	s_or_b64 s[6:7], s[6:7], s[12:13]
	s_or_b64 exec, exec, s[10:11]
	v_mov_b32_e32 v5, 0
	s_and_saveexec_b64 s[10:11], s[6:7]
	s_cbranch_execnz .LBB7_1848
	s_branch .LBB7_1849
.LBB7_2177:
	s_andn2_saveexec_b64 s[12:13], s[12:13]
	s_cbranch_execz .LBB7_1953
.LBB7_2178:
	s_mov_b32 s16, 0x46000000
	v_add_f32_e64 v3, |v2|, s16
	v_and_b32_e32 v3, 0xff, v3
	v_cmp_ne_u32_e32 vcc, 0, v3
	s_andn2_b64 s[10:11], s[10:11], exec
	s_and_b64 s[16:17], vcc, exec
	s_or_b64 s[10:11], s[10:11], s[16:17]
	s_or_b64 exec, exec, s[12:13]
	v_mov_b32_e32 v7, 0
	s_and_saveexec_b64 s[12:13], s[10:11]
	s_cbranch_execnz .LBB7_1954
	s_branch .LBB7_1955
.LBB7_2179:
	s_trap 2
	s_or_b64 s[2:3], s[2:3], exec
	s_cbranch_execz .LBB7_2001
	s_branch .LBB7_2002
.LBB7_2180:
	s_andn2_saveexec_b64 s[10:11], s[10:11]
	s_cbranch_execz .LBB7_1966
.LBB7_2181:
	s_mov_b32 s12, 0x42800000
	v_add_f32_e64 v3, |v2|, s12
	v_and_b32_e32 v3, 0xff, v3
	v_cmp_ne_u32_e32 vcc, 0, v3
	s_andn2_b64 s[6:7], s[6:7], exec
	s_and_b64 s[12:13], vcc, exec
	s_or_b64 s[6:7], s[6:7], s[12:13]
	s_or_b64 exec, exec, s[10:11]
	v_mov_b32_e32 v7, 0
	s_and_saveexec_b64 s[10:11], s[6:7]
	s_cbranch_execnz .LBB7_1967
	s_branch .LBB7_1968
.LBB7_2182:
	s_andn2_saveexec_b64 s[10:11], s[10:11]
	s_cbranch_execz .LBB7_2073
.LBB7_2183:
	s_mov_b32 s13, 0x46000000
	v_add_f32_e64 v3, |v2|, s13
	v_and_b32_e32 v3, 0xff, v3
	v_cmp_ne_u32_e32 vcc, 0, v3
	s_andn2_b64 s[8:9], s[8:9], exec
	s_and_b64 s[16:17], vcc, exec
	s_or_b64 s[8:9], s[8:9], s[16:17]
	s_or_b64 exec, exec, s[10:11]
	v_mov_b32_e32 v6, 0
	s_and_saveexec_b64 s[10:11], s[8:9]
	s_cbranch_execnz .LBB7_2074
	s_branch .LBB7_2075
.LBB7_2184:
	s_mov_b64 s[4:5], 0
	s_or_b64 s[2:3], s[2:3], exec
	s_trap 2
	s_branch .LBB7_2119
.LBB7_2185:
	s_andn2_saveexec_b64 s[8:9], s[8:9]
	s_cbranch_execz .LBB7_2085
.LBB7_2186:
	s_mov_b32 s10, 0x42800000
	v_add_f32_e64 v3, |v2|, s10
	v_and_b32_e32 v3, 0xff, v3
	v_cmp_ne_u32_e32 vcc, 0, v3
	s_andn2_b64 s[6:7], s[6:7], exec
	s_and_b64 s[10:11], vcc, exec
	s_or_b64 s[6:7], s[6:7], s[10:11]
	s_or_b64 exec, exec, s[8:9]
	v_mov_b32_e32 v6, 0
	s_and_saveexec_b64 s[8:9], s[6:7]
	s_cbranch_execnz .LBB7_2086
	s_branch .LBB7_2087
	.section	.rodata,"a",@progbits
	.p2align	6, 0x0
	.amdhsa_kernel _ZN2at6native32elementwise_kernel_manual_unrollILi128ELi4EZNS0_15gpu_kernel_implIZZZNS0_15sin_kernel_cudaERNS_18TensorIteratorBaseEENKUlvE0_clEvENKUlvE_clEvEUldE_EEvS4_RKT_EUlibE0_EEviT1_
		.amdhsa_group_segment_fixed_size 0
		.amdhsa_private_segment_fixed_size 0
		.amdhsa_kernarg_size 360
		.amdhsa_user_sgpr_count 6
		.amdhsa_user_sgpr_private_segment_buffer 1
		.amdhsa_user_sgpr_dispatch_ptr 0
		.amdhsa_user_sgpr_queue_ptr 0
		.amdhsa_user_sgpr_kernarg_segment_ptr 1
		.amdhsa_user_sgpr_dispatch_id 0
		.amdhsa_user_sgpr_flat_scratch_init 0
		.amdhsa_user_sgpr_private_segment_size 0
		.amdhsa_uses_dynamic_stack 0
		.amdhsa_system_sgpr_private_segment_wavefront_offset 0
		.amdhsa_system_sgpr_workgroup_id_x 1
		.amdhsa_system_sgpr_workgroup_id_y 0
		.amdhsa_system_sgpr_workgroup_id_z 0
		.amdhsa_system_sgpr_workgroup_info 0
		.amdhsa_system_vgpr_workitem_id 0
		.amdhsa_next_free_vgpr 61
		.amdhsa_next_free_sgpr 78
		.amdhsa_reserve_vcc 1
		.amdhsa_reserve_flat_scratch 0
		.amdhsa_float_round_mode_32 0
		.amdhsa_float_round_mode_16_64 0
		.amdhsa_float_denorm_mode_32 3
		.amdhsa_float_denorm_mode_16_64 3
		.amdhsa_dx10_clamp 1
		.amdhsa_ieee_mode 1
		.amdhsa_fp16_overflow 0
		.amdhsa_exception_fp_ieee_invalid_op 0
		.amdhsa_exception_fp_denorm_src 0
		.amdhsa_exception_fp_ieee_div_zero 0
		.amdhsa_exception_fp_ieee_overflow 0
		.amdhsa_exception_fp_ieee_underflow 0
		.amdhsa_exception_fp_ieee_inexact 0
		.amdhsa_exception_int_div_zero 0
	.end_amdhsa_kernel
	.section	.text._ZN2at6native32elementwise_kernel_manual_unrollILi128ELi4EZNS0_15gpu_kernel_implIZZZNS0_15sin_kernel_cudaERNS_18TensorIteratorBaseEENKUlvE0_clEvENKUlvE_clEvEUldE_EEvS4_RKT_EUlibE0_EEviT1_,"axG",@progbits,_ZN2at6native32elementwise_kernel_manual_unrollILi128ELi4EZNS0_15gpu_kernel_implIZZZNS0_15sin_kernel_cudaERNS_18TensorIteratorBaseEENKUlvE0_clEvENKUlvE_clEvEUldE_EEvS4_RKT_EUlibE0_EEviT1_,comdat
.Lfunc_end7:
	.size	_ZN2at6native32elementwise_kernel_manual_unrollILi128ELi4EZNS0_15gpu_kernel_implIZZZNS0_15sin_kernel_cudaERNS_18TensorIteratorBaseEENKUlvE0_clEvENKUlvE_clEvEUldE_EEvS4_RKT_EUlibE0_EEviT1_, .Lfunc_end7-_ZN2at6native32elementwise_kernel_manual_unrollILi128ELi4EZNS0_15gpu_kernel_implIZZZNS0_15sin_kernel_cudaERNS_18TensorIteratorBaseEENKUlvE0_clEvENKUlvE_clEvEUldE_EEvS4_RKT_EUlibE0_EEviT1_
                                        ; -- End function
	.set _ZN2at6native32elementwise_kernel_manual_unrollILi128ELi4EZNS0_15gpu_kernel_implIZZZNS0_15sin_kernel_cudaERNS_18TensorIteratorBaseEENKUlvE0_clEvENKUlvE_clEvEUldE_EEvS4_RKT_EUlibE0_EEviT1_.num_vgpr, 61
	.set _ZN2at6native32elementwise_kernel_manual_unrollILi128ELi4EZNS0_15gpu_kernel_implIZZZNS0_15sin_kernel_cudaERNS_18TensorIteratorBaseEENKUlvE0_clEvENKUlvE_clEvEUldE_EEvS4_RKT_EUlibE0_EEviT1_.num_agpr, 0
	.set _ZN2at6native32elementwise_kernel_manual_unrollILi128ELi4EZNS0_15gpu_kernel_implIZZZNS0_15sin_kernel_cudaERNS_18TensorIteratorBaseEENKUlvE0_clEvENKUlvE_clEvEUldE_EEvS4_RKT_EUlibE0_EEviT1_.numbered_sgpr, 78
	.set _ZN2at6native32elementwise_kernel_manual_unrollILi128ELi4EZNS0_15gpu_kernel_implIZZZNS0_15sin_kernel_cudaERNS_18TensorIteratorBaseEENKUlvE0_clEvENKUlvE_clEvEUldE_EEvS4_RKT_EUlibE0_EEviT1_.num_named_barrier, 0
	.set _ZN2at6native32elementwise_kernel_manual_unrollILi128ELi4EZNS0_15gpu_kernel_implIZZZNS0_15sin_kernel_cudaERNS_18TensorIteratorBaseEENKUlvE0_clEvENKUlvE_clEvEUldE_EEvS4_RKT_EUlibE0_EEviT1_.private_seg_size, 0
	.set _ZN2at6native32elementwise_kernel_manual_unrollILi128ELi4EZNS0_15gpu_kernel_implIZZZNS0_15sin_kernel_cudaERNS_18TensorIteratorBaseEENKUlvE0_clEvENKUlvE_clEvEUldE_EEvS4_RKT_EUlibE0_EEviT1_.uses_vcc, 1
	.set _ZN2at6native32elementwise_kernel_manual_unrollILi128ELi4EZNS0_15gpu_kernel_implIZZZNS0_15sin_kernel_cudaERNS_18TensorIteratorBaseEENKUlvE0_clEvENKUlvE_clEvEUldE_EEvS4_RKT_EUlibE0_EEviT1_.uses_flat_scratch, 0
	.set _ZN2at6native32elementwise_kernel_manual_unrollILi128ELi4EZNS0_15gpu_kernel_implIZZZNS0_15sin_kernel_cudaERNS_18TensorIteratorBaseEENKUlvE0_clEvENKUlvE_clEvEUldE_EEvS4_RKT_EUlibE0_EEviT1_.has_dyn_sized_stack, 0
	.set _ZN2at6native32elementwise_kernel_manual_unrollILi128ELi4EZNS0_15gpu_kernel_implIZZZNS0_15sin_kernel_cudaERNS_18TensorIteratorBaseEENKUlvE0_clEvENKUlvE_clEvEUldE_EEvS4_RKT_EUlibE0_EEviT1_.has_recursion, 0
	.set _ZN2at6native32elementwise_kernel_manual_unrollILi128ELi4EZNS0_15gpu_kernel_implIZZZNS0_15sin_kernel_cudaERNS_18TensorIteratorBaseEENKUlvE0_clEvENKUlvE_clEvEUldE_EEvS4_RKT_EUlibE0_EEviT1_.has_indirect_call, 0
	.section	.AMDGPU.csdata,"",@progbits
; Kernel info:
; codeLenInByte = 51252
; TotalNumSgprs: 82
; NumVgprs: 61
; ScratchSize: 0
; MemoryBound: 1
; FloatMode: 240
; IeeeMode: 1
; LDSByteSize: 0 bytes/workgroup (compile time only)
; SGPRBlocks: 10
; VGPRBlocks: 15
; NumSGPRsForWavesPerEU: 82
; NumVGPRsForWavesPerEU: 61
; Occupancy: 4
; WaveLimiterHint : 1
; COMPUTE_PGM_RSRC2:SCRATCH_EN: 0
; COMPUTE_PGM_RSRC2:USER_SGPR: 6
; COMPUTE_PGM_RSRC2:TRAP_HANDLER: 0
; COMPUTE_PGM_RSRC2:TGID_X_EN: 1
; COMPUTE_PGM_RSRC2:TGID_Y_EN: 0
; COMPUTE_PGM_RSRC2:TGID_Z_EN: 0
; COMPUTE_PGM_RSRC2:TIDIG_COMP_CNT: 0
	.section	.text._ZN2at6native29vectorized_elementwise_kernelILi16EZZZNS0_15sin_kernel_cudaERNS_18TensorIteratorBaseEENKUlvE0_clEvENKUlvE0_clEvEUlfE_St5arrayIPcLm2EEEEviT0_T1_,"axG",@progbits,_ZN2at6native29vectorized_elementwise_kernelILi16EZZZNS0_15sin_kernel_cudaERNS_18TensorIteratorBaseEENKUlvE0_clEvENKUlvE0_clEvEUlfE_St5arrayIPcLm2EEEEviT0_T1_,comdat
	.globl	_ZN2at6native29vectorized_elementwise_kernelILi16EZZZNS0_15sin_kernel_cudaERNS_18TensorIteratorBaseEENKUlvE0_clEvENKUlvE0_clEvEUlfE_St5arrayIPcLm2EEEEviT0_T1_ ; -- Begin function _ZN2at6native29vectorized_elementwise_kernelILi16EZZZNS0_15sin_kernel_cudaERNS_18TensorIteratorBaseEENKUlvE0_clEvENKUlvE0_clEvEUlfE_St5arrayIPcLm2EEEEviT0_T1_
	.p2align	8
	.type	_ZN2at6native29vectorized_elementwise_kernelILi16EZZZNS0_15sin_kernel_cudaERNS_18TensorIteratorBaseEENKUlvE0_clEvENKUlvE0_clEvEUlfE_St5arrayIPcLm2EEEEviT0_T1_,@function
_ZN2at6native29vectorized_elementwise_kernelILi16EZZZNS0_15sin_kernel_cudaERNS_18TensorIteratorBaseEENKUlvE0_clEvENKUlvE0_clEvEUlfE_St5arrayIPcLm2EEEEviT0_T1_: ; @_ZN2at6native29vectorized_elementwise_kernelILi16EZZZNS0_15sin_kernel_cudaERNS_18TensorIteratorBaseEENKUlvE0_clEvENKUlvE0_clEvEUlfE_St5arrayIPcLm2EEEEviT0_T1_
; %bb.0:
	s_load_dword s0, s[4:5], 0x0
	s_load_dwordx4 s[8:11], s[4:5], 0x8
	s_lshl_b32 s12, s6, 10
	s_waitcnt lgkmcnt(0)
	s_sub_i32 s16, s0, s12
	s_cmpk_gt_i32 s16, 0x3ff
	s_mov_b64 s[0:1], -1
	s_cbranch_scc0 .LBB8_18
; %bb.1:
	s_ashr_i32 s13, s12, 31
	s_lshl_b64 s[6:7], s[12:13], 2
	s_add_u32 s0, s10, s6
	s_addc_u32 s1, s11, s7
	v_lshlrev_b32_e32 v7, 4, v0
	global_load_dwordx4 v[1:4], v7, s[0:1]
	s_brev_b32 s0, 18
	v_mov_b32_e32 v6, 0
                                        ; implicit-def: $vgpr9
                                        ; implicit-def: $vgpr5
	s_waitcnt vmcnt(0)
	v_and_b32_e32 v8, 0x7fffffff, v1
	v_cmp_nlt_f32_e64 s[0:1], |v1|, s0
	s_and_saveexec_b64 s[2:3], s[0:1]
	s_xor_b64 s[14:15], exec, s[2:3]
	s_cbranch_execz .LBB8_3
; %bb.2:
	v_and_b32_e32 v5, 0x7fffff, v8
	v_or_b32_e32 v16, 0x800000, v5
	s_mov_b32 s0, 0xfe5163ab
	v_mad_u64_u32 v[9:10], s[0:1], v16, s0, 0
	s_mov_b32 s0, 0x3c439041
	v_lshrrev_b32_e32 v14, 23, v8
	v_mov_b32_e32 v5, v10
	v_mad_u64_u32 v[10:11], s[0:1], v16, s0, v[5:6]
	s_mov_b32 s0, 0xdb629599
	v_add_u32_e32 v17, 0xffffff88, v14
	v_mov_b32_e32 v5, v11
	v_mad_u64_u32 v[11:12], s[0:1], v16, s0, v[5:6]
	s_mov_b32 s0, 0xf534ddc0
	v_not_b32_e32 v15, 63
	v_mov_b32_e32 v5, v12
	v_mad_u64_u32 v[12:13], s[0:1], v16, s0, v[5:6]
	s_mov_b32 s0, 0xfc2757d1
	v_cmp_lt_u32_e32 vcc, 63, v17
	v_mov_b32_e32 v5, v13
	v_mad_u64_u32 v[13:14], s[0:1], v16, s0, v[5:6]
	v_cndmask_b32_e32 v5, 0, v15, vcc
	v_add_u32_e32 v17, v5, v17
	v_mov_b32_e32 v5, v14
	s_mov_b32 s0, 0x4e441529
	v_mad_u64_u32 v[14:15], s[0:1], v16, s0, v[5:6]
	v_not_b32_e32 v18, 31
	v_cmp_lt_u32_e64 s[0:1], 31, v17
	v_cndmask_b32_e64 v5, 0, v18, s[0:1]
	v_add_u32_e32 v17, v5, v17
	v_mov_b32_e32 v5, v15
	s_mov_b32 s2, 0xa2f9836e
	v_mad_u64_u32 v[5:6], s[2:3], v16, s2, v[5:6]
	v_cmp_lt_u32_e64 s[2:3], 31, v17
	v_cndmask_b32_e64 v15, 0, v18, s[2:3]
	v_cndmask_b32_e32 v16, v14, v12, vcc
	v_cndmask_b32_e32 v5, v5, v13, vcc
	;; [unrolled: 1-line block ×3, first 2 shown]
	v_add_u32_e32 v15, v15, v17
	v_cndmask_b32_e64 v17, v5, v16, s[0:1]
	v_cndmask_b32_e64 v5, v6, v5, s[0:1]
	v_cndmask_b32_e32 v6, v13, v11, vcc
	v_cndmask_b32_e64 v13, v16, v6, s[0:1]
	v_cndmask_b32_e64 v5, v5, v17, s[2:3]
	;; [unrolled: 1-line block ×3, first 2 shown]
	v_sub_u32_e32 v16, 32, v15
	v_alignbit_b32 v17, v5, v14, v16
	v_cmp_eq_u32_e64 s[4:5], 0, v15
	v_cndmask_b32_e64 v15, v17, v5, s[4:5]
	v_cndmask_b32_e32 v5, v12, v10, vcc
	v_cndmask_b32_e64 v6, v6, v5, s[0:1]
	v_cndmask_b32_e64 v10, v13, v6, s[2:3]
	v_alignbit_b32 v12, v14, v10, v16
	v_cndmask_b32_e32 v9, v11, v9, vcc
	v_cndmask_b32_e64 v12, v12, v14, s[4:5]
	v_bfe_u32 v17, v15, 29, 1
	v_cndmask_b32_e64 v5, v5, v9, s[0:1]
	v_alignbit_b32 v13, v15, v12, 30
	v_sub_u32_e32 v18, 0, v17
	v_cndmask_b32_e64 v5, v6, v5, s[2:3]
	v_xor_b32_e32 v13, v13, v18
	v_alignbit_b32 v6, v10, v5, v16
	v_cndmask_b32_e64 v6, v6, v10, s[4:5]
	v_ffbh_u32_e32 v10, v13
	v_alignbit_b32 v9, v12, v6, 30
	v_min_u32_e32 v10, 32, v10
	v_alignbit_b32 v5, v6, v5, 30
	v_xor_b32_e32 v9, v9, v18
	v_sub_u32_e32 v11, 31, v10
	v_xor_b32_e32 v5, v5, v18
	v_alignbit_b32 v12, v13, v9, v11
	v_alignbit_b32 v5, v9, v5, v11
	;; [unrolled: 1-line block ×3, first 2 shown]
	v_ffbh_u32_e32 v9, v6
	v_min_u32_e32 v9, 32, v9
	v_lshrrev_b32_e32 v14, 29, v15
	v_not_b32_e32 v11, v9
	v_alignbit_b32 v5, v6, v5, v11
	v_lshlrev_b32_e32 v6, 31, v14
	v_or_b32_e32 v11, 0x33000000, v6
	v_add_lshl_u32 v9, v9, v10, 23
	v_lshrrev_b32_e32 v5, 9, v5
	v_sub_u32_e32 v9, v11, v9
	v_or_b32_e32 v6, 0.5, v6
	v_lshlrev_b32_e32 v10, 23, v10
	v_or_b32_e32 v5, v9, v5
	v_lshrrev_b32_e32 v9, 9, v12
	v_sub_u32_e32 v6, v6, v10
	v_or_b32_e32 v6, v9, v6
	s_mov_b32 s0, 0x3fc90fda
	v_mul_f32_e32 v9, 0x3fc90fda, v6
	v_fma_f32 v10, v6, s0, -v9
	v_fmac_f32_e32 v10, 0x33a22168, v6
	v_fmac_f32_e32 v10, 0x3fc90fda, v5
	v_lshrrev_b32_e32 v6, 30, v15
	v_add_f32_e32 v5, v9, v10
	v_add_u32_e32 v9, v17, v6
.LBB8_3:
	s_andn2_saveexec_b64 s[0:1], s[14:15]
	s_cbranch_execz .LBB8_5
; %bb.4:
	s_mov_b32 s2, 0x3f22f983
	v_mul_f32_e64 v5, |v1|, s2
	v_rndne_f32_e32 v6, v5
	s_mov_b32 s2, 0xbfc90fda
	v_cvt_i32_f32_e32 v9, v6
	v_fma_f32 v5, v6, s2, |v1|
	v_fmac_f32_e32 v5, 0xb3a22168, v6
	v_fmac_f32_e32 v5, 0xa7c234c4, v6
.LBB8_5:
	s_or_b64 exec, exec, s[0:1]
	s_brev_b32 s0, 18
	v_and_b32_e32 v6, 0x7fffffff, v2
	v_cmp_nlt_f32_e64 s[0:1], |v2|, s0
                                        ; implicit-def: $vgpr11
                                        ; implicit-def: $vgpr10
	s_and_saveexec_b64 s[2:3], s[0:1]
	s_xor_b64 s[14:15], exec, s[2:3]
	s_cbranch_execz .LBB8_7
; %bb.6:
	v_and_b32_e32 v10, 0x7fffff, v6
	v_or_b32_e32 v19, 0x800000, v10
	s_mov_b32 s0, 0xfe5163ab
	v_mad_u64_u32 v[10:11], s[0:1], v19, s0, 0
	v_mov_b32_e32 v12, 0
	s_mov_b32 s0, 0x3c439041
	v_mad_u64_u32 v[13:14], s[0:1], v19, s0, v[11:12]
	s_mov_b32 s0, 0xdb629599
	v_not_b32_e32 v18, 63
	v_mov_b32_e32 v11, v14
	v_mad_u64_u32 v[14:15], s[0:1], v19, s0, v[11:12]
	s_mov_b32 s0, 0xf534ddc0
	v_not_b32_e32 v21, 31
	v_mov_b32_e32 v11, v15
	v_mad_u64_u32 v[15:16], s[0:1], v19, s0, v[11:12]
	v_lshrrev_b32_e32 v11, 23, v6
	v_add_u32_e32 v20, 0xffffff88, v11
	v_mov_b32_e32 v11, v16
	s_mov_b32 s0, 0xfc2757d1
	v_mad_u64_u32 v[16:17], s[0:1], v19, s0, v[11:12]
	v_cmp_lt_u32_e32 vcc, 63, v20
	v_cndmask_b32_e32 v11, 0, v18, vcc
	v_add_u32_e32 v20, v11, v20
	v_mov_b32_e32 v11, v17
	s_mov_b32 s0, 0x4e441529
	v_mad_u64_u32 v[17:18], s[0:1], v19, s0, v[11:12]
	v_cmp_lt_u32_e64 s[0:1], 31, v20
	v_cndmask_b32_e64 v11, 0, v21, s[0:1]
	v_add_u32_e32 v20, v11, v20
	v_mov_b32_e32 v11, v18
	s_mov_b32 s2, 0xa2f9836e
	v_mad_u64_u32 v[11:12], s[2:3], v19, s2, v[11:12]
	v_cmp_lt_u32_e64 s[2:3], 31, v20
	v_cndmask_b32_e64 v18, 0, v21, s[2:3]
	v_cndmask_b32_e32 v19, v17, v15, vcc
	v_cndmask_b32_e32 v11, v11, v16, vcc
	;; [unrolled: 1-line block ×3, first 2 shown]
	v_add_u32_e32 v18, v18, v20
	v_cndmask_b32_e64 v20, v11, v19, s[0:1]
	v_cndmask_b32_e64 v11, v12, v11, s[0:1]
	v_cndmask_b32_e32 v12, v16, v14, vcc
	v_cndmask_b32_e64 v16, v19, v12, s[0:1]
	v_cndmask_b32_e32 v13, v15, v13, vcc
	v_cndmask_b32_e64 v11, v11, v20, s[2:3]
	v_cndmask_b32_e64 v17, v20, v16, s[2:3]
	v_sub_u32_e32 v19, 32, v18
	v_cndmask_b32_e64 v12, v12, v13, s[0:1]
	v_alignbit_b32 v20, v11, v17, v19
	v_cmp_eq_u32_e64 s[4:5], 0, v18
	v_cndmask_b32_e64 v15, v16, v12, s[2:3]
	v_cndmask_b32_e64 v11, v20, v11, s[4:5]
	v_alignbit_b32 v16, v17, v15, v19
	v_cndmask_b32_e32 v10, v14, v10, vcc
	v_cndmask_b32_e64 v16, v16, v17, s[4:5]
	v_bfe_u32 v20, v11, 29, 1
	v_cndmask_b32_e64 v10, v13, v10, s[0:1]
	v_alignbit_b32 v17, v11, v16, 30
	v_sub_u32_e32 v21, 0, v20
	v_cndmask_b32_e64 v10, v12, v10, s[2:3]
	v_xor_b32_e32 v17, v17, v21
	v_alignbit_b32 v12, v15, v10, v19
	v_cndmask_b32_e64 v12, v12, v15, s[4:5]
	v_ffbh_u32_e32 v14, v17
	v_alignbit_b32 v13, v16, v12, 30
	v_min_u32_e32 v14, 32, v14
	v_alignbit_b32 v10, v12, v10, 30
	v_xor_b32_e32 v13, v13, v21
	v_sub_u32_e32 v15, 31, v14
	v_xor_b32_e32 v10, v10, v21
	v_alignbit_b32 v16, v17, v13, v15
	v_alignbit_b32 v10, v13, v10, v15
	;; [unrolled: 1-line block ×3, first 2 shown]
	v_ffbh_u32_e32 v13, v12
	v_min_u32_e32 v13, 32, v13
	v_lshrrev_b32_e32 v18, 29, v11
	v_not_b32_e32 v15, v13
	v_alignbit_b32 v10, v12, v10, v15
	v_lshlrev_b32_e32 v12, 31, v18
	v_or_b32_e32 v15, 0x33000000, v12
	v_add_lshl_u32 v13, v13, v14, 23
	v_lshrrev_b32_e32 v10, 9, v10
	v_sub_u32_e32 v13, v15, v13
	v_or_b32_e32 v12, 0.5, v12
	v_lshlrev_b32_e32 v14, 23, v14
	v_or_b32_e32 v10, v13, v10
	v_lshrrev_b32_e32 v13, 9, v16
	v_sub_u32_e32 v12, v12, v14
	v_or_b32_e32 v12, v13, v12
	s_mov_b32 s0, 0x3fc90fda
	v_mul_f32_e32 v13, 0x3fc90fda, v12
	v_fma_f32 v14, v12, s0, -v13
	v_fmac_f32_e32 v14, 0x33a22168, v12
	v_fmac_f32_e32 v14, 0x3fc90fda, v10
	v_lshrrev_b32_e32 v11, 30, v11
	v_add_f32_e32 v10, v13, v14
	v_add_u32_e32 v11, v20, v11
.LBB8_7:
	s_andn2_saveexec_b64 s[0:1], s[14:15]
	s_cbranch_execz .LBB8_9
; %bb.8:
	s_mov_b32 s2, 0x3f22f983
	v_mul_f32_e64 v10, |v2|, s2
	v_rndne_f32_e32 v12, v10
	s_mov_b32 s2, 0xbfc90fda
	v_cvt_i32_f32_e32 v11, v12
	v_fma_f32 v10, v12, s2, |v2|
	v_fmac_f32_e32 v10, 0xb3a22168, v12
	v_fmac_f32_e32 v10, 0xa7c234c4, v12
.LBB8_9:
	s_or_b64 exec, exec, s[0:1]
	s_brev_b32 s0, 18
	v_and_b32_e32 v12, 0x7fffffff, v3
	v_cmp_nlt_f32_e64 s[0:1], |v3|, s0
                                        ; implicit-def: $vgpr15
                                        ; implicit-def: $vgpr14
	s_and_saveexec_b64 s[2:3], s[0:1]
	s_xor_b64 s[14:15], exec, s[2:3]
	s_cbranch_execz .LBB8_11
; %bb.10:
	v_and_b32_e32 v13, 0x7fffff, v12
	v_or_b32_e32 v22, 0x800000, v13
	s_mov_b32 s0, 0xfe5163ab
	v_mad_u64_u32 v[13:14], s[0:1], v22, s0, 0
	v_mov_b32_e32 v15, 0
	s_mov_b32 s0, 0x3c439041
	v_mad_u64_u32 v[16:17], s[0:1], v22, s0, v[14:15]
	s_mov_b32 s0, 0xdb629599
	v_not_b32_e32 v21, 63
	v_mov_b32_e32 v14, v17
	v_mad_u64_u32 v[17:18], s[0:1], v22, s0, v[14:15]
	s_mov_b32 s0, 0xf534ddc0
	v_not_b32_e32 v24, 31
	v_mov_b32_e32 v14, v18
	v_mad_u64_u32 v[18:19], s[0:1], v22, s0, v[14:15]
	v_lshrrev_b32_e32 v14, 23, v12
	v_add_u32_e32 v23, 0xffffff88, v14
	v_mov_b32_e32 v14, v19
	s_mov_b32 s0, 0xfc2757d1
	v_mad_u64_u32 v[19:20], s[0:1], v22, s0, v[14:15]
	v_cmp_lt_u32_e32 vcc, 63, v23
	v_cndmask_b32_e32 v14, 0, v21, vcc
	v_add_u32_e32 v23, v14, v23
	v_mov_b32_e32 v14, v20
	s_mov_b32 s0, 0x4e441529
	v_mad_u64_u32 v[20:21], s[0:1], v22, s0, v[14:15]
	v_cmp_lt_u32_e64 s[0:1], 31, v23
	v_cndmask_b32_e64 v14, 0, v24, s[0:1]
	v_add_u32_e32 v23, v14, v23
	v_mov_b32_e32 v14, v21
	s_mov_b32 s2, 0xa2f9836e
	v_mad_u64_u32 v[14:15], s[2:3], v22, s2, v[14:15]
	v_cmp_lt_u32_e64 s[2:3], 31, v23
	v_cndmask_b32_e64 v21, 0, v24, s[2:3]
	v_cndmask_b32_e32 v22, v20, v18, vcc
	v_cndmask_b32_e32 v14, v14, v19, vcc
	;; [unrolled: 1-line block ×3, first 2 shown]
	v_add_u32_e32 v21, v21, v23
	v_cndmask_b32_e64 v23, v14, v22, s[0:1]
	v_cndmask_b32_e64 v14, v15, v14, s[0:1]
	v_cndmask_b32_e32 v15, v19, v17, vcc
	v_cndmask_b32_e64 v19, v22, v15, s[0:1]
	v_cndmask_b32_e64 v14, v14, v23, s[2:3]
	;; [unrolled: 1-line block ×3, first 2 shown]
	v_sub_u32_e32 v22, 32, v21
	v_alignbit_b32 v23, v14, v20, v22
	v_cmp_eq_u32_e64 s[4:5], 0, v21
	v_cndmask_b32_e64 v21, v23, v14, s[4:5]
	v_cndmask_b32_e32 v14, v18, v16, vcc
	v_cndmask_b32_e64 v15, v15, v14, s[0:1]
	v_cndmask_b32_e64 v16, v19, v15, s[2:3]
	v_alignbit_b32 v18, v20, v16, v22
	v_cndmask_b32_e32 v13, v17, v13, vcc
	v_cndmask_b32_e64 v18, v18, v20, s[4:5]
	v_bfe_u32 v23, v21, 29, 1
	v_cndmask_b32_e64 v13, v14, v13, s[0:1]
	v_alignbit_b32 v19, v21, v18, 30
	v_sub_u32_e32 v24, 0, v23
	v_cndmask_b32_e64 v13, v15, v13, s[2:3]
	v_xor_b32_e32 v19, v19, v24
	v_alignbit_b32 v14, v16, v13, v22
	v_cndmask_b32_e64 v14, v14, v16, s[4:5]
	v_ffbh_u32_e32 v16, v19
	v_alignbit_b32 v15, v18, v14, 30
	v_min_u32_e32 v16, 32, v16
	v_alignbit_b32 v13, v14, v13, 30
	v_xor_b32_e32 v15, v15, v24
	v_sub_u32_e32 v17, 31, v16
	v_xor_b32_e32 v13, v13, v24
	v_alignbit_b32 v18, v19, v15, v17
	v_alignbit_b32 v13, v15, v13, v17
	;; [unrolled: 1-line block ×3, first 2 shown]
	v_ffbh_u32_e32 v15, v14
	v_min_u32_e32 v15, 32, v15
	v_lshrrev_b32_e32 v20, 29, v21
	v_not_b32_e32 v17, v15
	v_alignbit_b32 v13, v14, v13, v17
	v_lshlrev_b32_e32 v14, 31, v20
	v_or_b32_e32 v17, 0x33000000, v14
	v_add_lshl_u32 v15, v15, v16, 23
	v_lshrrev_b32_e32 v13, 9, v13
	v_sub_u32_e32 v15, v17, v15
	v_or_b32_e32 v14, 0.5, v14
	v_lshlrev_b32_e32 v16, 23, v16
	v_or_b32_e32 v13, v15, v13
	v_lshrrev_b32_e32 v15, 9, v18
	v_sub_u32_e32 v14, v14, v16
	v_or_b32_e32 v14, v15, v14
	s_mov_b32 s0, 0x3fc90fda
	v_mul_f32_e32 v15, 0x3fc90fda, v14
	v_fma_f32 v16, v14, s0, -v15
	v_fmac_f32_e32 v16, 0x33a22168, v14
	v_fmac_f32_e32 v16, 0x3fc90fda, v13
	v_lshrrev_b32_e32 v13, 30, v21
	v_add_f32_e32 v14, v15, v16
	v_add_u32_e32 v15, v23, v13
.LBB8_11:
	s_andn2_saveexec_b64 s[0:1], s[14:15]
	s_cbranch_execz .LBB8_13
; %bb.12:
	s_mov_b32 s2, 0x3f22f983
	v_mul_f32_e64 v13, |v3|, s2
	v_rndne_f32_e32 v13, v13
	s_mov_b32 s2, 0xbfc90fda
	v_cvt_i32_f32_e32 v15, v13
	v_fma_f32 v14, v13, s2, |v3|
	v_fmac_f32_e32 v14, 0xb3a22168, v13
	v_fmac_f32_e32 v14, 0xa7c234c4, v13
.LBB8_13:
	s_or_b64 exec, exec, s[0:1]
	s_brev_b32 s0, 18
	v_and_b32_e32 v13, 0x7fffffff, v4
	v_cmp_nlt_f32_e64 s[0:1], |v4|, s0
                                        ; implicit-def: $vgpr16
                                        ; implicit-def: $vgpr17
	s_and_saveexec_b64 s[2:3], s[0:1]
	s_xor_b64 s[14:15], exec, s[2:3]
	s_cbranch_execz .LBB8_15
; %bb.14:
	v_and_b32_e32 v16, 0x7fffff, v13
	v_or_b32_e32 v25, 0x800000, v16
	s_mov_b32 s0, 0xfe5163ab
	v_mad_u64_u32 v[16:17], s[0:1], v25, s0, 0
	v_mov_b32_e32 v18, 0
	s_mov_b32 s0, 0x3c439041
	v_mad_u64_u32 v[19:20], s[0:1], v25, s0, v[17:18]
	s_mov_b32 s0, 0xdb629599
	v_not_b32_e32 v24, 63
	v_mov_b32_e32 v17, v20
	v_mad_u64_u32 v[20:21], s[0:1], v25, s0, v[17:18]
	s_mov_b32 s0, 0xf534ddc0
	v_not_b32_e32 v27, 31
	v_mov_b32_e32 v17, v21
	v_mad_u64_u32 v[21:22], s[0:1], v25, s0, v[17:18]
	v_lshrrev_b32_e32 v17, 23, v13
	v_add_u32_e32 v26, 0xffffff88, v17
	v_mov_b32_e32 v17, v22
	s_mov_b32 s0, 0xfc2757d1
	v_mad_u64_u32 v[22:23], s[0:1], v25, s0, v[17:18]
	v_cmp_lt_u32_e32 vcc, 63, v26
	v_cndmask_b32_e32 v17, 0, v24, vcc
	v_add_u32_e32 v26, v17, v26
	v_mov_b32_e32 v17, v23
	s_mov_b32 s0, 0x4e441529
	v_mad_u64_u32 v[23:24], s[0:1], v25, s0, v[17:18]
	v_cmp_lt_u32_e64 s[0:1], 31, v26
	v_cndmask_b32_e64 v17, 0, v27, s[0:1]
	v_add_u32_e32 v26, v17, v26
	v_mov_b32_e32 v17, v24
	s_mov_b32 s2, 0xa2f9836e
	v_mad_u64_u32 v[17:18], s[2:3], v25, s2, v[17:18]
	v_cmp_lt_u32_e64 s[2:3], 31, v26
	v_cndmask_b32_e64 v24, 0, v27, s[2:3]
	v_cndmask_b32_e32 v25, v23, v21, vcc
	v_cndmask_b32_e32 v17, v17, v22, vcc
	;; [unrolled: 1-line block ×3, first 2 shown]
	v_add_u32_e32 v24, v24, v26
	v_cndmask_b32_e64 v26, v17, v25, s[0:1]
	v_cndmask_b32_e64 v17, v18, v17, s[0:1]
	v_cndmask_b32_e32 v18, v22, v20, vcc
	v_cndmask_b32_e64 v22, v25, v18, s[0:1]
	v_cndmask_b32_e64 v17, v17, v26, s[2:3]
	;; [unrolled: 1-line block ×3, first 2 shown]
	v_sub_u32_e32 v25, 32, v24
	v_alignbit_b32 v26, v17, v23, v25
	v_cmp_eq_u32_e64 s[4:5], 0, v24
	v_cndmask_b32_e64 v24, v26, v17, s[4:5]
	v_cndmask_b32_e32 v17, v21, v19, vcc
	v_cndmask_b32_e64 v18, v18, v17, s[0:1]
	v_cndmask_b32_e64 v19, v22, v18, s[2:3]
	v_alignbit_b32 v21, v23, v19, v25
	v_cndmask_b32_e32 v16, v20, v16, vcc
	v_cndmask_b32_e64 v21, v21, v23, s[4:5]
	v_bfe_u32 v26, v24, 29, 1
	v_cndmask_b32_e64 v16, v17, v16, s[0:1]
	v_alignbit_b32 v22, v24, v21, 30
	v_sub_u32_e32 v27, 0, v26
	v_cndmask_b32_e64 v16, v18, v16, s[2:3]
	v_xor_b32_e32 v22, v22, v27
	v_alignbit_b32 v17, v19, v16, v25
	v_cndmask_b32_e64 v17, v17, v19, s[4:5]
	v_ffbh_u32_e32 v19, v22
	v_alignbit_b32 v18, v21, v17, 30
	v_min_u32_e32 v19, 32, v19
	v_alignbit_b32 v16, v17, v16, 30
	v_xor_b32_e32 v18, v18, v27
	v_sub_u32_e32 v20, 31, v19
	v_xor_b32_e32 v16, v16, v27
	v_alignbit_b32 v21, v22, v18, v20
	v_alignbit_b32 v16, v18, v16, v20
	;; [unrolled: 1-line block ×3, first 2 shown]
	v_ffbh_u32_e32 v18, v17
	v_min_u32_e32 v18, 32, v18
	v_lshrrev_b32_e32 v23, 29, v24
	v_not_b32_e32 v20, v18
	v_alignbit_b32 v16, v17, v16, v20
	v_lshlrev_b32_e32 v17, 31, v23
	v_or_b32_e32 v20, 0x33000000, v17
	v_add_lshl_u32 v18, v18, v19, 23
	v_lshrrev_b32_e32 v16, 9, v16
	v_sub_u32_e32 v18, v20, v18
	v_or_b32_e32 v17, 0.5, v17
	v_lshlrev_b32_e32 v19, 23, v19
	v_or_b32_e32 v16, v18, v16
	v_lshrrev_b32_e32 v18, 9, v21
	v_sub_u32_e32 v17, v17, v19
	v_or_b32_e32 v17, v18, v17
	s_mov_b32 s0, 0x3fc90fda
	v_mul_f32_e32 v18, 0x3fc90fda, v17
	v_fma_f32 v19, v17, s0, -v18
	v_fmac_f32_e32 v19, 0x33a22168, v17
	v_fmac_f32_e32 v19, 0x3fc90fda, v16
	v_lshrrev_b32_e32 v16, 30, v24
	v_add_f32_e32 v17, v18, v19
	v_add_u32_e32 v16, v26, v16
.LBB8_15:
	s_andn2_saveexec_b64 s[0:1], s[14:15]
	s_cbranch_execz .LBB8_17
; %bb.16:
	s_mov_b32 s2, 0x3f22f983
	v_mul_f32_e64 v16, |v4|, s2
	v_rndne_f32_e32 v18, v16
	s_mov_b32 s2, 0xbfc90fda
	v_cvt_i32_f32_e32 v16, v18
	v_fma_f32 v17, v18, s2, |v4|
	v_fmac_f32_e32 v17, 0xb3a22168, v18
	v_fmac_f32_e32 v17, 0xa7c234c4, v18
.LBB8_17:
	s_or_b64 exec, exec, s[0:1]
	v_lshlrev_b32_e32 v18, 30, v15
	v_xor_b32_e32 v12, v12, v3
	v_and_b32_e32 v18, 0x80000000, v18
	v_xor_b32_e32 v12, v12, v18
	v_mul_f32_e32 v18, v14, v14
	v_mov_b32_e32 v20, 0x3c0881c4
	v_mov_b32_e32 v22, 0xbab64f3b
	v_fmac_f32_e32 v20, 0xb94c1982, v18
	v_mov_b32_e32 v21, 0xbe2aaa9d
	v_fmac_f32_e32 v22, 0x37d75334, v18
	v_mov_b32_e32 v23, 0x3d2aabf7
	v_fma_f32 v20, v18, v20, v21
	v_fma_f32 v22, v18, v22, v23
	v_mov_b32_e32 v24, 0xbf000004
	v_and_b32_e32 v15, 1, v15
	v_mul_f32_e32 v20, v18, v20
	v_fma_f32 v22, v18, v22, v24
	v_fmac_f32_e32 v14, v14, v20
	v_fma_f32 v18, v18, v22, 1.0
	v_cmp_eq_u32_e32 vcc, 0, v15
	s_movk_i32 s0, 0x1f8
	v_cndmask_b32_e32 v14, v18, v14, vcc
	v_xor_b32_e32 v12, v12, v14
	v_mov_b32_e32 v14, 0x7fc00000
	v_cmp_class_f32_e64 vcc, v3, s0
	v_cndmask_b32_e32 v3, v14, v12, vcc
	v_lshlrev_b32_e32 v12, 30, v11
	v_xor_b32_e32 v6, v6, v2
	v_and_b32_e32 v12, 0x80000000, v12
	v_xor_b32_e32 v6, v6, v12
	v_mul_f32_e32 v12, v10, v10
	v_mov_b32_e32 v15, 0x3c0881c4
	v_fmac_f32_e32 v15, 0xb94c1982, v12
	v_fma_f32 v15, v12, v15, v21
	v_mul_f32_e32 v15, v12, v15
	v_fmac_f32_e32 v10, v10, v15
	v_mov_b32_e32 v15, 0xbab64f3b
	v_fmac_f32_e32 v15, 0x37d75334, v12
	v_fma_f32 v15, v12, v15, v23
	v_and_b32_e32 v11, 1, v11
	v_fma_f32 v15, v12, v15, v24
	v_fma_f32 v12, v12, v15, 1.0
	v_cmp_eq_u32_e32 vcc, 0, v11
	v_cndmask_b32_e32 v10, v12, v10, vcc
	v_xor_b32_e32 v6, v6, v10
	v_cmp_class_f32_e64 vcc, v2, s0
	v_cndmask_b32_e32 v2, v14, v6, vcc
	v_xor_b32_e32 v6, v8, v1
	v_lshlrev_b32_e32 v8, 30, v9
	v_and_b32_e32 v8, 0x80000000, v8
	v_xor_b32_e32 v6, v6, v8
	v_and_b32_e32 v8, 1, v9
	v_mul_f32_e32 v9, v5, v5
	v_mov_b32_e32 v10, 0x3c0881c4
	v_fmac_f32_e32 v10, 0xb94c1982, v9
	v_fma_f32 v10, v9, v10, v21
	v_mul_f32_e32 v10, v9, v10
	v_fmac_f32_e32 v5, v5, v10
	v_mov_b32_e32 v10, 0xbab64f3b
	v_fmac_f32_e32 v10, 0x37d75334, v9
	v_fma_f32 v10, v9, v10, v23
	v_fma_f32 v10, v9, v10, v24
	v_fma_f32 v9, v9, v10, 1.0
	v_cmp_eq_u32_e32 vcc, 0, v8
	v_cndmask_b32_e32 v5, v9, v5, vcc
	v_xor_b32_e32 v5, v6, v5
	v_cmp_class_f32_e64 vcc, v1, s0
	v_mov_b32_e32 v19, 0x3c0881c4
	v_cndmask_b32_e32 v1, v14, v5, vcc
	v_mul_f32_e32 v5, v17, v17
	v_fmac_f32_e32 v19, 0xb94c1982, v5
	v_mov_b32_e32 v20, 0xbab64f3b
	v_fmac_f32_e32 v21, v5, v19
	v_mul_f32_e32 v6, v5, v21
	v_fmac_f32_e32 v20, 0x37d75334, v5
	v_fmac_f32_e32 v17, v17, v6
	;; [unrolled: 1-line block ×3, first 2 shown]
	v_and_b32_e32 v6, 1, v16
	v_fmac_f32_e32 v24, v5, v23
	v_cmp_eq_u32_e32 vcc, 0, v6
	v_lshlrev_b32_e32 v6, 30, v16
	v_fma_f32 v5, v5, v24, 1.0
	v_and_b32_e32 v6, 0x80000000, v6
	v_xor_b32_e32 v8, v13, v4
	v_cndmask_b32_e32 v5, v5, v17, vcc
	v_xor_b32_e32 v6, v8, v6
	v_xor_b32_e32 v5, v6, v5
	v_cmp_class_f32_e64 vcc, v4, s0
	s_add_u32 s0, s8, s6
	v_cndmask_b32_e32 v4, v14, v5, vcc
	s_addc_u32 s1, s9, s7
	global_store_dwordx4 v7, v[1:4], s[0:1]
	s_mov_b64 s[0:1], 0
.LBB8_18:
	s_and_b64 vcc, exec, s[0:1]
	s_cbranch_vccz .LBB8_51
; %bb.19:
	v_cmp_gt_i32_e32 vcc, s16, v0
	v_mov_b32_e32 v8, 0
	v_or_b32_e32 v1, s12, v0
	v_mov_b32_e32 v5, 0
	v_mov_b32_e32 v3, v0
	s_and_saveexec_b64 s[2:3], vcc
	s_cbranch_execz .LBB8_21
; %bb.20:
	v_mov_b32_e32 v2, 0
	v_lshlrev_b64 v[2:3], 2, v[1:2]
	v_mov_b32_e32 v4, s11
	v_add_co_u32_e64 v2, s[0:1], s10, v2
	v_addc_co_u32_e64 v3, s[0:1], v4, v3, s[0:1]
	global_load_dword v5, v[2:3], off
	v_or_b32_e32 v3, 0x100, v0
.LBB8_21:
	s_or_b64 exec, exec, s[2:3]
	v_cmp_gt_i32_e64 s[0:1], s16, v3
	s_and_saveexec_b64 s[2:3], s[0:1]
	s_cbranch_execz .LBB8_23
; %bb.22:
	v_add_u32_e32 v6, s12, v3
	v_mov_b32_e32 v7, 0
	v_lshlrev_b64 v[6:7], 2, v[6:7]
	v_mov_b32_e32 v2, s11
	v_add_co_u32_e64 v6, s[0:1], s10, v6
	v_addc_co_u32_e64 v7, s[0:1], v2, v7, s[0:1]
	global_load_dword v8, v[6:7], off
	v_add_u32_e32 v3, 0x100, v3
.LBB8_23:
	s_or_b64 exec, exec, s[2:3]
	v_cmp_gt_i32_e64 s[0:1], s16, v3
	v_mov_b32_e32 v2, 0
	v_mov_b32_e32 v4, 0
	s_and_saveexec_b64 s[2:3], s[0:1]
	s_cbranch_execz .LBB8_25
; %bb.24:
	v_add_u32_e32 v6, s12, v3
	v_mov_b32_e32 v7, 0
	v_lshlrev_b64 v[6:7], 2, v[6:7]
	v_mov_b32_e32 v4, s11
	v_add_co_u32_e64 v6, s[0:1], s10, v6
	v_addc_co_u32_e64 v7, s[0:1], v4, v7, s[0:1]
	global_load_dword v4, v[6:7], off
	v_add_u32_e32 v3, 0x100, v3
.LBB8_25:
	s_or_b64 exec, exec, s[2:3]
	v_cmp_gt_i32_e64 s[0:1], s16, v3
	s_and_saveexec_b64 s[2:3], s[0:1]
	s_cbranch_execz .LBB8_27
; %bb.26:
	v_add_u32_e32 v2, s12, v3
	v_mov_b32_e32 v3, 0
	v_lshlrev_b64 v[2:3], 2, v[2:3]
	v_mov_b32_e32 v6, s11
	v_add_co_u32_e64 v2, s[0:1], s10, v2
	v_addc_co_u32_e64 v3, s[0:1], v6, v3, s[0:1]
	global_load_dword v2, v[2:3], off
.LBB8_27:
	s_or_b64 exec, exec, s[2:3]
	v_mov_b32_e32 v3, 0
	v_mov_b32_e32 v9, v3
	;; [unrolled: 1-line block ×4, first 2 shown]
	s_and_saveexec_b64 s[10:11], vcc
	s_cbranch_execz .LBB8_33
; %bb.28:
	s_brev_b32 s0, 18
	s_waitcnt vmcnt(0)
	v_and_b32_e32 v3, 0x7fffffff, v5
	v_cmp_nlt_f32_e64 s[0:1], |v5|, s0
                                        ; implicit-def: $vgpr6
                                        ; implicit-def: $vgpr7
	s_and_saveexec_b64 s[2:3], s[0:1]
	s_xor_b64 s[14:15], exec, s[2:3]
	s_cbranch_execz .LBB8_30
; %bb.29:
	v_and_b32_e32 v6, 0x7fffff, v3
	v_or_b32_e32 v17, 0x800000, v6
	s_mov_b32 s0, 0xfe5163ab
	v_mad_u64_u32 v[6:7], s[0:1], v17, s0, 0
	v_mov_b32_e32 v10, 0
	s_mov_b32 s0, 0x3c439041
	v_mov_b32_e32 v9, v7
	v_mad_u64_u32 v[11:12], s[0:1], v17, s0, v[9:10]
	s_mov_b32 s0, 0xdb629599
	v_lshrrev_b32_e32 v7, 23, v3
	v_mov_b32_e32 v9, v12
	v_mad_u64_u32 v[12:13], s[0:1], v17, s0, v[9:10]
	s_mov_b32 s0, 0xf534ddc0
	v_add_u32_e32 v7, 0xffffff88, v7
	v_mov_b32_e32 v9, v13
	v_mad_u64_u32 v[13:14], s[0:1], v17, s0, v[9:10]
	s_mov_b32 s0, 0xfc2757d1
	v_not_b32_e32 v16, 63
	v_mov_b32_e32 v9, v14
	v_mad_u64_u32 v[14:15], s[0:1], v17, s0, v[9:10]
	v_cmp_lt_u32_e64 s[0:1], 63, v7
	v_cndmask_b32_e64 v9, 0, v16, s[0:1]
	v_add_u32_e32 v7, v9, v7
	v_mov_b32_e32 v9, v15
	s_mov_b32 s2, 0x4e441529
	v_mad_u64_u32 v[15:16], s[2:3], v17, s2, v[9:10]
	v_not_b32_e32 v18, 31
	v_cmp_lt_u32_e64 s[2:3], 31, v7
	v_cndmask_b32_e64 v9, 0, v18, s[2:3]
	v_add_u32_e32 v7, v9, v7
	v_mov_b32_e32 v9, v16
	s_mov_b32 s4, 0xa2f9836e
	v_mad_u64_u32 v[9:10], s[4:5], v17, s4, v[9:10]
	v_cmp_lt_u32_e64 s[4:5], 31, v7
	v_cndmask_b32_e64 v16, 0, v18, s[4:5]
	v_add_u32_e32 v7, v16, v7
	v_cndmask_b32_e64 v16, v15, v13, s[0:1]
	v_cndmask_b32_e64 v9, v9, v14, s[0:1]
	;; [unrolled: 1-line block ×7, first 2 shown]
	v_sub_u32_e32 v16, 32, v7
	v_cmp_eq_u32_e64 s[6:7], 0, v7
	v_cndmask_b32_e64 v7, v13, v11, s[0:1]
	v_cndmask_b32_e64 v9, v9, v17, s[4:5]
	v_cndmask_b32_e64 v15, v17, v14, s[4:5]
	v_cndmask_b32_e64 v10, v10, v7, s[2:3]
	v_alignbit_b32 v17, v9, v15, v16
	v_cndmask_b32_e64 v11, v14, v10, s[4:5]
	v_cndmask_b32_e64 v9, v17, v9, s[6:7]
	v_alignbit_b32 v13, v15, v11, v16
	v_cndmask_b32_e64 v6, v12, v6, s[0:1]
	v_cndmask_b32_e64 v13, v13, v15, s[6:7]
	v_bfe_u32 v17, v9, 29, 1
	v_cndmask_b32_e64 v6, v7, v6, s[2:3]
	v_alignbit_b32 v14, v9, v13, 30
	v_sub_u32_e32 v18, 0, v17
	v_cndmask_b32_e64 v6, v10, v6, s[4:5]
	v_xor_b32_e32 v14, v14, v18
	v_alignbit_b32 v7, v11, v6, v16
	v_cndmask_b32_e64 v7, v7, v11, s[6:7]
	v_ffbh_u32_e32 v11, v14
	v_alignbit_b32 v10, v13, v7, 30
	v_min_u32_e32 v11, 32, v11
	v_alignbit_b32 v6, v7, v6, 30
	v_xor_b32_e32 v10, v10, v18
	v_sub_u32_e32 v12, 31, v11
	v_xor_b32_e32 v6, v6, v18
	v_alignbit_b32 v13, v14, v10, v12
	v_alignbit_b32 v6, v10, v6, v12
	;; [unrolled: 1-line block ×3, first 2 shown]
	v_ffbh_u32_e32 v10, v7
	v_min_u32_e32 v10, 32, v10
	v_lshrrev_b32_e32 v15, 29, v9
	v_not_b32_e32 v12, v10
	v_alignbit_b32 v6, v7, v6, v12
	v_lshlrev_b32_e32 v7, 31, v15
	v_or_b32_e32 v12, 0x33000000, v7
	v_add_lshl_u32 v10, v10, v11, 23
	v_lshrrev_b32_e32 v6, 9, v6
	v_sub_u32_e32 v10, v12, v10
	v_or_b32_e32 v7, 0.5, v7
	v_lshlrev_b32_e32 v11, 23, v11
	v_or_b32_e32 v6, v10, v6
	v_lshrrev_b32_e32 v10, 9, v13
	v_sub_u32_e32 v7, v7, v11
	v_or_b32_e32 v7, v10, v7
	s_mov_b32 s0, 0x3fc90fda
	v_mul_f32_e32 v10, 0x3fc90fda, v7
	v_fma_f32 v11, v7, s0, -v10
	v_fmac_f32_e32 v11, 0x33a22168, v7
	v_fmac_f32_e32 v11, 0x3fc90fda, v6
	v_lshrrev_b32_e32 v6, 30, v9
	v_add_f32_e32 v7, v10, v11
	v_add_u32_e32 v6, v17, v6
.LBB8_30:
	s_andn2_saveexec_b64 s[0:1], s[14:15]
	s_cbranch_execz .LBB8_32
; %bb.31:
	s_mov_b32 s2, 0x3f22f983
	v_mul_f32_e64 v6, |v5|, s2
	v_rndne_f32_e32 v9, v6
	s_mov_b32 s2, 0xbfc90fda
	v_cvt_i32_f32_e32 v6, v9
	v_fma_f32 v7, v9, s2, |v5|
	v_fmac_f32_e32 v7, 0xb3a22168, v9
	v_fmac_f32_e32 v7, 0xa7c234c4, v9
.LBB8_32:
	s_or_b64 exec, exec, s[0:1]
	v_mul_f32_e32 v9, v7, v7
	v_mov_b32_e32 v10, 0x3c0881c4
	v_fmac_f32_e32 v10, 0xb94c1982, v9
	v_mov_b32_e32 v11, 0xbe2aaa9d
	v_fmac_f32_e32 v11, v9, v10
	v_mul_f32_e32 v10, v9, v11
	v_fmac_f32_e32 v7, v7, v10
	v_mov_b32_e32 v10, 0xbab64f3b
	v_fmac_f32_e32 v10, 0x37d75334, v9
	v_mov_b32_e32 v11, 0x3d2aabf7
	v_fmac_f32_e32 v11, v9, v10
	v_mov_b32_e32 v10, 0xbf000004
	v_fmac_f32_e32 v10, v9, v11
	v_fma_f32 v9, v9, v10, 1.0
	v_and_b32_e32 v10, 1, v6
	v_lshlrev_b32_e32 v6, 30, v6
	v_cmp_eq_u32_e64 s[0:1], 0, v10
	v_and_b32_e32 v6, 0x80000000, v6
	v_xor_b32_e32 v3, v3, v5
	v_cndmask_b32_e64 v7, v9, v7, s[0:1]
	v_xor_b32_e32 v3, v3, v6
	s_movk_i32 s0, 0x1f8
	v_xor_b32_e32 v3, v3, v7
	v_mov_b32_e32 v6, 0x7fc00000
	v_cmp_class_f32_e64 s[0:1], v5, s0
	v_mov_b32_e32 v9, 0
	v_cndmask_b32_e64 v3, v6, v3, s[0:1]
	v_mov_b32_e32 v7, v9
	v_mov_b32_e32 v6, v9
.LBB8_33:
	s_or_b64 exec, exec, s[10:11]
	s_waitcnt vmcnt(0)
	v_or_b32_e32 v5, 0x100, v0
	v_cmp_gt_i32_e64 s[0:1], s16, v5
	s_and_saveexec_b64 s[10:11], s[0:1]
	s_cbranch_execz .LBB8_39
; %bb.34:
	s_brev_b32 s0, 18
	v_and_b32_e32 v9, 0x7fffffff, v8
	v_cmp_nlt_f32_e64 s[0:1], |v8|, s0
                                        ; implicit-def: $vgpr10
                                        ; implicit-def: $vgpr11
	s_and_saveexec_b64 s[2:3], s[0:1]
	s_xor_b64 s[14:15], exec, s[2:3]
	s_cbranch_execz .LBB8_36
; %bb.35:
	v_and_b32_e32 v10, 0x7fffff, v9
	v_or_b32_e32 v19, 0x800000, v10
	s_mov_b32 s0, 0xfe5163ab
	v_mad_u64_u32 v[10:11], s[0:1], v19, s0, 0
	v_mov_b32_e32 v12, 0
	s_mov_b32 s0, 0x3c439041
	v_mad_u64_u32 v[13:14], s[0:1], v19, s0, v[11:12]
	s_mov_b32 s0, 0xdb629599
	v_not_b32_e32 v18, 63
	v_mov_b32_e32 v11, v14
	v_mad_u64_u32 v[14:15], s[0:1], v19, s0, v[11:12]
	s_mov_b32 s0, 0xf534ddc0
	s_mov_b32 s2, 0x4e441529
	v_mov_b32_e32 v11, v15
	v_mad_u64_u32 v[15:16], s[0:1], v19, s0, v[11:12]
	v_lshrrev_b32_e32 v11, 23, v9
	v_add_u32_e32 v20, 0xffffff88, v11
	v_mov_b32_e32 v11, v16
	s_mov_b32 s0, 0xfc2757d1
	v_mad_u64_u32 v[16:17], s[0:1], v19, s0, v[11:12]
	v_cmp_lt_u32_e64 s[0:1], 63, v20
	v_cndmask_b32_e64 v11, 0, v18, s[0:1]
	v_add_u32_e32 v20, v11, v20
	v_mov_b32_e32 v11, v17
	v_mad_u64_u32 v[17:18], s[2:3], v19, s2, v[11:12]
	v_not_b32_e32 v21, 31
	v_cmp_lt_u32_e64 s[2:3], 31, v20
	v_cndmask_b32_e64 v11, 0, v21, s[2:3]
	v_add_u32_e32 v20, v11, v20
	v_mov_b32_e32 v11, v18
	s_mov_b32 s4, 0xa2f9836e
	v_mad_u64_u32 v[11:12], s[4:5], v19, s4, v[11:12]
	v_cmp_lt_u32_e64 s[4:5], 31, v20
	v_cndmask_b32_e64 v18, 0, v21, s[4:5]
	v_cndmask_b32_e64 v19, v17, v15, s[0:1]
	;; [unrolled: 1-line block ×4, first 2 shown]
	v_add_u32_e32 v18, v18, v20
	v_cndmask_b32_e64 v20, v11, v19, s[2:3]
	v_cndmask_b32_e64 v11, v12, v11, s[2:3]
	v_cndmask_b32_e64 v12, v16, v14, s[0:1]
	v_cndmask_b32_e64 v16, v19, v12, s[2:3]
	v_cndmask_b32_e64 v11, v11, v20, s[4:5]
	v_cndmask_b32_e64 v17, v20, v16, s[4:5]
	v_sub_u32_e32 v19, 32, v18
	v_alignbit_b32 v20, v11, v17, v19
	v_cmp_eq_u32_e64 s[6:7], 0, v18
	v_cndmask_b32_e64 v18, v20, v11, s[6:7]
	v_cndmask_b32_e64 v11, v15, v13, s[0:1]
	;; [unrolled: 1-line block ×4, first 2 shown]
	v_alignbit_b32 v15, v17, v13, v19
	v_cndmask_b32_e64 v10, v14, v10, s[0:1]
	v_cndmask_b32_e64 v15, v15, v17, s[6:7]
	v_bfe_u32 v20, v18, 29, 1
	v_cndmask_b32_e64 v10, v11, v10, s[2:3]
	v_alignbit_b32 v16, v18, v15, 30
	v_sub_u32_e32 v21, 0, v20
	v_cndmask_b32_e64 v10, v12, v10, s[4:5]
	v_xor_b32_e32 v16, v16, v21
	v_alignbit_b32 v11, v13, v10, v19
	v_cndmask_b32_e64 v11, v11, v13, s[6:7]
	v_ffbh_u32_e32 v13, v16
	v_alignbit_b32 v12, v15, v11, 30
	v_min_u32_e32 v13, 32, v13
	v_alignbit_b32 v10, v11, v10, 30
	v_xor_b32_e32 v12, v12, v21
	v_sub_u32_e32 v14, 31, v13
	v_xor_b32_e32 v10, v10, v21
	v_alignbit_b32 v15, v16, v12, v14
	v_alignbit_b32 v10, v12, v10, v14
	;; [unrolled: 1-line block ×3, first 2 shown]
	v_ffbh_u32_e32 v12, v11
	v_min_u32_e32 v12, 32, v12
	v_lshrrev_b32_e32 v17, 29, v18
	v_not_b32_e32 v14, v12
	v_alignbit_b32 v10, v11, v10, v14
	v_lshlrev_b32_e32 v11, 31, v17
	v_or_b32_e32 v14, 0x33000000, v11
	v_add_lshl_u32 v12, v12, v13, 23
	v_lshrrev_b32_e32 v10, 9, v10
	v_sub_u32_e32 v12, v14, v12
	v_or_b32_e32 v11, 0.5, v11
	v_lshlrev_b32_e32 v13, 23, v13
	v_or_b32_e32 v10, v12, v10
	v_lshrrev_b32_e32 v12, 9, v15
	v_sub_u32_e32 v11, v11, v13
	v_or_b32_e32 v11, v12, v11
	s_mov_b32 s0, 0x3fc90fda
	v_mul_f32_e32 v12, 0x3fc90fda, v11
	v_fma_f32 v13, v11, s0, -v12
	v_fmac_f32_e32 v13, 0x33a22168, v11
	v_fmac_f32_e32 v13, 0x3fc90fda, v10
	v_lshrrev_b32_e32 v10, 30, v18
	v_add_f32_e32 v11, v12, v13
	v_add_u32_e32 v10, v20, v10
.LBB8_36:
	s_andn2_saveexec_b64 s[0:1], s[14:15]
	s_cbranch_execz .LBB8_38
; %bb.37:
	s_mov_b32 s2, 0x3f22f983
	v_mul_f32_e64 v10, |v8|, s2
	v_rndne_f32_e32 v12, v10
	s_mov_b32 s2, 0xbfc90fda
	v_cvt_i32_f32_e32 v10, v12
	v_fma_f32 v11, v12, s2, |v8|
	v_fmac_f32_e32 v11, 0xb3a22168, v12
	v_fmac_f32_e32 v11, 0xa7c234c4, v12
.LBB8_38:
	s_or_b64 exec, exec, s[0:1]
	v_mul_f32_e32 v12, v11, v11
	v_mov_b32_e32 v13, 0x3c0881c4
	v_fmac_f32_e32 v13, 0xb94c1982, v12
	v_mov_b32_e32 v14, 0xbe2aaa9d
	v_fmac_f32_e32 v14, v12, v13
	v_mul_f32_e32 v13, v12, v14
	v_fmac_f32_e32 v11, v11, v13
	v_mov_b32_e32 v13, 0xbab64f3b
	v_fmac_f32_e32 v13, 0x37d75334, v12
	v_mov_b32_e32 v14, 0x3d2aabf7
	;; [unrolled: 2-line block ×3, first 2 shown]
	v_fmac_f32_e32 v13, v12, v14
	v_fma_f32 v12, v12, v13, 1.0
	v_and_b32_e32 v13, 1, v10
	v_lshlrev_b32_e32 v10, 30, v10
	v_cmp_eq_u32_e64 s[0:1], 0, v13
	v_and_b32_e32 v10, 0x80000000, v10
	v_xor_b32_e32 v9, v9, v8
	v_cndmask_b32_e64 v11, v12, v11, s[0:1]
	v_xor_b32_e32 v9, v9, v10
	s_movk_i32 s0, 0x1f8
	v_xor_b32_e32 v9, v9, v11
	v_mov_b32_e32 v10, 0x7fc00000
	v_cmp_class_f32_e64 s[0:1], v8, s0
	v_cndmask_b32_e64 v9, v10, v9, s[0:1]
.LBB8_39:
	s_or_b64 exec, exec, s[10:11]
	v_or_b32_e32 v8, 0x200, v0
	v_cmp_gt_i32_e64 s[0:1], s16, v8
	s_and_saveexec_b64 s[10:11], s[0:1]
	s_cbranch_execz .LBB8_45
; %bb.40:
	s_brev_b32 s0, 18
	v_and_b32_e32 v7, 0x7fffffff, v4
	v_cmp_nlt_f32_e64 s[0:1], |v4|, s0
                                        ; implicit-def: $vgpr8
                                        ; implicit-def: $vgpr10
	s_and_saveexec_b64 s[2:3], s[0:1]
	s_xor_b64 s[14:15], exec, s[2:3]
	s_cbranch_execz .LBB8_42
; %bb.41:
	v_and_b32_e32 v8, 0x7fffff, v7
	v_or_b32_e32 v8, 0x800000, v8
	s_mov_b32 s0, 0xfe5163ab
	v_mad_u64_u32 v[10:11], s[0:1], v8, s0, 0
	v_mov_b32_e32 v12, 0
	s_mov_b32 s0, 0x3c439041
	v_mad_u64_u32 v[13:14], s[0:1], v8, s0, v[11:12]
	s_mov_b32 s0, 0xdb629599
	v_not_b32_e32 v18, 63
	v_mov_b32_e32 v11, v14
	v_mad_u64_u32 v[14:15], s[0:1], v8, s0, v[11:12]
	s_mov_b32 s0, 0xf534ddc0
	s_mov_b32 s2, 0x4e441529
	v_mov_b32_e32 v11, v15
	v_mad_u64_u32 v[15:16], s[0:1], v8, s0, v[11:12]
	v_lshrrev_b32_e32 v11, 23, v7
	v_add_u32_e32 v19, 0xffffff88, v11
	v_mov_b32_e32 v11, v16
	s_mov_b32 s0, 0xfc2757d1
	v_mad_u64_u32 v[16:17], s[0:1], v8, s0, v[11:12]
	v_cmp_lt_u32_e64 s[0:1], 63, v19
	v_cndmask_b32_e64 v11, 0, v18, s[0:1]
	v_add_u32_e32 v19, v11, v19
	v_mov_b32_e32 v11, v17
	v_mad_u64_u32 v[17:18], s[2:3], v8, s2, v[11:12]
	v_not_b32_e32 v20, 31
	v_cmp_lt_u32_e64 s[2:3], 31, v19
	v_cndmask_b32_e64 v11, 0, v20, s[2:3]
	v_add_u32_e32 v19, v11, v19
	v_mov_b32_e32 v11, v18
	s_mov_b32 s4, 0xa2f9836e
	v_mad_u64_u32 v[11:12], s[4:5], v8, s4, v[11:12]
	v_cmp_lt_u32_e64 s[4:5], 31, v19
	v_cndmask_b32_e64 v8, 0, v20, s[4:5]
	v_cndmask_b32_e64 v18, v17, v15, s[0:1]
	;; [unrolled: 1-line block ×4, first 2 shown]
	v_add_u32_e32 v8, v8, v19
	v_cndmask_b32_e64 v19, v11, v18, s[2:3]
	v_cndmask_b32_e64 v11, v12, v11, s[2:3]
	;; [unrolled: 1-line block ×6, first 2 shown]
	v_sub_u32_e32 v18, 32, v8
	v_alignbit_b32 v19, v11, v17, v18
	v_cmp_eq_u32_e64 s[6:7], 0, v8
	v_cndmask_b32_e64 v8, v19, v11, s[6:7]
	v_cndmask_b32_e64 v11, v15, v13, s[0:1]
	;; [unrolled: 1-line block ×4, first 2 shown]
	v_alignbit_b32 v15, v17, v13, v18
	v_cndmask_b32_e64 v10, v14, v10, s[0:1]
	v_cndmask_b32_e64 v15, v15, v17, s[6:7]
	v_bfe_u32 v19, v8, 29, 1
	v_cndmask_b32_e64 v10, v11, v10, s[2:3]
	v_alignbit_b32 v16, v8, v15, 30
	v_sub_u32_e32 v20, 0, v19
	v_cndmask_b32_e64 v10, v12, v10, s[4:5]
	v_xor_b32_e32 v16, v16, v20
	v_alignbit_b32 v11, v13, v10, v18
	v_cndmask_b32_e64 v11, v11, v13, s[6:7]
	v_ffbh_u32_e32 v13, v16
	v_alignbit_b32 v12, v15, v11, 30
	v_min_u32_e32 v13, 32, v13
	v_alignbit_b32 v10, v11, v10, 30
	v_xor_b32_e32 v12, v12, v20
	v_sub_u32_e32 v14, 31, v13
	v_xor_b32_e32 v10, v10, v20
	v_alignbit_b32 v15, v16, v12, v14
	v_alignbit_b32 v10, v12, v10, v14
	;; [unrolled: 1-line block ×3, first 2 shown]
	v_ffbh_u32_e32 v12, v11
	v_min_u32_e32 v12, 32, v12
	v_lshrrev_b32_e32 v17, 29, v8
	v_not_b32_e32 v14, v12
	v_alignbit_b32 v10, v11, v10, v14
	v_lshlrev_b32_e32 v11, 31, v17
	v_or_b32_e32 v14, 0x33000000, v11
	v_add_lshl_u32 v12, v12, v13, 23
	v_lshrrev_b32_e32 v10, 9, v10
	v_sub_u32_e32 v12, v14, v12
	v_or_b32_e32 v11, 0.5, v11
	v_lshlrev_b32_e32 v13, 23, v13
	v_or_b32_e32 v10, v12, v10
	v_lshrrev_b32_e32 v12, 9, v15
	v_sub_u32_e32 v11, v11, v13
	v_or_b32_e32 v11, v12, v11
	s_mov_b32 s0, 0x3fc90fda
	v_mul_f32_e32 v12, 0x3fc90fda, v11
	v_fma_f32 v13, v11, s0, -v12
	v_fmac_f32_e32 v13, 0x33a22168, v11
	v_fmac_f32_e32 v13, 0x3fc90fda, v10
	v_lshrrev_b32_e32 v8, 30, v8
	v_add_f32_e32 v10, v12, v13
	v_add_u32_e32 v8, v19, v8
.LBB8_42:
	s_andn2_saveexec_b64 s[0:1], s[14:15]
	s_cbranch_execz .LBB8_44
; %bb.43:
	s_mov_b32 s2, 0x3f22f983
	v_mul_f32_e64 v8, |v4|, s2
	v_rndne_f32_e32 v11, v8
	s_mov_b32 s2, 0xbfc90fda
	v_cvt_i32_f32_e32 v8, v11
	v_fma_f32 v10, v11, s2, |v4|
	v_fmac_f32_e32 v10, 0xb3a22168, v11
	v_fmac_f32_e32 v10, 0xa7c234c4, v11
.LBB8_44:
	s_or_b64 exec, exec, s[0:1]
	v_mul_f32_e32 v11, v10, v10
	v_mov_b32_e32 v12, 0x3c0881c4
	v_fmac_f32_e32 v12, 0xb94c1982, v11
	v_mov_b32_e32 v13, 0xbe2aaa9d
	v_fmac_f32_e32 v13, v11, v12
	v_mul_f32_e32 v12, v11, v13
	v_fmac_f32_e32 v10, v10, v12
	v_mov_b32_e32 v12, 0xbab64f3b
	v_fmac_f32_e32 v12, 0x37d75334, v11
	v_mov_b32_e32 v13, 0x3d2aabf7
	;; [unrolled: 2-line block ×3, first 2 shown]
	v_fmac_f32_e32 v12, v11, v13
	v_fma_f32 v11, v11, v12, 1.0
	v_and_b32_e32 v12, 1, v8
	v_lshlrev_b32_e32 v8, 30, v8
	v_cmp_eq_u32_e64 s[0:1], 0, v12
	v_and_b32_e32 v8, 0x80000000, v8
	v_xor_b32_e32 v7, v7, v4
	v_cndmask_b32_e64 v10, v11, v10, s[0:1]
	v_xor_b32_e32 v7, v7, v8
	s_movk_i32 s0, 0x1f8
	v_xor_b32_e32 v7, v7, v10
	v_mov_b32_e32 v8, 0x7fc00000
	v_cmp_class_f32_e64 s[0:1], v4, s0
	v_cndmask_b32_e64 v7, v8, v7, s[0:1]
.LBB8_45:
	s_or_b64 exec, exec, s[10:11]
	v_or_b32_e32 v4, 0x300, v0
	v_cmp_gt_i32_e64 s[0:1], s16, v4
	s_and_saveexec_b64 s[10:11], s[0:1]
	s_cbranch_execnz .LBB8_52
; %bb.46:
	s_or_b64 exec, exec, s[10:11]
	s_and_saveexec_b64 s[0:1], vcc
	s_xor_b64 s[0:1], exec, s[0:1]
	s_cbranch_execnz .LBB8_57
.LBB8_47:
	s_or_b64 exec, exec, s[0:1]
	v_cmp_gt_i32_e32 vcc, s16, v0
	s_and_saveexec_b64 s[0:1], vcc
	s_cbranch_execnz .LBB8_58
.LBB8_48:
	s_or_b64 exec, exec, s[0:1]
	v_cmp_gt_i32_e32 vcc, s16, v0
	s_and_saveexec_b64 s[0:1], vcc
	s_cbranch_execnz .LBB8_59
.LBB8_49:
	s_or_b64 exec, exec, s[0:1]
	v_cmp_gt_i32_e32 vcc, s16, v0
	s_and_saveexec_b64 s[0:1], vcc
	s_cbranch_execz .LBB8_51
.LBB8_50:
	v_add_u32_e32 v0, s12, v0
	v_mov_b32_e32 v1, 0
	v_lshlrev_b64 v[0:1], 2, v[0:1]
	v_mov_b32_e32 v2, s9
	v_add_co_u32_e32 v0, vcc, s8, v0
	v_addc_co_u32_e32 v1, vcc, v2, v1, vcc
	global_store_dword v[0:1], v6, off
.LBB8_51:
	s_endpgm
.LBB8_52:
	s_brev_b32 s0, 18
	v_and_b32_e32 v4, 0x7fffffff, v2
	v_cmp_nlt_f32_e64 s[0:1], |v2|, s0
                                        ; implicit-def: $vgpr6
                                        ; implicit-def: $vgpr8
	s_and_saveexec_b64 s[2:3], s[0:1]
	s_xor_b64 s[14:15], exec, s[2:3]
	s_cbranch_execz .LBB8_54
; %bb.53:
	v_and_b32_e32 v6, 0x7fffff, v4
	v_or_b32_e32 v6, 0x800000, v6
	s_mov_b32 s0, 0xfe5163ab
	v_mad_u64_u32 v[10:11], s[0:1], v6, s0, 0
	v_mov_b32_e32 v12, 0
	s_mov_b32 s0, 0x3c439041
	v_mad_u64_u32 v[13:14], s[0:1], v6, s0, v[11:12]
	s_mov_b32 s0, 0xdb629599
	v_lshrrev_b32_e32 v8, 23, v4
	v_mov_b32_e32 v11, v14
	v_mad_u64_u32 v[14:15], s[0:1], v6, s0, v[11:12]
	s_mov_b32 s0, 0xf534ddc0
	v_add_u32_e32 v8, 0xffffff88, v8
	v_mov_b32_e32 v11, v15
	v_mad_u64_u32 v[15:16], s[0:1], v6, s0, v[11:12]
	s_mov_b32 s0, 0xfc2757d1
	v_not_b32_e32 v18, 63
	v_mov_b32_e32 v11, v16
	v_mad_u64_u32 v[16:17], s[0:1], v6, s0, v[11:12]
	v_cmp_lt_u32_e64 s[0:1], 63, v8
	v_cndmask_b32_e64 v11, 0, v18, s[0:1]
	v_add_u32_e32 v8, v11, v8
	v_mov_b32_e32 v11, v17
	s_mov_b32 s2, 0x4e441529
	v_mad_u64_u32 v[17:18], s[2:3], v6, s2, v[11:12]
	v_not_b32_e32 v19, 31
	v_cmp_lt_u32_e64 s[2:3], 31, v8
	v_cndmask_b32_e64 v11, 0, v19, s[2:3]
	v_add_u32_e32 v8, v11, v8
	v_mov_b32_e32 v11, v18
	s_mov_b32 s4, 0xa2f9836e
	v_mad_u64_u32 v[11:12], s[4:5], v6, s4, v[11:12]
	v_cmp_lt_u32_e64 s[4:5], 31, v8
	v_cndmask_b32_e64 v6, 0, v19, s[4:5]
	v_add_u32_e32 v6, v6, v8
	v_cndmask_b32_e64 v8, v17, v15, s[0:1]
	v_cndmask_b32_e64 v11, v11, v16, s[0:1]
	;; [unrolled: 1-line block ×9, first 2 shown]
	v_sub_u32_e32 v17, 32, v6
	v_alignbit_b32 v18, v11, v16, v17
	v_cmp_eq_u32_e64 s[6:7], 0, v6
	v_cndmask_b32_e64 v6, v18, v11, s[6:7]
	v_cndmask_b32_e64 v11, v15, v13, s[0:1]
	;; [unrolled: 1-line block ×4, first 2 shown]
	v_alignbit_b32 v13, v16, v8, v17
	v_cndmask_b32_e64 v10, v14, v10, s[0:1]
	v_cndmask_b32_e64 v13, v13, v16, s[6:7]
	v_bfe_u32 v18, v6, 29, 1
	v_cndmask_b32_e64 v10, v11, v10, s[2:3]
	v_alignbit_b32 v15, v6, v13, 30
	v_sub_u32_e32 v19, 0, v18
	v_cndmask_b32_e64 v10, v12, v10, s[4:5]
	v_xor_b32_e32 v15, v15, v19
	v_alignbit_b32 v11, v8, v10, v17
	v_cndmask_b32_e64 v8, v11, v8, s[6:7]
	v_ffbh_u32_e32 v12, v15
	v_alignbit_b32 v11, v13, v8, 30
	v_min_u32_e32 v12, 32, v12
	v_alignbit_b32 v8, v8, v10, 30
	v_xor_b32_e32 v11, v11, v19
	v_sub_u32_e32 v13, 31, v12
	v_xor_b32_e32 v8, v8, v19
	v_alignbit_b32 v14, v15, v11, v13
	v_alignbit_b32 v8, v11, v8, v13
	;; [unrolled: 1-line block ×3, first 2 shown]
	v_ffbh_u32_e32 v11, v10
	v_min_u32_e32 v11, 32, v11
	v_lshrrev_b32_e32 v16, 29, v6
	v_not_b32_e32 v13, v11
	v_alignbit_b32 v8, v10, v8, v13
	v_lshlrev_b32_e32 v10, 31, v16
	v_or_b32_e32 v13, 0x33000000, v10
	v_add_lshl_u32 v11, v11, v12, 23
	v_lshrrev_b32_e32 v8, 9, v8
	v_sub_u32_e32 v11, v13, v11
	v_or_b32_e32 v10, 0.5, v10
	v_lshlrev_b32_e32 v12, 23, v12
	v_or_b32_e32 v8, v11, v8
	v_lshrrev_b32_e32 v11, 9, v14
	v_sub_u32_e32 v10, v10, v12
	v_or_b32_e32 v10, v11, v10
	s_mov_b32 s0, 0x3fc90fda
	v_mul_f32_e32 v11, 0x3fc90fda, v10
	v_fma_f32 v12, v10, s0, -v11
	v_fmac_f32_e32 v12, 0x33a22168, v10
	v_fmac_f32_e32 v12, 0x3fc90fda, v8
	v_lshrrev_b32_e32 v6, 30, v6
	v_add_f32_e32 v8, v11, v12
	v_add_u32_e32 v6, v18, v6
.LBB8_54:
	s_andn2_saveexec_b64 s[0:1], s[14:15]
	s_cbranch_execz .LBB8_56
; %bb.55:
	s_mov_b32 s2, 0x3f22f983
	v_mul_f32_e64 v6, |v2|, s2
	v_rndne_f32_e32 v10, v6
	s_mov_b32 s2, 0xbfc90fda
	v_cvt_i32_f32_e32 v6, v10
	v_fma_f32 v8, v10, s2, |v2|
	v_fmac_f32_e32 v8, 0xb3a22168, v10
	v_fmac_f32_e32 v8, 0xa7c234c4, v10
.LBB8_56:
	s_or_b64 exec, exec, s[0:1]
	v_mul_f32_e32 v10, v8, v8
	v_mov_b32_e32 v11, 0x3c0881c4
	v_fmac_f32_e32 v11, 0xb94c1982, v10
	v_mov_b32_e32 v12, 0xbe2aaa9d
	v_fmac_f32_e32 v12, v10, v11
	v_mul_f32_e32 v11, v10, v12
	v_fmac_f32_e32 v8, v8, v11
	v_mov_b32_e32 v11, 0xbab64f3b
	v_fmac_f32_e32 v11, 0x37d75334, v10
	v_mov_b32_e32 v12, 0x3d2aabf7
	;; [unrolled: 2-line block ×3, first 2 shown]
	v_fmac_f32_e32 v11, v10, v12
	v_fma_f32 v10, v10, v11, 1.0
	v_and_b32_e32 v11, 1, v6
	v_lshlrev_b32_e32 v6, 30, v6
	v_cmp_eq_u32_e64 s[0:1], 0, v11
	v_and_b32_e32 v6, 0x80000000, v6
	v_xor_b32_e32 v4, v4, v2
	v_cndmask_b32_e64 v8, v10, v8, s[0:1]
	v_xor_b32_e32 v4, v4, v6
	s_movk_i32 s0, 0x1f8
	v_xor_b32_e32 v4, v4, v8
	v_mov_b32_e32 v6, 0x7fc00000
	v_cmp_class_f32_e64 s[0:1], v2, s0
	v_cndmask_b32_e64 v6, v6, v4, s[0:1]
	s_or_b64 exec, exec, s[10:11]
	s_and_saveexec_b64 s[0:1], vcc
	s_xor_b64 s[0:1], exec, s[0:1]
	s_cbranch_execz .LBB8_47
.LBB8_57:
	v_mov_b32_e32 v2, 0
	v_lshlrev_b64 v[0:1], 2, v[1:2]
	v_mov_b32_e32 v2, s9
	v_add_co_u32_e32 v0, vcc, s8, v0
	v_addc_co_u32_e32 v1, vcc, v2, v1, vcc
	global_store_dword v[0:1], v3, off
	v_mov_b32_e32 v0, v5
	s_or_b64 exec, exec, s[0:1]
	v_cmp_gt_i32_e32 vcc, s16, v0
	s_and_saveexec_b64 s[0:1], vcc
	s_cbranch_execz .LBB8_48
.LBB8_58:
	v_add_u32_e32 v1, s12, v0
	v_mov_b32_e32 v2, 0
	v_lshlrev_b64 v[1:2], 2, v[1:2]
	v_mov_b32_e32 v3, s9
	v_add_co_u32_e32 v1, vcc, s8, v1
	v_addc_co_u32_e32 v2, vcc, v3, v2, vcc
	v_add_u32_e32 v0, 0x100, v0
	global_store_dword v[1:2], v9, off
	s_or_b64 exec, exec, s[0:1]
	v_cmp_gt_i32_e32 vcc, s16, v0
	s_and_saveexec_b64 s[0:1], vcc
	s_cbranch_execz .LBB8_49
.LBB8_59:
	v_add_u32_e32 v1, s12, v0
	v_mov_b32_e32 v2, 0
	v_lshlrev_b64 v[1:2], 2, v[1:2]
	v_mov_b32_e32 v3, s9
	v_add_co_u32_e32 v1, vcc, s8, v1
	v_addc_co_u32_e32 v2, vcc, v3, v2, vcc
	v_add_u32_e32 v0, 0x100, v0
	global_store_dword v[1:2], v7, off
	s_or_b64 exec, exec, s[0:1]
	v_cmp_gt_i32_e32 vcc, s16, v0
	s_and_saveexec_b64 s[0:1], vcc
	s_cbranch_execnz .LBB8_50
	s_branch .LBB8_51
	.section	.rodata,"a",@progbits
	.p2align	6, 0x0
	.amdhsa_kernel _ZN2at6native29vectorized_elementwise_kernelILi16EZZZNS0_15sin_kernel_cudaERNS_18TensorIteratorBaseEENKUlvE0_clEvENKUlvE0_clEvEUlfE_St5arrayIPcLm2EEEEviT0_T1_
		.amdhsa_group_segment_fixed_size 0
		.amdhsa_private_segment_fixed_size 0
		.amdhsa_kernarg_size 24
		.amdhsa_user_sgpr_count 6
		.amdhsa_user_sgpr_private_segment_buffer 1
		.amdhsa_user_sgpr_dispatch_ptr 0
		.amdhsa_user_sgpr_queue_ptr 0
		.amdhsa_user_sgpr_kernarg_segment_ptr 1
		.amdhsa_user_sgpr_dispatch_id 0
		.amdhsa_user_sgpr_flat_scratch_init 0
		.amdhsa_user_sgpr_private_segment_size 0
		.amdhsa_uses_dynamic_stack 0
		.amdhsa_system_sgpr_private_segment_wavefront_offset 0
		.amdhsa_system_sgpr_workgroup_id_x 1
		.amdhsa_system_sgpr_workgroup_id_y 0
		.amdhsa_system_sgpr_workgroup_id_z 0
		.amdhsa_system_sgpr_workgroup_info 0
		.amdhsa_system_vgpr_workitem_id 0
		.amdhsa_next_free_vgpr 28
		.amdhsa_next_free_sgpr 17
		.amdhsa_reserve_vcc 1
		.amdhsa_reserve_flat_scratch 0
		.amdhsa_float_round_mode_32 0
		.amdhsa_float_round_mode_16_64 0
		.amdhsa_float_denorm_mode_32 3
		.amdhsa_float_denorm_mode_16_64 3
		.amdhsa_dx10_clamp 1
		.amdhsa_ieee_mode 1
		.amdhsa_fp16_overflow 0
		.amdhsa_exception_fp_ieee_invalid_op 0
		.amdhsa_exception_fp_denorm_src 0
		.amdhsa_exception_fp_ieee_div_zero 0
		.amdhsa_exception_fp_ieee_overflow 0
		.amdhsa_exception_fp_ieee_underflow 0
		.amdhsa_exception_fp_ieee_inexact 0
		.amdhsa_exception_int_div_zero 0
	.end_amdhsa_kernel
	.section	.text._ZN2at6native29vectorized_elementwise_kernelILi16EZZZNS0_15sin_kernel_cudaERNS_18TensorIteratorBaseEENKUlvE0_clEvENKUlvE0_clEvEUlfE_St5arrayIPcLm2EEEEviT0_T1_,"axG",@progbits,_ZN2at6native29vectorized_elementwise_kernelILi16EZZZNS0_15sin_kernel_cudaERNS_18TensorIteratorBaseEENKUlvE0_clEvENKUlvE0_clEvEUlfE_St5arrayIPcLm2EEEEviT0_T1_,comdat
.Lfunc_end8:
	.size	_ZN2at6native29vectorized_elementwise_kernelILi16EZZZNS0_15sin_kernel_cudaERNS_18TensorIteratorBaseEENKUlvE0_clEvENKUlvE0_clEvEUlfE_St5arrayIPcLm2EEEEviT0_T1_, .Lfunc_end8-_ZN2at6native29vectorized_elementwise_kernelILi16EZZZNS0_15sin_kernel_cudaERNS_18TensorIteratorBaseEENKUlvE0_clEvENKUlvE0_clEvEUlfE_St5arrayIPcLm2EEEEviT0_T1_
                                        ; -- End function
	.set _ZN2at6native29vectorized_elementwise_kernelILi16EZZZNS0_15sin_kernel_cudaERNS_18TensorIteratorBaseEENKUlvE0_clEvENKUlvE0_clEvEUlfE_St5arrayIPcLm2EEEEviT0_T1_.num_vgpr, 28
	.set _ZN2at6native29vectorized_elementwise_kernelILi16EZZZNS0_15sin_kernel_cudaERNS_18TensorIteratorBaseEENKUlvE0_clEvENKUlvE0_clEvEUlfE_St5arrayIPcLm2EEEEviT0_T1_.num_agpr, 0
	.set _ZN2at6native29vectorized_elementwise_kernelILi16EZZZNS0_15sin_kernel_cudaERNS_18TensorIteratorBaseEENKUlvE0_clEvENKUlvE0_clEvEUlfE_St5arrayIPcLm2EEEEviT0_T1_.numbered_sgpr, 17
	.set _ZN2at6native29vectorized_elementwise_kernelILi16EZZZNS0_15sin_kernel_cudaERNS_18TensorIteratorBaseEENKUlvE0_clEvENKUlvE0_clEvEUlfE_St5arrayIPcLm2EEEEviT0_T1_.num_named_barrier, 0
	.set _ZN2at6native29vectorized_elementwise_kernelILi16EZZZNS0_15sin_kernel_cudaERNS_18TensorIteratorBaseEENKUlvE0_clEvENKUlvE0_clEvEUlfE_St5arrayIPcLm2EEEEviT0_T1_.private_seg_size, 0
	.set _ZN2at6native29vectorized_elementwise_kernelILi16EZZZNS0_15sin_kernel_cudaERNS_18TensorIteratorBaseEENKUlvE0_clEvENKUlvE0_clEvEUlfE_St5arrayIPcLm2EEEEviT0_T1_.uses_vcc, 1
	.set _ZN2at6native29vectorized_elementwise_kernelILi16EZZZNS0_15sin_kernel_cudaERNS_18TensorIteratorBaseEENKUlvE0_clEvENKUlvE0_clEvEUlfE_St5arrayIPcLm2EEEEviT0_T1_.uses_flat_scratch, 0
	.set _ZN2at6native29vectorized_elementwise_kernelILi16EZZZNS0_15sin_kernel_cudaERNS_18TensorIteratorBaseEENKUlvE0_clEvENKUlvE0_clEvEUlfE_St5arrayIPcLm2EEEEviT0_T1_.has_dyn_sized_stack, 0
	.set _ZN2at6native29vectorized_elementwise_kernelILi16EZZZNS0_15sin_kernel_cudaERNS_18TensorIteratorBaseEENKUlvE0_clEvENKUlvE0_clEvEUlfE_St5arrayIPcLm2EEEEviT0_T1_.has_recursion, 0
	.set _ZN2at6native29vectorized_elementwise_kernelILi16EZZZNS0_15sin_kernel_cudaERNS_18TensorIteratorBaseEENKUlvE0_clEvENKUlvE0_clEvEUlfE_St5arrayIPcLm2EEEEviT0_T1_.has_indirect_call, 0
	.section	.AMDGPU.csdata,"",@progbits
; Kernel info:
; codeLenInByte = 7652
; TotalNumSgprs: 21
; NumVgprs: 28
; ScratchSize: 0
; MemoryBound: 0
; FloatMode: 240
; IeeeMode: 1
; LDSByteSize: 0 bytes/workgroup (compile time only)
; SGPRBlocks: 2
; VGPRBlocks: 6
; NumSGPRsForWavesPerEU: 21
; NumVGPRsForWavesPerEU: 28
; Occupancy: 9
; WaveLimiterHint : 0
; COMPUTE_PGM_RSRC2:SCRATCH_EN: 0
; COMPUTE_PGM_RSRC2:USER_SGPR: 6
; COMPUTE_PGM_RSRC2:TRAP_HANDLER: 0
; COMPUTE_PGM_RSRC2:TGID_X_EN: 1
; COMPUTE_PGM_RSRC2:TGID_Y_EN: 0
; COMPUTE_PGM_RSRC2:TGID_Z_EN: 0
; COMPUTE_PGM_RSRC2:TIDIG_COMP_CNT: 0
	.section	.text._ZN2at6native29vectorized_elementwise_kernelILi8EZZZNS0_15sin_kernel_cudaERNS_18TensorIteratorBaseEENKUlvE0_clEvENKUlvE0_clEvEUlfE_St5arrayIPcLm2EEEEviT0_T1_,"axG",@progbits,_ZN2at6native29vectorized_elementwise_kernelILi8EZZZNS0_15sin_kernel_cudaERNS_18TensorIteratorBaseEENKUlvE0_clEvENKUlvE0_clEvEUlfE_St5arrayIPcLm2EEEEviT0_T1_,comdat
	.globl	_ZN2at6native29vectorized_elementwise_kernelILi8EZZZNS0_15sin_kernel_cudaERNS_18TensorIteratorBaseEENKUlvE0_clEvENKUlvE0_clEvEUlfE_St5arrayIPcLm2EEEEviT0_T1_ ; -- Begin function _ZN2at6native29vectorized_elementwise_kernelILi8EZZZNS0_15sin_kernel_cudaERNS_18TensorIteratorBaseEENKUlvE0_clEvENKUlvE0_clEvEUlfE_St5arrayIPcLm2EEEEviT0_T1_
	.p2align	8
	.type	_ZN2at6native29vectorized_elementwise_kernelILi8EZZZNS0_15sin_kernel_cudaERNS_18TensorIteratorBaseEENKUlvE0_clEvENKUlvE0_clEvEUlfE_St5arrayIPcLm2EEEEviT0_T1_,@function
_ZN2at6native29vectorized_elementwise_kernelILi8EZZZNS0_15sin_kernel_cudaERNS_18TensorIteratorBaseEENKUlvE0_clEvENKUlvE0_clEvEUlfE_St5arrayIPcLm2EEEEviT0_T1_: ; @_ZN2at6native29vectorized_elementwise_kernelILi8EZZZNS0_15sin_kernel_cudaERNS_18TensorIteratorBaseEENKUlvE0_clEvENKUlvE0_clEvEUlfE_St5arrayIPcLm2EEEEviT0_T1_
; %bb.0:
	s_load_dword s0, s[4:5], 0x0
	s_load_dwordx4 s[8:11], s[4:5], 0x8
	s_lshl_b32 s12, s6, 10
	s_waitcnt lgkmcnt(0)
	s_sub_i32 s16, s0, s12
	s_cmpk_gt_i32 s16, 0x3ff
	s_mov_b64 s[0:1], -1
	s_cbranch_scc0 .LBB9_18
; %bb.1:
	s_ashr_i32 s13, s12, 31
	s_lshl_b64 s[6:7], s[12:13], 2
	s_add_u32 s0, s10, s6
	s_addc_u32 s1, s11, s7
	v_lshlrev_b32_e32 v7, 4, v0
	global_load_dwordx4 v[1:4], v7, s[0:1]
	s_brev_b32 s0, 18
	v_mov_b32_e32 v6, 0
                                        ; implicit-def: $vgpr9
                                        ; implicit-def: $vgpr5
	s_waitcnt vmcnt(0)
	v_and_b32_e32 v8, 0x7fffffff, v1
	v_cmp_nlt_f32_e64 s[0:1], |v1|, s0
	s_and_saveexec_b64 s[2:3], s[0:1]
	s_xor_b64 s[14:15], exec, s[2:3]
	s_cbranch_execz .LBB9_3
; %bb.2:
	v_and_b32_e32 v5, 0x7fffff, v8
	v_or_b32_e32 v16, 0x800000, v5
	s_mov_b32 s0, 0xfe5163ab
	v_mad_u64_u32 v[9:10], s[0:1], v16, s0, 0
	s_mov_b32 s0, 0x3c439041
	v_lshrrev_b32_e32 v14, 23, v8
	v_mov_b32_e32 v5, v10
	v_mad_u64_u32 v[10:11], s[0:1], v16, s0, v[5:6]
	s_mov_b32 s0, 0xdb629599
	v_add_u32_e32 v17, 0xffffff88, v14
	v_mov_b32_e32 v5, v11
	v_mad_u64_u32 v[11:12], s[0:1], v16, s0, v[5:6]
	s_mov_b32 s0, 0xf534ddc0
	v_not_b32_e32 v15, 63
	v_mov_b32_e32 v5, v12
	v_mad_u64_u32 v[12:13], s[0:1], v16, s0, v[5:6]
	s_mov_b32 s0, 0xfc2757d1
	v_cmp_lt_u32_e32 vcc, 63, v17
	v_mov_b32_e32 v5, v13
	v_mad_u64_u32 v[13:14], s[0:1], v16, s0, v[5:6]
	v_cndmask_b32_e32 v5, 0, v15, vcc
	v_add_u32_e32 v17, v5, v17
	v_mov_b32_e32 v5, v14
	s_mov_b32 s0, 0x4e441529
	v_mad_u64_u32 v[14:15], s[0:1], v16, s0, v[5:6]
	v_not_b32_e32 v18, 31
	v_cmp_lt_u32_e64 s[0:1], 31, v17
	v_cndmask_b32_e64 v5, 0, v18, s[0:1]
	v_add_u32_e32 v17, v5, v17
	v_mov_b32_e32 v5, v15
	s_mov_b32 s2, 0xa2f9836e
	v_mad_u64_u32 v[5:6], s[2:3], v16, s2, v[5:6]
	v_cmp_lt_u32_e64 s[2:3], 31, v17
	v_cndmask_b32_e64 v15, 0, v18, s[2:3]
	v_cndmask_b32_e32 v16, v14, v12, vcc
	v_cndmask_b32_e32 v5, v5, v13, vcc
	;; [unrolled: 1-line block ×3, first 2 shown]
	v_add_u32_e32 v15, v15, v17
	v_cndmask_b32_e64 v17, v5, v16, s[0:1]
	v_cndmask_b32_e64 v5, v6, v5, s[0:1]
	v_cndmask_b32_e32 v6, v13, v11, vcc
	v_cndmask_b32_e64 v13, v16, v6, s[0:1]
	v_cndmask_b32_e64 v5, v5, v17, s[2:3]
	;; [unrolled: 1-line block ×3, first 2 shown]
	v_sub_u32_e32 v16, 32, v15
	v_alignbit_b32 v17, v5, v14, v16
	v_cmp_eq_u32_e64 s[4:5], 0, v15
	v_cndmask_b32_e64 v15, v17, v5, s[4:5]
	v_cndmask_b32_e32 v5, v12, v10, vcc
	v_cndmask_b32_e64 v6, v6, v5, s[0:1]
	v_cndmask_b32_e64 v10, v13, v6, s[2:3]
	v_alignbit_b32 v12, v14, v10, v16
	v_cndmask_b32_e32 v9, v11, v9, vcc
	v_cndmask_b32_e64 v12, v12, v14, s[4:5]
	v_bfe_u32 v17, v15, 29, 1
	v_cndmask_b32_e64 v5, v5, v9, s[0:1]
	v_alignbit_b32 v13, v15, v12, 30
	v_sub_u32_e32 v18, 0, v17
	v_cndmask_b32_e64 v5, v6, v5, s[2:3]
	v_xor_b32_e32 v13, v13, v18
	v_alignbit_b32 v6, v10, v5, v16
	v_cndmask_b32_e64 v6, v6, v10, s[4:5]
	v_ffbh_u32_e32 v10, v13
	v_alignbit_b32 v9, v12, v6, 30
	v_min_u32_e32 v10, 32, v10
	v_alignbit_b32 v5, v6, v5, 30
	v_xor_b32_e32 v9, v9, v18
	v_sub_u32_e32 v11, 31, v10
	v_xor_b32_e32 v5, v5, v18
	v_alignbit_b32 v12, v13, v9, v11
	v_alignbit_b32 v5, v9, v5, v11
	;; [unrolled: 1-line block ×3, first 2 shown]
	v_ffbh_u32_e32 v9, v6
	v_min_u32_e32 v9, 32, v9
	v_lshrrev_b32_e32 v14, 29, v15
	v_not_b32_e32 v11, v9
	v_alignbit_b32 v5, v6, v5, v11
	v_lshlrev_b32_e32 v6, 31, v14
	v_or_b32_e32 v11, 0x33000000, v6
	v_add_lshl_u32 v9, v9, v10, 23
	v_lshrrev_b32_e32 v5, 9, v5
	v_sub_u32_e32 v9, v11, v9
	v_or_b32_e32 v6, 0.5, v6
	v_lshlrev_b32_e32 v10, 23, v10
	v_or_b32_e32 v5, v9, v5
	v_lshrrev_b32_e32 v9, 9, v12
	v_sub_u32_e32 v6, v6, v10
	v_or_b32_e32 v6, v9, v6
	s_mov_b32 s0, 0x3fc90fda
	v_mul_f32_e32 v9, 0x3fc90fda, v6
	v_fma_f32 v10, v6, s0, -v9
	v_fmac_f32_e32 v10, 0x33a22168, v6
	v_fmac_f32_e32 v10, 0x3fc90fda, v5
	v_lshrrev_b32_e32 v6, 30, v15
	v_add_f32_e32 v5, v9, v10
	v_add_u32_e32 v9, v17, v6
.LBB9_3:
	s_andn2_saveexec_b64 s[0:1], s[14:15]
	s_cbranch_execz .LBB9_5
; %bb.4:
	s_mov_b32 s2, 0x3f22f983
	v_mul_f32_e64 v5, |v1|, s2
	v_rndne_f32_e32 v6, v5
	s_mov_b32 s2, 0xbfc90fda
	v_cvt_i32_f32_e32 v9, v6
	v_fma_f32 v5, v6, s2, |v1|
	v_fmac_f32_e32 v5, 0xb3a22168, v6
	v_fmac_f32_e32 v5, 0xa7c234c4, v6
.LBB9_5:
	s_or_b64 exec, exec, s[0:1]
	s_brev_b32 s0, 18
	v_and_b32_e32 v6, 0x7fffffff, v2
	v_cmp_nlt_f32_e64 s[0:1], |v2|, s0
                                        ; implicit-def: $vgpr11
                                        ; implicit-def: $vgpr10
	s_and_saveexec_b64 s[2:3], s[0:1]
	s_xor_b64 s[14:15], exec, s[2:3]
	s_cbranch_execz .LBB9_7
; %bb.6:
	v_and_b32_e32 v10, 0x7fffff, v6
	v_or_b32_e32 v19, 0x800000, v10
	s_mov_b32 s0, 0xfe5163ab
	v_mad_u64_u32 v[10:11], s[0:1], v19, s0, 0
	v_mov_b32_e32 v12, 0
	s_mov_b32 s0, 0x3c439041
	v_mad_u64_u32 v[13:14], s[0:1], v19, s0, v[11:12]
	s_mov_b32 s0, 0xdb629599
	v_not_b32_e32 v18, 63
	v_mov_b32_e32 v11, v14
	v_mad_u64_u32 v[14:15], s[0:1], v19, s0, v[11:12]
	s_mov_b32 s0, 0xf534ddc0
	v_not_b32_e32 v21, 31
	v_mov_b32_e32 v11, v15
	v_mad_u64_u32 v[15:16], s[0:1], v19, s0, v[11:12]
	v_lshrrev_b32_e32 v11, 23, v6
	v_add_u32_e32 v20, 0xffffff88, v11
	v_mov_b32_e32 v11, v16
	s_mov_b32 s0, 0xfc2757d1
	v_mad_u64_u32 v[16:17], s[0:1], v19, s0, v[11:12]
	v_cmp_lt_u32_e32 vcc, 63, v20
	v_cndmask_b32_e32 v11, 0, v18, vcc
	v_add_u32_e32 v20, v11, v20
	v_mov_b32_e32 v11, v17
	s_mov_b32 s0, 0x4e441529
	v_mad_u64_u32 v[17:18], s[0:1], v19, s0, v[11:12]
	v_cmp_lt_u32_e64 s[0:1], 31, v20
	v_cndmask_b32_e64 v11, 0, v21, s[0:1]
	v_add_u32_e32 v20, v11, v20
	v_mov_b32_e32 v11, v18
	s_mov_b32 s2, 0xa2f9836e
	v_mad_u64_u32 v[11:12], s[2:3], v19, s2, v[11:12]
	v_cmp_lt_u32_e64 s[2:3], 31, v20
	v_cndmask_b32_e64 v18, 0, v21, s[2:3]
	v_cndmask_b32_e32 v19, v17, v15, vcc
	v_cndmask_b32_e32 v11, v11, v16, vcc
	;; [unrolled: 1-line block ×3, first 2 shown]
	v_add_u32_e32 v18, v18, v20
	v_cndmask_b32_e64 v20, v11, v19, s[0:1]
	v_cndmask_b32_e64 v11, v12, v11, s[0:1]
	v_cndmask_b32_e32 v12, v16, v14, vcc
	v_cndmask_b32_e64 v16, v19, v12, s[0:1]
	v_cndmask_b32_e32 v13, v15, v13, vcc
	v_cndmask_b32_e64 v11, v11, v20, s[2:3]
	v_cndmask_b32_e64 v17, v20, v16, s[2:3]
	v_sub_u32_e32 v19, 32, v18
	v_cndmask_b32_e64 v12, v12, v13, s[0:1]
	v_alignbit_b32 v20, v11, v17, v19
	v_cmp_eq_u32_e64 s[4:5], 0, v18
	v_cndmask_b32_e64 v15, v16, v12, s[2:3]
	v_cndmask_b32_e64 v11, v20, v11, s[4:5]
	v_alignbit_b32 v16, v17, v15, v19
	v_cndmask_b32_e32 v10, v14, v10, vcc
	v_cndmask_b32_e64 v16, v16, v17, s[4:5]
	v_bfe_u32 v20, v11, 29, 1
	v_cndmask_b32_e64 v10, v13, v10, s[0:1]
	v_alignbit_b32 v17, v11, v16, 30
	v_sub_u32_e32 v21, 0, v20
	v_cndmask_b32_e64 v10, v12, v10, s[2:3]
	v_xor_b32_e32 v17, v17, v21
	v_alignbit_b32 v12, v15, v10, v19
	v_cndmask_b32_e64 v12, v12, v15, s[4:5]
	v_ffbh_u32_e32 v14, v17
	v_alignbit_b32 v13, v16, v12, 30
	v_min_u32_e32 v14, 32, v14
	v_alignbit_b32 v10, v12, v10, 30
	v_xor_b32_e32 v13, v13, v21
	v_sub_u32_e32 v15, 31, v14
	v_xor_b32_e32 v10, v10, v21
	v_alignbit_b32 v16, v17, v13, v15
	v_alignbit_b32 v10, v13, v10, v15
	;; [unrolled: 1-line block ×3, first 2 shown]
	v_ffbh_u32_e32 v13, v12
	v_min_u32_e32 v13, 32, v13
	v_lshrrev_b32_e32 v18, 29, v11
	v_not_b32_e32 v15, v13
	v_alignbit_b32 v10, v12, v10, v15
	v_lshlrev_b32_e32 v12, 31, v18
	v_or_b32_e32 v15, 0x33000000, v12
	v_add_lshl_u32 v13, v13, v14, 23
	v_lshrrev_b32_e32 v10, 9, v10
	v_sub_u32_e32 v13, v15, v13
	v_or_b32_e32 v12, 0.5, v12
	v_lshlrev_b32_e32 v14, 23, v14
	v_or_b32_e32 v10, v13, v10
	v_lshrrev_b32_e32 v13, 9, v16
	v_sub_u32_e32 v12, v12, v14
	v_or_b32_e32 v12, v13, v12
	s_mov_b32 s0, 0x3fc90fda
	v_mul_f32_e32 v13, 0x3fc90fda, v12
	v_fma_f32 v14, v12, s0, -v13
	v_fmac_f32_e32 v14, 0x33a22168, v12
	v_fmac_f32_e32 v14, 0x3fc90fda, v10
	v_lshrrev_b32_e32 v11, 30, v11
	v_add_f32_e32 v10, v13, v14
	v_add_u32_e32 v11, v20, v11
.LBB9_7:
	s_andn2_saveexec_b64 s[0:1], s[14:15]
	s_cbranch_execz .LBB9_9
; %bb.8:
	s_mov_b32 s2, 0x3f22f983
	v_mul_f32_e64 v10, |v2|, s2
	v_rndne_f32_e32 v12, v10
	s_mov_b32 s2, 0xbfc90fda
	v_cvt_i32_f32_e32 v11, v12
	v_fma_f32 v10, v12, s2, |v2|
	v_fmac_f32_e32 v10, 0xb3a22168, v12
	v_fmac_f32_e32 v10, 0xa7c234c4, v12
.LBB9_9:
	s_or_b64 exec, exec, s[0:1]
	s_brev_b32 s0, 18
	v_and_b32_e32 v12, 0x7fffffff, v3
	v_cmp_nlt_f32_e64 s[0:1], |v3|, s0
                                        ; implicit-def: $vgpr15
                                        ; implicit-def: $vgpr14
	s_and_saveexec_b64 s[2:3], s[0:1]
	s_xor_b64 s[14:15], exec, s[2:3]
	s_cbranch_execz .LBB9_11
; %bb.10:
	v_and_b32_e32 v13, 0x7fffff, v12
	v_or_b32_e32 v22, 0x800000, v13
	s_mov_b32 s0, 0xfe5163ab
	v_mad_u64_u32 v[13:14], s[0:1], v22, s0, 0
	v_mov_b32_e32 v15, 0
	s_mov_b32 s0, 0x3c439041
	v_mad_u64_u32 v[16:17], s[0:1], v22, s0, v[14:15]
	s_mov_b32 s0, 0xdb629599
	v_not_b32_e32 v21, 63
	v_mov_b32_e32 v14, v17
	v_mad_u64_u32 v[17:18], s[0:1], v22, s0, v[14:15]
	s_mov_b32 s0, 0xf534ddc0
	v_not_b32_e32 v24, 31
	v_mov_b32_e32 v14, v18
	v_mad_u64_u32 v[18:19], s[0:1], v22, s0, v[14:15]
	v_lshrrev_b32_e32 v14, 23, v12
	v_add_u32_e32 v23, 0xffffff88, v14
	v_mov_b32_e32 v14, v19
	s_mov_b32 s0, 0xfc2757d1
	v_mad_u64_u32 v[19:20], s[0:1], v22, s0, v[14:15]
	v_cmp_lt_u32_e32 vcc, 63, v23
	v_cndmask_b32_e32 v14, 0, v21, vcc
	v_add_u32_e32 v23, v14, v23
	v_mov_b32_e32 v14, v20
	s_mov_b32 s0, 0x4e441529
	v_mad_u64_u32 v[20:21], s[0:1], v22, s0, v[14:15]
	v_cmp_lt_u32_e64 s[0:1], 31, v23
	v_cndmask_b32_e64 v14, 0, v24, s[0:1]
	v_add_u32_e32 v23, v14, v23
	v_mov_b32_e32 v14, v21
	s_mov_b32 s2, 0xa2f9836e
	v_mad_u64_u32 v[14:15], s[2:3], v22, s2, v[14:15]
	v_cmp_lt_u32_e64 s[2:3], 31, v23
	v_cndmask_b32_e64 v21, 0, v24, s[2:3]
	v_cndmask_b32_e32 v22, v20, v18, vcc
	v_cndmask_b32_e32 v14, v14, v19, vcc
	;; [unrolled: 1-line block ×3, first 2 shown]
	v_add_u32_e32 v21, v21, v23
	v_cndmask_b32_e64 v23, v14, v22, s[0:1]
	v_cndmask_b32_e64 v14, v15, v14, s[0:1]
	v_cndmask_b32_e32 v15, v19, v17, vcc
	v_cndmask_b32_e64 v19, v22, v15, s[0:1]
	v_cndmask_b32_e64 v14, v14, v23, s[2:3]
	;; [unrolled: 1-line block ×3, first 2 shown]
	v_sub_u32_e32 v22, 32, v21
	v_alignbit_b32 v23, v14, v20, v22
	v_cmp_eq_u32_e64 s[4:5], 0, v21
	v_cndmask_b32_e64 v21, v23, v14, s[4:5]
	v_cndmask_b32_e32 v14, v18, v16, vcc
	v_cndmask_b32_e64 v15, v15, v14, s[0:1]
	v_cndmask_b32_e64 v16, v19, v15, s[2:3]
	v_alignbit_b32 v18, v20, v16, v22
	v_cndmask_b32_e32 v13, v17, v13, vcc
	v_cndmask_b32_e64 v18, v18, v20, s[4:5]
	v_bfe_u32 v23, v21, 29, 1
	v_cndmask_b32_e64 v13, v14, v13, s[0:1]
	v_alignbit_b32 v19, v21, v18, 30
	v_sub_u32_e32 v24, 0, v23
	v_cndmask_b32_e64 v13, v15, v13, s[2:3]
	v_xor_b32_e32 v19, v19, v24
	v_alignbit_b32 v14, v16, v13, v22
	v_cndmask_b32_e64 v14, v14, v16, s[4:5]
	v_ffbh_u32_e32 v16, v19
	v_alignbit_b32 v15, v18, v14, 30
	v_min_u32_e32 v16, 32, v16
	v_alignbit_b32 v13, v14, v13, 30
	v_xor_b32_e32 v15, v15, v24
	v_sub_u32_e32 v17, 31, v16
	v_xor_b32_e32 v13, v13, v24
	v_alignbit_b32 v18, v19, v15, v17
	v_alignbit_b32 v13, v15, v13, v17
	;; [unrolled: 1-line block ×3, first 2 shown]
	v_ffbh_u32_e32 v15, v14
	v_min_u32_e32 v15, 32, v15
	v_lshrrev_b32_e32 v20, 29, v21
	v_not_b32_e32 v17, v15
	v_alignbit_b32 v13, v14, v13, v17
	v_lshlrev_b32_e32 v14, 31, v20
	v_or_b32_e32 v17, 0x33000000, v14
	v_add_lshl_u32 v15, v15, v16, 23
	v_lshrrev_b32_e32 v13, 9, v13
	v_sub_u32_e32 v15, v17, v15
	v_or_b32_e32 v14, 0.5, v14
	v_lshlrev_b32_e32 v16, 23, v16
	v_or_b32_e32 v13, v15, v13
	v_lshrrev_b32_e32 v15, 9, v18
	v_sub_u32_e32 v14, v14, v16
	v_or_b32_e32 v14, v15, v14
	s_mov_b32 s0, 0x3fc90fda
	v_mul_f32_e32 v15, 0x3fc90fda, v14
	v_fma_f32 v16, v14, s0, -v15
	v_fmac_f32_e32 v16, 0x33a22168, v14
	v_fmac_f32_e32 v16, 0x3fc90fda, v13
	v_lshrrev_b32_e32 v13, 30, v21
	v_add_f32_e32 v14, v15, v16
	v_add_u32_e32 v15, v23, v13
.LBB9_11:
	s_andn2_saveexec_b64 s[0:1], s[14:15]
	s_cbranch_execz .LBB9_13
; %bb.12:
	s_mov_b32 s2, 0x3f22f983
	v_mul_f32_e64 v13, |v3|, s2
	v_rndne_f32_e32 v13, v13
	s_mov_b32 s2, 0xbfc90fda
	v_cvt_i32_f32_e32 v15, v13
	v_fma_f32 v14, v13, s2, |v3|
	v_fmac_f32_e32 v14, 0xb3a22168, v13
	v_fmac_f32_e32 v14, 0xa7c234c4, v13
.LBB9_13:
	s_or_b64 exec, exec, s[0:1]
	s_brev_b32 s0, 18
	v_and_b32_e32 v13, 0x7fffffff, v4
	v_cmp_nlt_f32_e64 s[0:1], |v4|, s0
                                        ; implicit-def: $vgpr16
                                        ; implicit-def: $vgpr17
	s_and_saveexec_b64 s[2:3], s[0:1]
	s_xor_b64 s[14:15], exec, s[2:3]
	s_cbranch_execz .LBB9_15
; %bb.14:
	v_and_b32_e32 v16, 0x7fffff, v13
	v_or_b32_e32 v25, 0x800000, v16
	s_mov_b32 s0, 0xfe5163ab
	v_mad_u64_u32 v[16:17], s[0:1], v25, s0, 0
	v_mov_b32_e32 v18, 0
	s_mov_b32 s0, 0x3c439041
	v_mad_u64_u32 v[19:20], s[0:1], v25, s0, v[17:18]
	s_mov_b32 s0, 0xdb629599
	v_not_b32_e32 v24, 63
	v_mov_b32_e32 v17, v20
	v_mad_u64_u32 v[20:21], s[0:1], v25, s0, v[17:18]
	s_mov_b32 s0, 0xf534ddc0
	v_not_b32_e32 v27, 31
	v_mov_b32_e32 v17, v21
	v_mad_u64_u32 v[21:22], s[0:1], v25, s0, v[17:18]
	v_lshrrev_b32_e32 v17, 23, v13
	v_add_u32_e32 v26, 0xffffff88, v17
	v_mov_b32_e32 v17, v22
	s_mov_b32 s0, 0xfc2757d1
	v_mad_u64_u32 v[22:23], s[0:1], v25, s0, v[17:18]
	v_cmp_lt_u32_e32 vcc, 63, v26
	v_cndmask_b32_e32 v17, 0, v24, vcc
	v_add_u32_e32 v26, v17, v26
	v_mov_b32_e32 v17, v23
	s_mov_b32 s0, 0x4e441529
	v_mad_u64_u32 v[23:24], s[0:1], v25, s0, v[17:18]
	v_cmp_lt_u32_e64 s[0:1], 31, v26
	v_cndmask_b32_e64 v17, 0, v27, s[0:1]
	v_add_u32_e32 v26, v17, v26
	v_mov_b32_e32 v17, v24
	s_mov_b32 s2, 0xa2f9836e
	v_mad_u64_u32 v[17:18], s[2:3], v25, s2, v[17:18]
	v_cmp_lt_u32_e64 s[2:3], 31, v26
	v_cndmask_b32_e64 v24, 0, v27, s[2:3]
	v_cndmask_b32_e32 v25, v23, v21, vcc
	v_cndmask_b32_e32 v17, v17, v22, vcc
	;; [unrolled: 1-line block ×3, first 2 shown]
	v_add_u32_e32 v24, v24, v26
	v_cndmask_b32_e64 v26, v17, v25, s[0:1]
	v_cndmask_b32_e64 v17, v18, v17, s[0:1]
	v_cndmask_b32_e32 v18, v22, v20, vcc
	v_cndmask_b32_e64 v22, v25, v18, s[0:1]
	v_cndmask_b32_e64 v17, v17, v26, s[2:3]
	;; [unrolled: 1-line block ×3, first 2 shown]
	v_sub_u32_e32 v25, 32, v24
	v_alignbit_b32 v26, v17, v23, v25
	v_cmp_eq_u32_e64 s[4:5], 0, v24
	v_cndmask_b32_e64 v24, v26, v17, s[4:5]
	v_cndmask_b32_e32 v17, v21, v19, vcc
	v_cndmask_b32_e64 v18, v18, v17, s[0:1]
	v_cndmask_b32_e64 v19, v22, v18, s[2:3]
	v_alignbit_b32 v21, v23, v19, v25
	v_cndmask_b32_e32 v16, v20, v16, vcc
	v_cndmask_b32_e64 v21, v21, v23, s[4:5]
	v_bfe_u32 v26, v24, 29, 1
	v_cndmask_b32_e64 v16, v17, v16, s[0:1]
	v_alignbit_b32 v22, v24, v21, 30
	v_sub_u32_e32 v27, 0, v26
	v_cndmask_b32_e64 v16, v18, v16, s[2:3]
	v_xor_b32_e32 v22, v22, v27
	v_alignbit_b32 v17, v19, v16, v25
	v_cndmask_b32_e64 v17, v17, v19, s[4:5]
	v_ffbh_u32_e32 v19, v22
	v_alignbit_b32 v18, v21, v17, 30
	v_min_u32_e32 v19, 32, v19
	v_alignbit_b32 v16, v17, v16, 30
	v_xor_b32_e32 v18, v18, v27
	v_sub_u32_e32 v20, 31, v19
	v_xor_b32_e32 v16, v16, v27
	v_alignbit_b32 v21, v22, v18, v20
	v_alignbit_b32 v16, v18, v16, v20
	;; [unrolled: 1-line block ×3, first 2 shown]
	v_ffbh_u32_e32 v18, v17
	v_min_u32_e32 v18, 32, v18
	v_lshrrev_b32_e32 v23, 29, v24
	v_not_b32_e32 v20, v18
	v_alignbit_b32 v16, v17, v16, v20
	v_lshlrev_b32_e32 v17, 31, v23
	v_or_b32_e32 v20, 0x33000000, v17
	v_add_lshl_u32 v18, v18, v19, 23
	v_lshrrev_b32_e32 v16, 9, v16
	v_sub_u32_e32 v18, v20, v18
	v_or_b32_e32 v17, 0.5, v17
	v_lshlrev_b32_e32 v19, 23, v19
	v_or_b32_e32 v16, v18, v16
	v_lshrrev_b32_e32 v18, 9, v21
	v_sub_u32_e32 v17, v17, v19
	v_or_b32_e32 v17, v18, v17
	s_mov_b32 s0, 0x3fc90fda
	v_mul_f32_e32 v18, 0x3fc90fda, v17
	v_fma_f32 v19, v17, s0, -v18
	v_fmac_f32_e32 v19, 0x33a22168, v17
	v_fmac_f32_e32 v19, 0x3fc90fda, v16
	v_lshrrev_b32_e32 v16, 30, v24
	v_add_f32_e32 v17, v18, v19
	v_add_u32_e32 v16, v26, v16
.LBB9_15:
	s_andn2_saveexec_b64 s[0:1], s[14:15]
	s_cbranch_execz .LBB9_17
; %bb.16:
	s_mov_b32 s2, 0x3f22f983
	v_mul_f32_e64 v16, |v4|, s2
	v_rndne_f32_e32 v18, v16
	s_mov_b32 s2, 0xbfc90fda
	v_cvt_i32_f32_e32 v16, v18
	v_fma_f32 v17, v18, s2, |v4|
	v_fmac_f32_e32 v17, 0xb3a22168, v18
	v_fmac_f32_e32 v17, 0xa7c234c4, v18
.LBB9_17:
	s_or_b64 exec, exec, s[0:1]
	v_lshlrev_b32_e32 v18, 30, v15
	v_xor_b32_e32 v12, v12, v3
	v_and_b32_e32 v18, 0x80000000, v18
	v_xor_b32_e32 v12, v12, v18
	v_mul_f32_e32 v18, v14, v14
	v_mov_b32_e32 v20, 0x3c0881c4
	v_mov_b32_e32 v22, 0xbab64f3b
	v_fmac_f32_e32 v20, 0xb94c1982, v18
	v_mov_b32_e32 v21, 0xbe2aaa9d
	v_fmac_f32_e32 v22, 0x37d75334, v18
	v_mov_b32_e32 v23, 0x3d2aabf7
	v_fma_f32 v20, v18, v20, v21
	v_fma_f32 v22, v18, v22, v23
	v_mov_b32_e32 v24, 0xbf000004
	v_and_b32_e32 v15, 1, v15
	v_mul_f32_e32 v20, v18, v20
	v_fma_f32 v22, v18, v22, v24
	v_fmac_f32_e32 v14, v14, v20
	v_fma_f32 v18, v18, v22, 1.0
	v_cmp_eq_u32_e32 vcc, 0, v15
	s_movk_i32 s0, 0x1f8
	v_cndmask_b32_e32 v14, v18, v14, vcc
	v_xor_b32_e32 v12, v12, v14
	v_mov_b32_e32 v14, 0x7fc00000
	v_cmp_class_f32_e64 vcc, v3, s0
	v_cndmask_b32_e32 v3, v14, v12, vcc
	v_lshlrev_b32_e32 v12, 30, v11
	v_xor_b32_e32 v6, v6, v2
	v_and_b32_e32 v12, 0x80000000, v12
	v_xor_b32_e32 v6, v6, v12
	v_mul_f32_e32 v12, v10, v10
	v_mov_b32_e32 v15, 0x3c0881c4
	v_fmac_f32_e32 v15, 0xb94c1982, v12
	v_fma_f32 v15, v12, v15, v21
	v_mul_f32_e32 v15, v12, v15
	v_fmac_f32_e32 v10, v10, v15
	v_mov_b32_e32 v15, 0xbab64f3b
	v_fmac_f32_e32 v15, 0x37d75334, v12
	v_fma_f32 v15, v12, v15, v23
	v_and_b32_e32 v11, 1, v11
	v_fma_f32 v15, v12, v15, v24
	v_fma_f32 v12, v12, v15, 1.0
	v_cmp_eq_u32_e32 vcc, 0, v11
	v_cndmask_b32_e32 v10, v12, v10, vcc
	v_xor_b32_e32 v6, v6, v10
	v_cmp_class_f32_e64 vcc, v2, s0
	v_cndmask_b32_e32 v2, v14, v6, vcc
	v_xor_b32_e32 v6, v8, v1
	v_lshlrev_b32_e32 v8, 30, v9
	v_and_b32_e32 v8, 0x80000000, v8
	v_xor_b32_e32 v6, v6, v8
	v_and_b32_e32 v8, 1, v9
	v_mul_f32_e32 v9, v5, v5
	v_mov_b32_e32 v10, 0x3c0881c4
	v_fmac_f32_e32 v10, 0xb94c1982, v9
	v_fma_f32 v10, v9, v10, v21
	v_mul_f32_e32 v10, v9, v10
	v_fmac_f32_e32 v5, v5, v10
	v_mov_b32_e32 v10, 0xbab64f3b
	v_fmac_f32_e32 v10, 0x37d75334, v9
	v_fma_f32 v10, v9, v10, v23
	v_fma_f32 v10, v9, v10, v24
	v_fma_f32 v9, v9, v10, 1.0
	v_cmp_eq_u32_e32 vcc, 0, v8
	v_cndmask_b32_e32 v5, v9, v5, vcc
	v_xor_b32_e32 v5, v6, v5
	v_cmp_class_f32_e64 vcc, v1, s0
	v_mov_b32_e32 v19, 0x3c0881c4
	v_cndmask_b32_e32 v1, v14, v5, vcc
	v_mul_f32_e32 v5, v17, v17
	v_fmac_f32_e32 v19, 0xb94c1982, v5
	v_mov_b32_e32 v20, 0xbab64f3b
	v_fmac_f32_e32 v21, v5, v19
	v_mul_f32_e32 v6, v5, v21
	v_fmac_f32_e32 v20, 0x37d75334, v5
	v_fmac_f32_e32 v17, v17, v6
	;; [unrolled: 1-line block ×3, first 2 shown]
	v_and_b32_e32 v6, 1, v16
	v_fmac_f32_e32 v24, v5, v23
	v_cmp_eq_u32_e32 vcc, 0, v6
	v_lshlrev_b32_e32 v6, 30, v16
	v_fma_f32 v5, v5, v24, 1.0
	v_and_b32_e32 v6, 0x80000000, v6
	v_xor_b32_e32 v8, v13, v4
	v_cndmask_b32_e32 v5, v5, v17, vcc
	v_xor_b32_e32 v6, v8, v6
	v_xor_b32_e32 v5, v6, v5
	v_cmp_class_f32_e64 vcc, v4, s0
	s_add_u32 s0, s8, s6
	v_cndmask_b32_e32 v4, v14, v5, vcc
	s_addc_u32 s1, s9, s7
	global_store_dwordx4 v7, v[1:4], s[0:1]
	s_mov_b64 s[0:1], 0
.LBB9_18:
	s_and_b64 vcc, exec, s[0:1]
	s_cbranch_vccz .LBB9_51
; %bb.19:
	v_cmp_gt_i32_e32 vcc, s16, v0
	v_mov_b32_e32 v8, 0
	v_or_b32_e32 v1, s12, v0
	v_mov_b32_e32 v5, 0
	v_mov_b32_e32 v3, v0
	s_and_saveexec_b64 s[2:3], vcc
	s_cbranch_execz .LBB9_21
; %bb.20:
	v_mov_b32_e32 v2, 0
	v_lshlrev_b64 v[2:3], 2, v[1:2]
	v_mov_b32_e32 v4, s11
	v_add_co_u32_e64 v2, s[0:1], s10, v2
	v_addc_co_u32_e64 v3, s[0:1], v4, v3, s[0:1]
	global_load_dword v5, v[2:3], off
	v_or_b32_e32 v3, 0x100, v0
.LBB9_21:
	s_or_b64 exec, exec, s[2:3]
	v_cmp_gt_i32_e64 s[0:1], s16, v3
	s_and_saveexec_b64 s[2:3], s[0:1]
	s_cbranch_execz .LBB9_23
; %bb.22:
	v_add_u32_e32 v6, s12, v3
	v_mov_b32_e32 v7, 0
	v_lshlrev_b64 v[6:7], 2, v[6:7]
	v_mov_b32_e32 v2, s11
	v_add_co_u32_e64 v6, s[0:1], s10, v6
	v_addc_co_u32_e64 v7, s[0:1], v2, v7, s[0:1]
	global_load_dword v8, v[6:7], off
	v_add_u32_e32 v3, 0x100, v3
.LBB9_23:
	s_or_b64 exec, exec, s[2:3]
	v_cmp_gt_i32_e64 s[0:1], s16, v3
	v_mov_b32_e32 v2, 0
	v_mov_b32_e32 v4, 0
	s_and_saveexec_b64 s[2:3], s[0:1]
	s_cbranch_execz .LBB9_25
; %bb.24:
	v_add_u32_e32 v6, s12, v3
	v_mov_b32_e32 v7, 0
	v_lshlrev_b64 v[6:7], 2, v[6:7]
	v_mov_b32_e32 v4, s11
	v_add_co_u32_e64 v6, s[0:1], s10, v6
	v_addc_co_u32_e64 v7, s[0:1], v4, v7, s[0:1]
	global_load_dword v4, v[6:7], off
	v_add_u32_e32 v3, 0x100, v3
.LBB9_25:
	s_or_b64 exec, exec, s[2:3]
	v_cmp_gt_i32_e64 s[0:1], s16, v3
	s_and_saveexec_b64 s[2:3], s[0:1]
	s_cbranch_execz .LBB9_27
; %bb.26:
	v_add_u32_e32 v2, s12, v3
	v_mov_b32_e32 v3, 0
	v_lshlrev_b64 v[2:3], 2, v[2:3]
	v_mov_b32_e32 v6, s11
	v_add_co_u32_e64 v2, s[0:1], s10, v2
	v_addc_co_u32_e64 v3, s[0:1], v6, v3, s[0:1]
	global_load_dword v2, v[2:3], off
.LBB9_27:
	s_or_b64 exec, exec, s[2:3]
	v_mov_b32_e32 v3, 0
	v_mov_b32_e32 v9, v3
	;; [unrolled: 1-line block ×4, first 2 shown]
	s_and_saveexec_b64 s[10:11], vcc
	s_cbranch_execz .LBB9_33
; %bb.28:
	s_brev_b32 s0, 18
	s_waitcnt vmcnt(0)
	v_and_b32_e32 v3, 0x7fffffff, v5
	v_cmp_nlt_f32_e64 s[0:1], |v5|, s0
                                        ; implicit-def: $vgpr6
                                        ; implicit-def: $vgpr7
	s_and_saveexec_b64 s[2:3], s[0:1]
	s_xor_b64 s[14:15], exec, s[2:3]
	s_cbranch_execz .LBB9_30
; %bb.29:
	v_and_b32_e32 v6, 0x7fffff, v3
	v_or_b32_e32 v17, 0x800000, v6
	s_mov_b32 s0, 0xfe5163ab
	v_mad_u64_u32 v[6:7], s[0:1], v17, s0, 0
	v_mov_b32_e32 v10, 0
	s_mov_b32 s0, 0x3c439041
	v_mov_b32_e32 v9, v7
	v_mad_u64_u32 v[11:12], s[0:1], v17, s0, v[9:10]
	s_mov_b32 s0, 0xdb629599
	v_lshrrev_b32_e32 v7, 23, v3
	v_mov_b32_e32 v9, v12
	v_mad_u64_u32 v[12:13], s[0:1], v17, s0, v[9:10]
	s_mov_b32 s0, 0xf534ddc0
	v_add_u32_e32 v7, 0xffffff88, v7
	v_mov_b32_e32 v9, v13
	v_mad_u64_u32 v[13:14], s[0:1], v17, s0, v[9:10]
	s_mov_b32 s0, 0xfc2757d1
	v_not_b32_e32 v16, 63
	v_mov_b32_e32 v9, v14
	v_mad_u64_u32 v[14:15], s[0:1], v17, s0, v[9:10]
	v_cmp_lt_u32_e64 s[0:1], 63, v7
	v_cndmask_b32_e64 v9, 0, v16, s[0:1]
	v_add_u32_e32 v7, v9, v7
	v_mov_b32_e32 v9, v15
	s_mov_b32 s2, 0x4e441529
	v_mad_u64_u32 v[15:16], s[2:3], v17, s2, v[9:10]
	v_not_b32_e32 v18, 31
	v_cmp_lt_u32_e64 s[2:3], 31, v7
	v_cndmask_b32_e64 v9, 0, v18, s[2:3]
	v_add_u32_e32 v7, v9, v7
	v_mov_b32_e32 v9, v16
	s_mov_b32 s4, 0xa2f9836e
	v_mad_u64_u32 v[9:10], s[4:5], v17, s4, v[9:10]
	v_cmp_lt_u32_e64 s[4:5], 31, v7
	v_cndmask_b32_e64 v16, 0, v18, s[4:5]
	v_add_u32_e32 v7, v16, v7
	v_cndmask_b32_e64 v16, v15, v13, s[0:1]
	v_cndmask_b32_e64 v9, v9, v14, s[0:1]
	;; [unrolled: 1-line block ×7, first 2 shown]
	v_sub_u32_e32 v16, 32, v7
	v_cmp_eq_u32_e64 s[6:7], 0, v7
	v_cndmask_b32_e64 v7, v13, v11, s[0:1]
	v_cndmask_b32_e64 v9, v9, v17, s[4:5]
	;; [unrolled: 1-line block ×4, first 2 shown]
	v_alignbit_b32 v17, v9, v15, v16
	v_cndmask_b32_e64 v11, v14, v10, s[4:5]
	v_cndmask_b32_e64 v9, v17, v9, s[6:7]
	v_alignbit_b32 v13, v15, v11, v16
	v_cndmask_b32_e64 v6, v12, v6, s[0:1]
	v_cndmask_b32_e64 v13, v13, v15, s[6:7]
	v_bfe_u32 v17, v9, 29, 1
	v_cndmask_b32_e64 v6, v7, v6, s[2:3]
	v_alignbit_b32 v14, v9, v13, 30
	v_sub_u32_e32 v18, 0, v17
	v_cndmask_b32_e64 v6, v10, v6, s[4:5]
	v_xor_b32_e32 v14, v14, v18
	v_alignbit_b32 v7, v11, v6, v16
	v_cndmask_b32_e64 v7, v7, v11, s[6:7]
	v_ffbh_u32_e32 v11, v14
	v_alignbit_b32 v10, v13, v7, 30
	v_min_u32_e32 v11, 32, v11
	v_alignbit_b32 v6, v7, v6, 30
	v_xor_b32_e32 v10, v10, v18
	v_sub_u32_e32 v12, 31, v11
	v_xor_b32_e32 v6, v6, v18
	v_alignbit_b32 v13, v14, v10, v12
	v_alignbit_b32 v6, v10, v6, v12
	;; [unrolled: 1-line block ×3, first 2 shown]
	v_ffbh_u32_e32 v10, v7
	v_min_u32_e32 v10, 32, v10
	v_lshrrev_b32_e32 v15, 29, v9
	v_not_b32_e32 v12, v10
	v_alignbit_b32 v6, v7, v6, v12
	v_lshlrev_b32_e32 v7, 31, v15
	v_or_b32_e32 v12, 0x33000000, v7
	v_add_lshl_u32 v10, v10, v11, 23
	v_lshrrev_b32_e32 v6, 9, v6
	v_sub_u32_e32 v10, v12, v10
	v_or_b32_e32 v7, 0.5, v7
	v_lshlrev_b32_e32 v11, 23, v11
	v_or_b32_e32 v6, v10, v6
	v_lshrrev_b32_e32 v10, 9, v13
	v_sub_u32_e32 v7, v7, v11
	v_or_b32_e32 v7, v10, v7
	s_mov_b32 s0, 0x3fc90fda
	v_mul_f32_e32 v10, 0x3fc90fda, v7
	v_fma_f32 v11, v7, s0, -v10
	v_fmac_f32_e32 v11, 0x33a22168, v7
	v_fmac_f32_e32 v11, 0x3fc90fda, v6
	v_lshrrev_b32_e32 v6, 30, v9
	v_add_f32_e32 v7, v10, v11
	v_add_u32_e32 v6, v17, v6
.LBB9_30:
	s_andn2_saveexec_b64 s[0:1], s[14:15]
	s_cbranch_execz .LBB9_32
; %bb.31:
	s_mov_b32 s2, 0x3f22f983
	v_mul_f32_e64 v6, |v5|, s2
	v_rndne_f32_e32 v9, v6
	s_mov_b32 s2, 0xbfc90fda
	v_cvt_i32_f32_e32 v6, v9
	v_fma_f32 v7, v9, s2, |v5|
	v_fmac_f32_e32 v7, 0xb3a22168, v9
	v_fmac_f32_e32 v7, 0xa7c234c4, v9
.LBB9_32:
	s_or_b64 exec, exec, s[0:1]
	v_mul_f32_e32 v9, v7, v7
	v_mov_b32_e32 v10, 0x3c0881c4
	v_fmac_f32_e32 v10, 0xb94c1982, v9
	v_mov_b32_e32 v11, 0xbe2aaa9d
	v_fmac_f32_e32 v11, v9, v10
	v_mul_f32_e32 v10, v9, v11
	v_fmac_f32_e32 v7, v7, v10
	v_mov_b32_e32 v10, 0xbab64f3b
	v_fmac_f32_e32 v10, 0x37d75334, v9
	v_mov_b32_e32 v11, 0x3d2aabf7
	;; [unrolled: 2-line block ×3, first 2 shown]
	v_fmac_f32_e32 v10, v9, v11
	v_fma_f32 v9, v9, v10, 1.0
	v_and_b32_e32 v10, 1, v6
	v_lshlrev_b32_e32 v6, 30, v6
	v_cmp_eq_u32_e64 s[0:1], 0, v10
	v_and_b32_e32 v6, 0x80000000, v6
	v_xor_b32_e32 v3, v3, v5
	v_cndmask_b32_e64 v7, v9, v7, s[0:1]
	v_xor_b32_e32 v3, v3, v6
	s_movk_i32 s0, 0x1f8
	v_xor_b32_e32 v3, v3, v7
	v_mov_b32_e32 v6, 0x7fc00000
	v_cmp_class_f32_e64 s[0:1], v5, s0
	v_mov_b32_e32 v9, 0
	v_cndmask_b32_e64 v3, v6, v3, s[0:1]
	v_mov_b32_e32 v7, v9
	v_mov_b32_e32 v6, v9
.LBB9_33:
	s_or_b64 exec, exec, s[10:11]
	s_waitcnt vmcnt(0)
	v_or_b32_e32 v5, 0x100, v0
	v_cmp_gt_i32_e64 s[0:1], s16, v5
	s_and_saveexec_b64 s[10:11], s[0:1]
	s_cbranch_execz .LBB9_39
; %bb.34:
	s_brev_b32 s0, 18
	v_and_b32_e32 v9, 0x7fffffff, v8
	v_cmp_nlt_f32_e64 s[0:1], |v8|, s0
                                        ; implicit-def: $vgpr10
                                        ; implicit-def: $vgpr11
	s_and_saveexec_b64 s[2:3], s[0:1]
	s_xor_b64 s[14:15], exec, s[2:3]
	s_cbranch_execz .LBB9_36
; %bb.35:
	v_and_b32_e32 v10, 0x7fffff, v9
	v_or_b32_e32 v19, 0x800000, v10
	s_mov_b32 s0, 0xfe5163ab
	v_mad_u64_u32 v[10:11], s[0:1], v19, s0, 0
	v_mov_b32_e32 v12, 0
	s_mov_b32 s0, 0x3c439041
	v_mad_u64_u32 v[13:14], s[0:1], v19, s0, v[11:12]
	s_mov_b32 s0, 0xdb629599
	v_not_b32_e32 v18, 63
	v_mov_b32_e32 v11, v14
	v_mad_u64_u32 v[14:15], s[0:1], v19, s0, v[11:12]
	s_mov_b32 s0, 0xf534ddc0
	s_mov_b32 s2, 0x4e441529
	v_mov_b32_e32 v11, v15
	v_mad_u64_u32 v[15:16], s[0:1], v19, s0, v[11:12]
	v_lshrrev_b32_e32 v11, 23, v9
	v_add_u32_e32 v20, 0xffffff88, v11
	v_mov_b32_e32 v11, v16
	s_mov_b32 s0, 0xfc2757d1
	v_mad_u64_u32 v[16:17], s[0:1], v19, s0, v[11:12]
	v_cmp_lt_u32_e64 s[0:1], 63, v20
	v_cndmask_b32_e64 v11, 0, v18, s[0:1]
	v_add_u32_e32 v20, v11, v20
	v_mov_b32_e32 v11, v17
	v_mad_u64_u32 v[17:18], s[2:3], v19, s2, v[11:12]
	v_not_b32_e32 v21, 31
	v_cmp_lt_u32_e64 s[2:3], 31, v20
	v_cndmask_b32_e64 v11, 0, v21, s[2:3]
	v_add_u32_e32 v20, v11, v20
	v_mov_b32_e32 v11, v18
	s_mov_b32 s4, 0xa2f9836e
	v_mad_u64_u32 v[11:12], s[4:5], v19, s4, v[11:12]
	v_cmp_lt_u32_e64 s[4:5], 31, v20
	v_cndmask_b32_e64 v18, 0, v21, s[4:5]
	v_cndmask_b32_e64 v19, v17, v15, s[0:1]
	;; [unrolled: 1-line block ×4, first 2 shown]
	v_add_u32_e32 v18, v18, v20
	v_cndmask_b32_e64 v20, v11, v19, s[2:3]
	v_cndmask_b32_e64 v11, v12, v11, s[2:3]
	;; [unrolled: 1-line block ×6, first 2 shown]
	v_sub_u32_e32 v19, 32, v18
	v_alignbit_b32 v20, v11, v17, v19
	v_cmp_eq_u32_e64 s[6:7], 0, v18
	v_cndmask_b32_e64 v18, v20, v11, s[6:7]
	v_cndmask_b32_e64 v11, v15, v13, s[0:1]
	;; [unrolled: 1-line block ×4, first 2 shown]
	v_alignbit_b32 v15, v17, v13, v19
	v_cndmask_b32_e64 v10, v14, v10, s[0:1]
	v_cndmask_b32_e64 v15, v15, v17, s[6:7]
	v_bfe_u32 v20, v18, 29, 1
	v_cndmask_b32_e64 v10, v11, v10, s[2:3]
	v_alignbit_b32 v16, v18, v15, 30
	v_sub_u32_e32 v21, 0, v20
	v_cndmask_b32_e64 v10, v12, v10, s[4:5]
	v_xor_b32_e32 v16, v16, v21
	v_alignbit_b32 v11, v13, v10, v19
	v_cndmask_b32_e64 v11, v11, v13, s[6:7]
	v_ffbh_u32_e32 v13, v16
	v_alignbit_b32 v12, v15, v11, 30
	v_min_u32_e32 v13, 32, v13
	v_alignbit_b32 v10, v11, v10, 30
	v_xor_b32_e32 v12, v12, v21
	v_sub_u32_e32 v14, 31, v13
	v_xor_b32_e32 v10, v10, v21
	v_alignbit_b32 v15, v16, v12, v14
	v_alignbit_b32 v10, v12, v10, v14
	;; [unrolled: 1-line block ×3, first 2 shown]
	v_ffbh_u32_e32 v12, v11
	v_min_u32_e32 v12, 32, v12
	v_lshrrev_b32_e32 v17, 29, v18
	v_not_b32_e32 v14, v12
	v_alignbit_b32 v10, v11, v10, v14
	v_lshlrev_b32_e32 v11, 31, v17
	v_or_b32_e32 v14, 0x33000000, v11
	v_add_lshl_u32 v12, v12, v13, 23
	v_lshrrev_b32_e32 v10, 9, v10
	v_sub_u32_e32 v12, v14, v12
	v_or_b32_e32 v11, 0.5, v11
	v_lshlrev_b32_e32 v13, 23, v13
	v_or_b32_e32 v10, v12, v10
	v_lshrrev_b32_e32 v12, 9, v15
	v_sub_u32_e32 v11, v11, v13
	v_or_b32_e32 v11, v12, v11
	s_mov_b32 s0, 0x3fc90fda
	v_mul_f32_e32 v12, 0x3fc90fda, v11
	v_fma_f32 v13, v11, s0, -v12
	v_fmac_f32_e32 v13, 0x33a22168, v11
	v_fmac_f32_e32 v13, 0x3fc90fda, v10
	v_lshrrev_b32_e32 v10, 30, v18
	v_add_f32_e32 v11, v12, v13
	v_add_u32_e32 v10, v20, v10
.LBB9_36:
	s_andn2_saveexec_b64 s[0:1], s[14:15]
	s_cbranch_execz .LBB9_38
; %bb.37:
	s_mov_b32 s2, 0x3f22f983
	v_mul_f32_e64 v10, |v8|, s2
	v_rndne_f32_e32 v12, v10
	s_mov_b32 s2, 0xbfc90fda
	v_cvt_i32_f32_e32 v10, v12
	v_fma_f32 v11, v12, s2, |v8|
	v_fmac_f32_e32 v11, 0xb3a22168, v12
	v_fmac_f32_e32 v11, 0xa7c234c4, v12
.LBB9_38:
	s_or_b64 exec, exec, s[0:1]
	v_mul_f32_e32 v12, v11, v11
	v_mov_b32_e32 v13, 0x3c0881c4
	v_fmac_f32_e32 v13, 0xb94c1982, v12
	v_mov_b32_e32 v14, 0xbe2aaa9d
	v_fmac_f32_e32 v14, v12, v13
	v_mul_f32_e32 v13, v12, v14
	v_fmac_f32_e32 v11, v11, v13
	v_mov_b32_e32 v13, 0xbab64f3b
	v_fmac_f32_e32 v13, 0x37d75334, v12
	v_mov_b32_e32 v14, 0x3d2aabf7
	;; [unrolled: 2-line block ×3, first 2 shown]
	v_fmac_f32_e32 v13, v12, v14
	v_fma_f32 v12, v12, v13, 1.0
	v_and_b32_e32 v13, 1, v10
	v_lshlrev_b32_e32 v10, 30, v10
	v_cmp_eq_u32_e64 s[0:1], 0, v13
	v_and_b32_e32 v10, 0x80000000, v10
	v_xor_b32_e32 v9, v9, v8
	v_cndmask_b32_e64 v11, v12, v11, s[0:1]
	v_xor_b32_e32 v9, v9, v10
	s_movk_i32 s0, 0x1f8
	v_xor_b32_e32 v9, v9, v11
	v_mov_b32_e32 v10, 0x7fc00000
	v_cmp_class_f32_e64 s[0:1], v8, s0
	v_cndmask_b32_e64 v9, v10, v9, s[0:1]
.LBB9_39:
	s_or_b64 exec, exec, s[10:11]
	v_or_b32_e32 v8, 0x200, v0
	v_cmp_gt_i32_e64 s[0:1], s16, v8
	s_and_saveexec_b64 s[10:11], s[0:1]
	s_cbranch_execz .LBB9_45
; %bb.40:
	s_brev_b32 s0, 18
	v_and_b32_e32 v7, 0x7fffffff, v4
	v_cmp_nlt_f32_e64 s[0:1], |v4|, s0
                                        ; implicit-def: $vgpr8
                                        ; implicit-def: $vgpr10
	s_and_saveexec_b64 s[2:3], s[0:1]
	s_xor_b64 s[14:15], exec, s[2:3]
	s_cbranch_execz .LBB9_42
; %bb.41:
	v_and_b32_e32 v8, 0x7fffff, v7
	v_or_b32_e32 v8, 0x800000, v8
	s_mov_b32 s0, 0xfe5163ab
	v_mad_u64_u32 v[10:11], s[0:1], v8, s0, 0
	v_mov_b32_e32 v12, 0
	s_mov_b32 s0, 0x3c439041
	v_mad_u64_u32 v[13:14], s[0:1], v8, s0, v[11:12]
	s_mov_b32 s0, 0xdb629599
	v_not_b32_e32 v18, 63
	v_mov_b32_e32 v11, v14
	v_mad_u64_u32 v[14:15], s[0:1], v8, s0, v[11:12]
	s_mov_b32 s0, 0xf534ddc0
	s_mov_b32 s2, 0x4e441529
	v_mov_b32_e32 v11, v15
	v_mad_u64_u32 v[15:16], s[0:1], v8, s0, v[11:12]
	v_lshrrev_b32_e32 v11, 23, v7
	v_add_u32_e32 v19, 0xffffff88, v11
	v_mov_b32_e32 v11, v16
	s_mov_b32 s0, 0xfc2757d1
	v_mad_u64_u32 v[16:17], s[0:1], v8, s0, v[11:12]
	v_cmp_lt_u32_e64 s[0:1], 63, v19
	v_cndmask_b32_e64 v11, 0, v18, s[0:1]
	v_add_u32_e32 v19, v11, v19
	v_mov_b32_e32 v11, v17
	v_mad_u64_u32 v[17:18], s[2:3], v8, s2, v[11:12]
	v_not_b32_e32 v20, 31
	v_cmp_lt_u32_e64 s[2:3], 31, v19
	v_cndmask_b32_e64 v11, 0, v20, s[2:3]
	v_add_u32_e32 v19, v11, v19
	v_mov_b32_e32 v11, v18
	s_mov_b32 s4, 0xa2f9836e
	v_mad_u64_u32 v[11:12], s[4:5], v8, s4, v[11:12]
	v_cmp_lt_u32_e64 s[4:5], 31, v19
	v_cndmask_b32_e64 v8, 0, v20, s[4:5]
	v_cndmask_b32_e64 v18, v17, v15, s[0:1]
	;; [unrolled: 1-line block ×4, first 2 shown]
	v_add_u32_e32 v8, v8, v19
	v_cndmask_b32_e64 v19, v11, v18, s[2:3]
	v_cndmask_b32_e64 v11, v12, v11, s[2:3]
	;; [unrolled: 1-line block ×6, first 2 shown]
	v_sub_u32_e32 v18, 32, v8
	v_alignbit_b32 v19, v11, v17, v18
	v_cmp_eq_u32_e64 s[6:7], 0, v8
	v_cndmask_b32_e64 v8, v19, v11, s[6:7]
	v_cndmask_b32_e64 v11, v15, v13, s[0:1]
	;; [unrolled: 1-line block ×4, first 2 shown]
	v_alignbit_b32 v15, v17, v13, v18
	v_cndmask_b32_e64 v10, v14, v10, s[0:1]
	v_cndmask_b32_e64 v15, v15, v17, s[6:7]
	v_bfe_u32 v19, v8, 29, 1
	v_cndmask_b32_e64 v10, v11, v10, s[2:3]
	v_alignbit_b32 v16, v8, v15, 30
	v_sub_u32_e32 v20, 0, v19
	v_cndmask_b32_e64 v10, v12, v10, s[4:5]
	v_xor_b32_e32 v16, v16, v20
	v_alignbit_b32 v11, v13, v10, v18
	v_cndmask_b32_e64 v11, v11, v13, s[6:7]
	v_ffbh_u32_e32 v13, v16
	v_alignbit_b32 v12, v15, v11, 30
	v_min_u32_e32 v13, 32, v13
	v_alignbit_b32 v10, v11, v10, 30
	v_xor_b32_e32 v12, v12, v20
	v_sub_u32_e32 v14, 31, v13
	v_xor_b32_e32 v10, v10, v20
	v_alignbit_b32 v15, v16, v12, v14
	v_alignbit_b32 v10, v12, v10, v14
	;; [unrolled: 1-line block ×3, first 2 shown]
	v_ffbh_u32_e32 v12, v11
	v_min_u32_e32 v12, 32, v12
	v_lshrrev_b32_e32 v17, 29, v8
	v_not_b32_e32 v14, v12
	v_alignbit_b32 v10, v11, v10, v14
	v_lshlrev_b32_e32 v11, 31, v17
	v_or_b32_e32 v14, 0x33000000, v11
	v_add_lshl_u32 v12, v12, v13, 23
	v_lshrrev_b32_e32 v10, 9, v10
	v_sub_u32_e32 v12, v14, v12
	v_or_b32_e32 v11, 0.5, v11
	v_lshlrev_b32_e32 v13, 23, v13
	v_or_b32_e32 v10, v12, v10
	v_lshrrev_b32_e32 v12, 9, v15
	v_sub_u32_e32 v11, v11, v13
	v_or_b32_e32 v11, v12, v11
	s_mov_b32 s0, 0x3fc90fda
	v_mul_f32_e32 v12, 0x3fc90fda, v11
	v_fma_f32 v13, v11, s0, -v12
	v_fmac_f32_e32 v13, 0x33a22168, v11
	v_fmac_f32_e32 v13, 0x3fc90fda, v10
	v_lshrrev_b32_e32 v8, 30, v8
	v_add_f32_e32 v10, v12, v13
	v_add_u32_e32 v8, v19, v8
.LBB9_42:
	s_andn2_saveexec_b64 s[0:1], s[14:15]
	s_cbranch_execz .LBB9_44
; %bb.43:
	s_mov_b32 s2, 0x3f22f983
	v_mul_f32_e64 v8, |v4|, s2
	v_rndne_f32_e32 v11, v8
	s_mov_b32 s2, 0xbfc90fda
	v_cvt_i32_f32_e32 v8, v11
	v_fma_f32 v10, v11, s2, |v4|
	v_fmac_f32_e32 v10, 0xb3a22168, v11
	v_fmac_f32_e32 v10, 0xa7c234c4, v11
.LBB9_44:
	s_or_b64 exec, exec, s[0:1]
	v_mul_f32_e32 v11, v10, v10
	v_mov_b32_e32 v12, 0x3c0881c4
	v_fmac_f32_e32 v12, 0xb94c1982, v11
	v_mov_b32_e32 v13, 0xbe2aaa9d
	v_fmac_f32_e32 v13, v11, v12
	v_mul_f32_e32 v12, v11, v13
	v_fmac_f32_e32 v10, v10, v12
	v_mov_b32_e32 v12, 0xbab64f3b
	v_fmac_f32_e32 v12, 0x37d75334, v11
	v_mov_b32_e32 v13, 0x3d2aabf7
	;; [unrolled: 2-line block ×3, first 2 shown]
	v_fmac_f32_e32 v12, v11, v13
	v_fma_f32 v11, v11, v12, 1.0
	v_and_b32_e32 v12, 1, v8
	v_lshlrev_b32_e32 v8, 30, v8
	v_cmp_eq_u32_e64 s[0:1], 0, v12
	v_and_b32_e32 v8, 0x80000000, v8
	v_xor_b32_e32 v7, v7, v4
	v_cndmask_b32_e64 v10, v11, v10, s[0:1]
	v_xor_b32_e32 v7, v7, v8
	s_movk_i32 s0, 0x1f8
	v_xor_b32_e32 v7, v7, v10
	v_mov_b32_e32 v8, 0x7fc00000
	v_cmp_class_f32_e64 s[0:1], v4, s0
	v_cndmask_b32_e64 v7, v8, v7, s[0:1]
.LBB9_45:
	s_or_b64 exec, exec, s[10:11]
	v_or_b32_e32 v4, 0x300, v0
	v_cmp_gt_i32_e64 s[0:1], s16, v4
	s_and_saveexec_b64 s[10:11], s[0:1]
	s_cbranch_execnz .LBB9_52
; %bb.46:
	s_or_b64 exec, exec, s[10:11]
	s_and_saveexec_b64 s[0:1], vcc
	s_xor_b64 s[0:1], exec, s[0:1]
	s_cbranch_execnz .LBB9_57
.LBB9_47:
	s_or_b64 exec, exec, s[0:1]
	v_cmp_gt_i32_e32 vcc, s16, v0
	s_and_saveexec_b64 s[0:1], vcc
	s_cbranch_execnz .LBB9_58
.LBB9_48:
	s_or_b64 exec, exec, s[0:1]
	v_cmp_gt_i32_e32 vcc, s16, v0
	s_and_saveexec_b64 s[0:1], vcc
	s_cbranch_execnz .LBB9_59
.LBB9_49:
	s_or_b64 exec, exec, s[0:1]
	v_cmp_gt_i32_e32 vcc, s16, v0
	s_and_saveexec_b64 s[0:1], vcc
	s_cbranch_execz .LBB9_51
.LBB9_50:
	v_add_u32_e32 v0, s12, v0
	v_mov_b32_e32 v1, 0
	v_lshlrev_b64 v[0:1], 2, v[0:1]
	v_mov_b32_e32 v2, s9
	v_add_co_u32_e32 v0, vcc, s8, v0
	v_addc_co_u32_e32 v1, vcc, v2, v1, vcc
	global_store_dword v[0:1], v6, off
.LBB9_51:
	s_endpgm
.LBB9_52:
	s_brev_b32 s0, 18
	v_and_b32_e32 v4, 0x7fffffff, v2
	v_cmp_nlt_f32_e64 s[0:1], |v2|, s0
                                        ; implicit-def: $vgpr6
                                        ; implicit-def: $vgpr8
	s_and_saveexec_b64 s[2:3], s[0:1]
	s_xor_b64 s[14:15], exec, s[2:3]
	s_cbranch_execz .LBB9_54
; %bb.53:
	v_and_b32_e32 v6, 0x7fffff, v4
	v_or_b32_e32 v6, 0x800000, v6
	s_mov_b32 s0, 0xfe5163ab
	v_mad_u64_u32 v[10:11], s[0:1], v6, s0, 0
	v_mov_b32_e32 v12, 0
	s_mov_b32 s0, 0x3c439041
	v_mad_u64_u32 v[13:14], s[0:1], v6, s0, v[11:12]
	s_mov_b32 s0, 0xdb629599
	v_lshrrev_b32_e32 v8, 23, v4
	v_mov_b32_e32 v11, v14
	v_mad_u64_u32 v[14:15], s[0:1], v6, s0, v[11:12]
	s_mov_b32 s0, 0xf534ddc0
	v_add_u32_e32 v8, 0xffffff88, v8
	v_mov_b32_e32 v11, v15
	v_mad_u64_u32 v[15:16], s[0:1], v6, s0, v[11:12]
	s_mov_b32 s0, 0xfc2757d1
	v_not_b32_e32 v18, 63
	v_mov_b32_e32 v11, v16
	v_mad_u64_u32 v[16:17], s[0:1], v6, s0, v[11:12]
	v_cmp_lt_u32_e64 s[0:1], 63, v8
	v_cndmask_b32_e64 v11, 0, v18, s[0:1]
	v_add_u32_e32 v8, v11, v8
	v_mov_b32_e32 v11, v17
	s_mov_b32 s2, 0x4e441529
	v_mad_u64_u32 v[17:18], s[2:3], v6, s2, v[11:12]
	v_not_b32_e32 v19, 31
	v_cmp_lt_u32_e64 s[2:3], 31, v8
	v_cndmask_b32_e64 v11, 0, v19, s[2:3]
	v_add_u32_e32 v8, v11, v8
	v_mov_b32_e32 v11, v18
	s_mov_b32 s4, 0xa2f9836e
	v_mad_u64_u32 v[11:12], s[4:5], v6, s4, v[11:12]
	v_cmp_lt_u32_e64 s[4:5], 31, v8
	v_cndmask_b32_e64 v6, 0, v19, s[4:5]
	v_add_u32_e32 v6, v6, v8
	v_cndmask_b32_e64 v8, v17, v15, s[0:1]
	v_cndmask_b32_e64 v11, v11, v16, s[0:1]
	v_cndmask_b32_e64 v12, v12, v17, s[0:1]
	v_cndmask_b32_e64 v18, v11, v8, s[2:3]
	v_cndmask_b32_e64 v11, v12, v11, s[2:3]
	v_cndmask_b32_e64 v12, v16, v14, s[0:1]
	v_cndmask_b32_e64 v8, v8, v12, s[2:3]
	v_cndmask_b32_e64 v11, v11, v18, s[4:5]
	v_cndmask_b32_e64 v16, v18, v8, s[4:5]
	v_sub_u32_e32 v17, 32, v6
	v_alignbit_b32 v18, v11, v16, v17
	v_cmp_eq_u32_e64 s[6:7], 0, v6
	v_cndmask_b32_e64 v6, v18, v11, s[6:7]
	v_cndmask_b32_e64 v11, v15, v13, s[0:1]
	;; [unrolled: 1-line block ×4, first 2 shown]
	v_alignbit_b32 v13, v16, v8, v17
	v_cndmask_b32_e64 v10, v14, v10, s[0:1]
	v_cndmask_b32_e64 v13, v13, v16, s[6:7]
	v_bfe_u32 v18, v6, 29, 1
	v_cndmask_b32_e64 v10, v11, v10, s[2:3]
	v_alignbit_b32 v15, v6, v13, 30
	v_sub_u32_e32 v19, 0, v18
	v_cndmask_b32_e64 v10, v12, v10, s[4:5]
	v_xor_b32_e32 v15, v15, v19
	v_alignbit_b32 v11, v8, v10, v17
	v_cndmask_b32_e64 v8, v11, v8, s[6:7]
	v_ffbh_u32_e32 v12, v15
	v_alignbit_b32 v11, v13, v8, 30
	v_min_u32_e32 v12, 32, v12
	v_alignbit_b32 v8, v8, v10, 30
	v_xor_b32_e32 v11, v11, v19
	v_sub_u32_e32 v13, 31, v12
	v_xor_b32_e32 v8, v8, v19
	v_alignbit_b32 v14, v15, v11, v13
	v_alignbit_b32 v8, v11, v8, v13
	;; [unrolled: 1-line block ×3, first 2 shown]
	v_ffbh_u32_e32 v11, v10
	v_min_u32_e32 v11, 32, v11
	v_lshrrev_b32_e32 v16, 29, v6
	v_not_b32_e32 v13, v11
	v_alignbit_b32 v8, v10, v8, v13
	v_lshlrev_b32_e32 v10, 31, v16
	v_or_b32_e32 v13, 0x33000000, v10
	v_add_lshl_u32 v11, v11, v12, 23
	v_lshrrev_b32_e32 v8, 9, v8
	v_sub_u32_e32 v11, v13, v11
	v_or_b32_e32 v10, 0.5, v10
	v_lshlrev_b32_e32 v12, 23, v12
	v_or_b32_e32 v8, v11, v8
	v_lshrrev_b32_e32 v11, 9, v14
	v_sub_u32_e32 v10, v10, v12
	v_or_b32_e32 v10, v11, v10
	s_mov_b32 s0, 0x3fc90fda
	v_mul_f32_e32 v11, 0x3fc90fda, v10
	v_fma_f32 v12, v10, s0, -v11
	v_fmac_f32_e32 v12, 0x33a22168, v10
	v_fmac_f32_e32 v12, 0x3fc90fda, v8
	v_lshrrev_b32_e32 v6, 30, v6
	v_add_f32_e32 v8, v11, v12
	v_add_u32_e32 v6, v18, v6
.LBB9_54:
	s_andn2_saveexec_b64 s[0:1], s[14:15]
	s_cbranch_execz .LBB9_56
; %bb.55:
	s_mov_b32 s2, 0x3f22f983
	v_mul_f32_e64 v6, |v2|, s2
	v_rndne_f32_e32 v10, v6
	s_mov_b32 s2, 0xbfc90fda
	v_cvt_i32_f32_e32 v6, v10
	v_fma_f32 v8, v10, s2, |v2|
	v_fmac_f32_e32 v8, 0xb3a22168, v10
	v_fmac_f32_e32 v8, 0xa7c234c4, v10
.LBB9_56:
	s_or_b64 exec, exec, s[0:1]
	v_mul_f32_e32 v10, v8, v8
	v_mov_b32_e32 v11, 0x3c0881c4
	v_fmac_f32_e32 v11, 0xb94c1982, v10
	v_mov_b32_e32 v12, 0xbe2aaa9d
	v_fmac_f32_e32 v12, v10, v11
	v_mul_f32_e32 v11, v10, v12
	v_fmac_f32_e32 v8, v8, v11
	v_mov_b32_e32 v11, 0xbab64f3b
	v_fmac_f32_e32 v11, 0x37d75334, v10
	v_mov_b32_e32 v12, 0x3d2aabf7
	v_fmac_f32_e32 v12, v10, v11
	v_mov_b32_e32 v11, 0xbf000004
	v_fmac_f32_e32 v11, v10, v12
	v_fma_f32 v10, v10, v11, 1.0
	v_and_b32_e32 v11, 1, v6
	v_lshlrev_b32_e32 v6, 30, v6
	v_cmp_eq_u32_e64 s[0:1], 0, v11
	v_and_b32_e32 v6, 0x80000000, v6
	v_xor_b32_e32 v4, v4, v2
	v_cndmask_b32_e64 v8, v10, v8, s[0:1]
	v_xor_b32_e32 v4, v4, v6
	s_movk_i32 s0, 0x1f8
	v_xor_b32_e32 v4, v4, v8
	v_mov_b32_e32 v6, 0x7fc00000
	v_cmp_class_f32_e64 s[0:1], v2, s0
	v_cndmask_b32_e64 v6, v6, v4, s[0:1]
	s_or_b64 exec, exec, s[10:11]
	s_and_saveexec_b64 s[0:1], vcc
	s_xor_b64 s[0:1], exec, s[0:1]
	s_cbranch_execz .LBB9_47
.LBB9_57:
	v_mov_b32_e32 v2, 0
	v_lshlrev_b64 v[0:1], 2, v[1:2]
	v_mov_b32_e32 v2, s9
	v_add_co_u32_e32 v0, vcc, s8, v0
	v_addc_co_u32_e32 v1, vcc, v2, v1, vcc
	global_store_dword v[0:1], v3, off
	v_mov_b32_e32 v0, v5
	s_or_b64 exec, exec, s[0:1]
	v_cmp_gt_i32_e32 vcc, s16, v0
	s_and_saveexec_b64 s[0:1], vcc
	s_cbranch_execz .LBB9_48
.LBB9_58:
	v_add_u32_e32 v1, s12, v0
	v_mov_b32_e32 v2, 0
	v_lshlrev_b64 v[1:2], 2, v[1:2]
	v_mov_b32_e32 v3, s9
	v_add_co_u32_e32 v1, vcc, s8, v1
	v_addc_co_u32_e32 v2, vcc, v3, v2, vcc
	v_add_u32_e32 v0, 0x100, v0
	global_store_dword v[1:2], v9, off
	s_or_b64 exec, exec, s[0:1]
	v_cmp_gt_i32_e32 vcc, s16, v0
	s_and_saveexec_b64 s[0:1], vcc
	s_cbranch_execz .LBB9_49
.LBB9_59:
	v_add_u32_e32 v1, s12, v0
	v_mov_b32_e32 v2, 0
	v_lshlrev_b64 v[1:2], 2, v[1:2]
	v_mov_b32_e32 v3, s9
	v_add_co_u32_e32 v1, vcc, s8, v1
	v_addc_co_u32_e32 v2, vcc, v3, v2, vcc
	v_add_u32_e32 v0, 0x100, v0
	global_store_dword v[1:2], v7, off
	s_or_b64 exec, exec, s[0:1]
	v_cmp_gt_i32_e32 vcc, s16, v0
	s_and_saveexec_b64 s[0:1], vcc
	s_cbranch_execnz .LBB9_50
	s_branch .LBB9_51
	.section	.rodata,"a",@progbits
	.p2align	6, 0x0
	.amdhsa_kernel _ZN2at6native29vectorized_elementwise_kernelILi8EZZZNS0_15sin_kernel_cudaERNS_18TensorIteratorBaseEENKUlvE0_clEvENKUlvE0_clEvEUlfE_St5arrayIPcLm2EEEEviT0_T1_
		.amdhsa_group_segment_fixed_size 0
		.amdhsa_private_segment_fixed_size 0
		.amdhsa_kernarg_size 24
		.amdhsa_user_sgpr_count 6
		.amdhsa_user_sgpr_private_segment_buffer 1
		.amdhsa_user_sgpr_dispatch_ptr 0
		.amdhsa_user_sgpr_queue_ptr 0
		.amdhsa_user_sgpr_kernarg_segment_ptr 1
		.amdhsa_user_sgpr_dispatch_id 0
		.amdhsa_user_sgpr_flat_scratch_init 0
		.amdhsa_user_sgpr_private_segment_size 0
		.amdhsa_uses_dynamic_stack 0
		.amdhsa_system_sgpr_private_segment_wavefront_offset 0
		.amdhsa_system_sgpr_workgroup_id_x 1
		.amdhsa_system_sgpr_workgroup_id_y 0
		.amdhsa_system_sgpr_workgroup_id_z 0
		.amdhsa_system_sgpr_workgroup_info 0
		.amdhsa_system_vgpr_workitem_id 0
		.amdhsa_next_free_vgpr 28
		.amdhsa_next_free_sgpr 17
		.amdhsa_reserve_vcc 1
		.amdhsa_reserve_flat_scratch 0
		.amdhsa_float_round_mode_32 0
		.amdhsa_float_round_mode_16_64 0
		.amdhsa_float_denorm_mode_32 3
		.amdhsa_float_denorm_mode_16_64 3
		.amdhsa_dx10_clamp 1
		.amdhsa_ieee_mode 1
		.amdhsa_fp16_overflow 0
		.amdhsa_exception_fp_ieee_invalid_op 0
		.amdhsa_exception_fp_denorm_src 0
		.amdhsa_exception_fp_ieee_div_zero 0
		.amdhsa_exception_fp_ieee_overflow 0
		.amdhsa_exception_fp_ieee_underflow 0
		.amdhsa_exception_fp_ieee_inexact 0
		.amdhsa_exception_int_div_zero 0
	.end_amdhsa_kernel
	.section	.text._ZN2at6native29vectorized_elementwise_kernelILi8EZZZNS0_15sin_kernel_cudaERNS_18TensorIteratorBaseEENKUlvE0_clEvENKUlvE0_clEvEUlfE_St5arrayIPcLm2EEEEviT0_T1_,"axG",@progbits,_ZN2at6native29vectorized_elementwise_kernelILi8EZZZNS0_15sin_kernel_cudaERNS_18TensorIteratorBaseEENKUlvE0_clEvENKUlvE0_clEvEUlfE_St5arrayIPcLm2EEEEviT0_T1_,comdat
.Lfunc_end9:
	.size	_ZN2at6native29vectorized_elementwise_kernelILi8EZZZNS0_15sin_kernel_cudaERNS_18TensorIteratorBaseEENKUlvE0_clEvENKUlvE0_clEvEUlfE_St5arrayIPcLm2EEEEviT0_T1_, .Lfunc_end9-_ZN2at6native29vectorized_elementwise_kernelILi8EZZZNS0_15sin_kernel_cudaERNS_18TensorIteratorBaseEENKUlvE0_clEvENKUlvE0_clEvEUlfE_St5arrayIPcLm2EEEEviT0_T1_
                                        ; -- End function
	.set _ZN2at6native29vectorized_elementwise_kernelILi8EZZZNS0_15sin_kernel_cudaERNS_18TensorIteratorBaseEENKUlvE0_clEvENKUlvE0_clEvEUlfE_St5arrayIPcLm2EEEEviT0_T1_.num_vgpr, 28
	.set _ZN2at6native29vectorized_elementwise_kernelILi8EZZZNS0_15sin_kernel_cudaERNS_18TensorIteratorBaseEENKUlvE0_clEvENKUlvE0_clEvEUlfE_St5arrayIPcLm2EEEEviT0_T1_.num_agpr, 0
	.set _ZN2at6native29vectorized_elementwise_kernelILi8EZZZNS0_15sin_kernel_cudaERNS_18TensorIteratorBaseEENKUlvE0_clEvENKUlvE0_clEvEUlfE_St5arrayIPcLm2EEEEviT0_T1_.numbered_sgpr, 17
	.set _ZN2at6native29vectorized_elementwise_kernelILi8EZZZNS0_15sin_kernel_cudaERNS_18TensorIteratorBaseEENKUlvE0_clEvENKUlvE0_clEvEUlfE_St5arrayIPcLm2EEEEviT0_T1_.num_named_barrier, 0
	.set _ZN2at6native29vectorized_elementwise_kernelILi8EZZZNS0_15sin_kernel_cudaERNS_18TensorIteratorBaseEENKUlvE0_clEvENKUlvE0_clEvEUlfE_St5arrayIPcLm2EEEEviT0_T1_.private_seg_size, 0
	.set _ZN2at6native29vectorized_elementwise_kernelILi8EZZZNS0_15sin_kernel_cudaERNS_18TensorIteratorBaseEENKUlvE0_clEvENKUlvE0_clEvEUlfE_St5arrayIPcLm2EEEEviT0_T1_.uses_vcc, 1
	.set _ZN2at6native29vectorized_elementwise_kernelILi8EZZZNS0_15sin_kernel_cudaERNS_18TensorIteratorBaseEENKUlvE0_clEvENKUlvE0_clEvEUlfE_St5arrayIPcLm2EEEEviT0_T1_.uses_flat_scratch, 0
	.set _ZN2at6native29vectorized_elementwise_kernelILi8EZZZNS0_15sin_kernel_cudaERNS_18TensorIteratorBaseEENKUlvE0_clEvENKUlvE0_clEvEUlfE_St5arrayIPcLm2EEEEviT0_T1_.has_dyn_sized_stack, 0
	.set _ZN2at6native29vectorized_elementwise_kernelILi8EZZZNS0_15sin_kernel_cudaERNS_18TensorIteratorBaseEENKUlvE0_clEvENKUlvE0_clEvEUlfE_St5arrayIPcLm2EEEEviT0_T1_.has_recursion, 0
	.set _ZN2at6native29vectorized_elementwise_kernelILi8EZZZNS0_15sin_kernel_cudaERNS_18TensorIteratorBaseEENKUlvE0_clEvENKUlvE0_clEvEUlfE_St5arrayIPcLm2EEEEviT0_T1_.has_indirect_call, 0
	.section	.AMDGPU.csdata,"",@progbits
; Kernel info:
; codeLenInByte = 7652
; TotalNumSgprs: 21
; NumVgprs: 28
; ScratchSize: 0
; MemoryBound: 0
; FloatMode: 240
; IeeeMode: 1
; LDSByteSize: 0 bytes/workgroup (compile time only)
; SGPRBlocks: 2
; VGPRBlocks: 6
; NumSGPRsForWavesPerEU: 21
; NumVGPRsForWavesPerEU: 28
; Occupancy: 9
; WaveLimiterHint : 0
; COMPUTE_PGM_RSRC2:SCRATCH_EN: 0
; COMPUTE_PGM_RSRC2:USER_SGPR: 6
; COMPUTE_PGM_RSRC2:TRAP_HANDLER: 0
; COMPUTE_PGM_RSRC2:TGID_X_EN: 1
; COMPUTE_PGM_RSRC2:TGID_Y_EN: 0
; COMPUTE_PGM_RSRC2:TGID_Z_EN: 0
; COMPUTE_PGM_RSRC2:TIDIG_COMP_CNT: 0
	.section	.text._ZN2at6native29vectorized_elementwise_kernelILi4EZZZNS0_15sin_kernel_cudaERNS_18TensorIteratorBaseEENKUlvE0_clEvENKUlvE0_clEvEUlfE_St5arrayIPcLm2EEEEviT0_T1_,"axG",@progbits,_ZN2at6native29vectorized_elementwise_kernelILi4EZZZNS0_15sin_kernel_cudaERNS_18TensorIteratorBaseEENKUlvE0_clEvENKUlvE0_clEvEUlfE_St5arrayIPcLm2EEEEviT0_T1_,comdat
	.globl	_ZN2at6native29vectorized_elementwise_kernelILi4EZZZNS0_15sin_kernel_cudaERNS_18TensorIteratorBaseEENKUlvE0_clEvENKUlvE0_clEvEUlfE_St5arrayIPcLm2EEEEviT0_T1_ ; -- Begin function _ZN2at6native29vectorized_elementwise_kernelILi4EZZZNS0_15sin_kernel_cudaERNS_18TensorIteratorBaseEENKUlvE0_clEvENKUlvE0_clEvEUlfE_St5arrayIPcLm2EEEEviT0_T1_
	.p2align	8
	.type	_ZN2at6native29vectorized_elementwise_kernelILi4EZZZNS0_15sin_kernel_cudaERNS_18TensorIteratorBaseEENKUlvE0_clEvENKUlvE0_clEvEUlfE_St5arrayIPcLm2EEEEviT0_T1_,@function
_ZN2at6native29vectorized_elementwise_kernelILi4EZZZNS0_15sin_kernel_cudaERNS_18TensorIteratorBaseEENKUlvE0_clEvENKUlvE0_clEvEUlfE_St5arrayIPcLm2EEEEviT0_T1_: ; @_ZN2at6native29vectorized_elementwise_kernelILi4EZZZNS0_15sin_kernel_cudaERNS_18TensorIteratorBaseEENKUlvE0_clEvENKUlvE0_clEvEUlfE_St5arrayIPcLm2EEEEviT0_T1_
; %bb.0:
	s_load_dword s0, s[4:5], 0x0
	s_load_dwordx4 s[8:11], s[4:5], 0x8
	s_lshl_b32 s12, s6, 10
	s_waitcnt lgkmcnt(0)
	s_sub_i32 s16, s0, s12
	s_cmpk_gt_i32 s16, 0x3ff
	s_mov_b64 s[0:1], -1
	s_cbranch_scc0 .LBB10_18
; %bb.1:
	s_ashr_i32 s13, s12, 31
	s_lshl_b64 s[6:7], s[12:13], 2
	s_add_u32 s0, s10, s6
	s_addc_u32 s1, s11, s7
	v_lshlrev_b32_e32 v7, 4, v0
	global_load_dwordx4 v[1:4], v7, s[0:1]
	s_brev_b32 s0, 18
	v_mov_b32_e32 v6, 0
                                        ; implicit-def: $vgpr9
                                        ; implicit-def: $vgpr5
	s_waitcnt vmcnt(0)
	v_and_b32_e32 v8, 0x7fffffff, v1
	v_cmp_nlt_f32_e64 s[0:1], |v1|, s0
	s_and_saveexec_b64 s[2:3], s[0:1]
	s_xor_b64 s[14:15], exec, s[2:3]
	s_cbranch_execz .LBB10_3
; %bb.2:
	v_and_b32_e32 v5, 0x7fffff, v8
	v_or_b32_e32 v16, 0x800000, v5
	s_mov_b32 s0, 0xfe5163ab
	v_mad_u64_u32 v[9:10], s[0:1], v16, s0, 0
	s_mov_b32 s0, 0x3c439041
	v_lshrrev_b32_e32 v14, 23, v8
	v_mov_b32_e32 v5, v10
	v_mad_u64_u32 v[10:11], s[0:1], v16, s0, v[5:6]
	s_mov_b32 s0, 0xdb629599
	v_add_u32_e32 v17, 0xffffff88, v14
	v_mov_b32_e32 v5, v11
	v_mad_u64_u32 v[11:12], s[0:1], v16, s0, v[5:6]
	s_mov_b32 s0, 0xf534ddc0
	v_not_b32_e32 v15, 63
	v_mov_b32_e32 v5, v12
	v_mad_u64_u32 v[12:13], s[0:1], v16, s0, v[5:6]
	s_mov_b32 s0, 0xfc2757d1
	v_cmp_lt_u32_e32 vcc, 63, v17
	v_mov_b32_e32 v5, v13
	v_mad_u64_u32 v[13:14], s[0:1], v16, s0, v[5:6]
	v_cndmask_b32_e32 v5, 0, v15, vcc
	v_add_u32_e32 v17, v5, v17
	v_mov_b32_e32 v5, v14
	s_mov_b32 s0, 0x4e441529
	v_mad_u64_u32 v[14:15], s[0:1], v16, s0, v[5:6]
	v_not_b32_e32 v18, 31
	v_cmp_lt_u32_e64 s[0:1], 31, v17
	v_cndmask_b32_e64 v5, 0, v18, s[0:1]
	v_add_u32_e32 v17, v5, v17
	v_mov_b32_e32 v5, v15
	s_mov_b32 s2, 0xa2f9836e
	v_mad_u64_u32 v[5:6], s[2:3], v16, s2, v[5:6]
	v_cmp_lt_u32_e64 s[2:3], 31, v17
	v_cndmask_b32_e64 v15, 0, v18, s[2:3]
	v_cndmask_b32_e32 v16, v14, v12, vcc
	v_cndmask_b32_e32 v5, v5, v13, vcc
	;; [unrolled: 1-line block ×3, first 2 shown]
	v_add_u32_e32 v15, v15, v17
	v_cndmask_b32_e64 v17, v5, v16, s[0:1]
	v_cndmask_b32_e64 v5, v6, v5, s[0:1]
	v_cndmask_b32_e32 v6, v13, v11, vcc
	v_cndmask_b32_e64 v13, v16, v6, s[0:1]
	v_cndmask_b32_e64 v5, v5, v17, s[2:3]
	v_cndmask_b32_e64 v14, v17, v13, s[2:3]
	v_sub_u32_e32 v16, 32, v15
	v_alignbit_b32 v17, v5, v14, v16
	v_cmp_eq_u32_e64 s[4:5], 0, v15
	v_cndmask_b32_e64 v15, v17, v5, s[4:5]
	v_cndmask_b32_e32 v5, v12, v10, vcc
	v_cndmask_b32_e64 v6, v6, v5, s[0:1]
	v_cndmask_b32_e64 v10, v13, v6, s[2:3]
	v_alignbit_b32 v12, v14, v10, v16
	v_cndmask_b32_e32 v9, v11, v9, vcc
	v_cndmask_b32_e64 v12, v12, v14, s[4:5]
	v_bfe_u32 v17, v15, 29, 1
	v_cndmask_b32_e64 v5, v5, v9, s[0:1]
	v_alignbit_b32 v13, v15, v12, 30
	v_sub_u32_e32 v18, 0, v17
	v_cndmask_b32_e64 v5, v6, v5, s[2:3]
	v_xor_b32_e32 v13, v13, v18
	v_alignbit_b32 v6, v10, v5, v16
	v_cndmask_b32_e64 v6, v6, v10, s[4:5]
	v_ffbh_u32_e32 v10, v13
	v_alignbit_b32 v9, v12, v6, 30
	v_min_u32_e32 v10, 32, v10
	v_alignbit_b32 v5, v6, v5, 30
	v_xor_b32_e32 v9, v9, v18
	v_sub_u32_e32 v11, 31, v10
	v_xor_b32_e32 v5, v5, v18
	v_alignbit_b32 v12, v13, v9, v11
	v_alignbit_b32 v5, v9, v5, v11
	;; [unrolled: 1-line block ×3, first 2 shown]
	v_ffbh_u32_e32 v9, v6
	v_min_u32_e32 v9, 32, v9
	v_lshrrev_b32_e32 v14, 29, v15
	v_not_b32_e32 v11, v9
	v_alignbit_b32 v5, v6, v5, v11
	v_lshlrev_b32_e32 v6, 31, v14
	v_or_b32_e32 v11, 0x33000000, v6
	v_add_lshl_u32 v9, v9, v10, 23
	v_lshrrev_b32_e32 v5, 9, v5
	v_sub_u32_e32 v9, v11, v9
	v_or_b32_e32 v6, 0.5, v6
	v_lshlrev_b32_e32 v10, 23, v10
	v_or_b32_e32 v5, v9, v5
	v_lshrrev_b32_e32 v9, 9, v12
	v_sub_u32_e32 v6, v6, v10
	v_or_b32_e32 v6, v9, v6
	s_mov_b32 s0, 0x3fc90fda
	v_mul_f32_e32 v9, 0x3fc90fda, v6
	v_fma_f32 v10, v6, s0, -v9
	v_fmac_f32_e32 v10, 0x33a22168, v6
	v_fmac_f32_e32 v10, 0x3fc90fda, v5
	v_lshrrev_b32_e32 v6, 30, v15
	v_add_f32_e32 v5, v9, v10
	v_add_u32_e32 v9, v17, v6
.LBB10_3:
	s_andn2_saveexec_b64 s[0:1], s[14:15]
	s_cbranch_execz .LBB10_5
; %bb.4:
	s_mov_b32 s2, 0x3f22f983
	v_mul_f32_e64 v5, |v1|, s2
	v_rndne_f32_e32 v6, v5
	s_mov_b32 s2, 0xbfc90fda
	v_cvt_i32_f32_e32 v9, v6
	v_fma_f32 v5, v6, s2, |v1|
	v_fmac_f32_e32 v5, 0xb3a22168, v6
	v_fmac_f32_e32 v5, 0xa7c234c4, v6
.LBB10_5:
	s_or_b64 exec, exec, s[0:1]
	s_brev_b32 s0, 18
	v_and_b32_e32 v6, 0x7fffffff, v2
	v_cmp_nlt_f32_e64 s[0:1], |v2|, s0
                                        ; implicit-def: $vgpr11
                                        ; implicit-def: $vgpr10
	s_and_saveexec_b64 s[2:3], s[0:1]
	s_xor_b64 s[14:15], exec, s[2:3]
	s_cbranch_execz .LBB10_7
; %bb.6:
	v_and_b32_e32 v10, 0x7fffff, v6
	v_or_b32_e32 v19, 0x800000, v10
	s_mov_b32 s0, 0xfe5163ab
	v_mad_u64_u32 v[10:11], s[0:1], v19, s0, 0
	v_mov_b32_e32 v12, 0
	s_mov_b32 s0, 0x3c439041
	v_mad_u64_u32 v[13:14], s[0:1], v19, s0, v[11:12]
	s_mov_b32 s0, 0xdb629599
	v_not_b32_e32 v18, 63
	v_mov_b32_e32 v11, v14
	v_mad_u64_u32 v[14:15], s[0:1], v19, s0, v[11:12]
	s_mov_b32 s0, 0xf534ddc0
	v_not_b32_e32 v21, 31
	v_mov_b32_e32 v11, v15
	v_mad_u64_u32 v[15:16], s[0:1], v19, s0, v[11:12]
	v_lshrrev_b32_e32 v11, 23, v6
	v_add_u32_e32 v20, 0xffffff88, v11
	v_mov_b32_e32 v11, v16
	s_mov_b32 s0, 0xfc2757d1
	v_mad_u64_u32 v[16:17], s[0:1], v19, s0, v[11:12]
	v_cmp_lt_u32_e32 vcc, 63, v20
	v_cndmask_b32_e32 v11, 0, v18, vcc
	v_add_u32_e32 v20, v11, v20
	v_mov_b32_e32 v11, v17
	s_mov_b32 s0, 0x4e441529
	v_mad_u64_u32 v[17:18], s[0:1], v19, s0, v[11:12]
	v_cmp_lt_u32_e64 s[0:1], 31, v20
	v_cndmask_b32_e64 v11, 0, v21, s[0:1]
	v_add_u32_e32 v20, v11, v20
	v_mov_b32_e32 v11, v18
	s_mov_b32 s2, 0xa2f9836e
	v_mad_u64_u32 v[11:12], s[2:3], v19, s2, v[11:12]
	v_cmp_lt_u32_e64 s[2:3], 31, v20
	v_cndmask_b32_e64 v18, 0, v21, s[2:3]
	v_cndmask_b32_e32 v19, v17, v15, vcc
	v_cndmask_b32_e32 v11, v11, v16, vcc
	;; [unrolled: 1-line block ×3, first 2 shown]
	v_add_u32_e32 v18, v18, v20
	v_cndmask_b32_e64 v20, v11, v19, s[0:1]
	v_cndmask_b32_e64 v11, v12, v11, s[0:1]
	v_cndmask_b32_e32 v12, v16, v14, vcc
	v_cndmask_b32_e64 v16, v19, v12, s[0:1]
	v_cndmask_b32_e32 v13, v15, v13, vcc
	v_cndmask_b32_e64 v11, v11, v20, s[2:3]
	v_cndmask_b32_e64 v17, v20, v16, s[2:3]
	v_sub_u32_e32 v19, 32, v18
	v_cndmask_b32_e64 v12, v12, v13, s[0:1]
	v_alignbit_b32 v20, v11, v17, v19
	v_cmp_eq_u32_e64 s[4:5], 0, v18
	v_cndmask_b32_e64 v15, v16, v12, s[2:3]
	v_cndmask_b32_e64 v11, v20, v11, s[4:5]
	v_alignbit_b32 v16, v17, v15, v19
	v_cndmask_b32_e32 v10, v14, v10, vcc
	v_cndmask_b32_e64 v16, v16, v17, s[4:5]
	v_bfe_u32 v20, v11, 29, 1
	v_cndmask_b32_e64 v10, v13, v10, s[0:1]
	v_alignbit_b32 v17, v11, v16, 30
	v_sub_u32_e32 v21, 0, v20
	v_cndmask_b32_e64 v10, v12, v10, s[2:3]
	v_xor_b32_e32 v17, v17, v21
	v_alignbit_b32 v12, v15, v10, v19
	v_cndmask_b32_e64 v12, v12, v15, s[4:5]
	v_ffbh_u32_e32 v14, v17
	v_alignbit_b32 v13, v16, v12, 30
	v_min_u32_e32 v14, 32, v14
	v_alignbit_b32 v10, v12, v10, 30
	v_xor_b32_e32 v13, v13, v21
	v_sub_u32_e32 v15, 31, v14
	v_xor_b32_e32 v10, v10, v21
	v_alignbit_b32 v16, v17, v13, v15
	v_alignbit_b32 v10, v13, v10, v15
	;; [unrolled: 1-line block ×3, first 2 shown]
	v_ffbh_u32_e32 v13, v12
	v_min_u32_e32 v13, 32, v13
	v_lshrrev_b32_e32 v18, 29, v11
	v_not_b32_e32 v15, v13
	v_alignbit_b32 v10, v12, v10, v15
	v_lshlrev_b32_e32 v12, 31, v18
	v_or_b32_e32 v15, 0x33000000, v12
	v_add_lshl_u32 v13, v13, v14, 23
	v_lshrrev_b32_e32 v10, 9, v10
	v_sub_u32_e32 v13, v15, v13
	v_or_b32_e32 v12, 0.5, v12
	v_lshlrev_b32_e32 v14, 23, v14
	v_or_b32_e32 v10, v13, v10
	v_lshrrev_b32_e32 v13, 9, v16
	v_sub_u32_e32 v12, v12, v14
	v_or_b32_e32 v12, v13, v12
	s_mov_b32 s0, 0x3fc90fda
	v_mul_f32_e32 v13, 0x3fc90fda, v12
	v_fma_f32 v14, v12, s0, -v13
	v_fmac_f32_e32 v14, 0x33a22168, v12
	v_fmac_f32_e32 v14, 0x3fc90fda, v10
	v_lshrrev_b32_e32 v11, 30, v11
	v_add_f32_e32 v10, v13, v14
	v_add_u32_e32 v11, v20, v11
.LBB10_7:
	s_andn2_saveexec_b64 s[0:1], s[14:15]
	s_cbranch_execz .LBB10_9
; %bb.8:
	s_mov_b32 s2, 0x3f22f983
	v_mul_f32_e64 v10, |v2|, s2
	v_rndne_f32_e32 v12, v10
	s_mov_b32 s2, 0xbfc90fda
	v_cvt_i32_f32_e32 v11, v12
	v_fma_f32 v10, v12, s2, |v2|
	v_fmac_f32_e32 v10, 0xb3a22168, v12
	v_fmac_f32_e32 v10, 0xa7c234c4, v12
.LBB10_9:
	s_or_b64 exec, exec, s[0:1]
	s_brev_b32 s0, 18
	v_and_b32_e32 v12, 0x7fffffff, v3
	v_cmp_nlt_f32_e64 s[0:1], |v3|, s0
                                        ; implicit-def: $vgpr15
                                        ; implicit-def: $vgpr14
	s_and_saveexec_b64 s[2:3], s[0:1]
	s_xor_b64 s[14:15], exec, s[2:3]
	s_cbranch_execz .LBB10_11
; %bb.10:
	v_and_b32_e32 v13, 0x7fffff, v12
	v_or_b32_e32 v22, 0x800000, v13
	s_mov_b32 s0, 0xfe5163ab
	v_mad_u64_u32 v[13:14], s[0:1], v22, s0, 0
	v_mov_b32_e32 v15, 0
	s_mov_b32 s0, 0x3c439041
	v_mad_u64_u32 v[16:17], s[0:1], v22, s0, v[14:15]
	s_mov_b32 s0, 0xdb629599
	v_not_b32_e32 v21, 63
	v_mov_b32_e32 v14, v17
	v_mad_u64_u32 v[17:18], s[0:1], v22, s0, v[14:15]
	s_mov_b32 s0, 0xf534ddc0
	v_not_b32_e32 v24, 31
	v_mov_b32_e32 v14, v18
	v_mad_u64_u32 v[18:19], s[0:1], v22, s0, v[14:15]
	v_lshrrev_b32_e32 v14, 23, v12
	v_add_u32_e32 v23, 0xffffff88, v14
	v_mov_b32_e32 v14, v19
	s_mov_b32 s0, 0xfc2757d1
	v_mad_u64_u32 v[19:20], s[0:1], v22, s0, v[14:15]
	v_cmp_lt_u32_e32 vcc, 63, v23
	v_cndmask_b32_e32 v14, 0, v21, vcc
	v_add_u32_e32 v23, v14, v23
	v_mov_b32_e32 v14, v20
	s_mov_b32 s0, 0x4e441529
	v_mad_u64_u32 v[20:21], s[0:1], v22, s0, v[14:15]
	v_cmp_lt_u32_e64 s[0:1], 31, v23
	v_cndmask_b32_e64 v14, 0, v24, s[0:1]
	v_add_u32_e32 v23, v14, v23
	v_mov_b32_e32 v14, v21
	s_mov_b32 s2, 0xa2f9836e
	v_mad_u64_u32 v[14:15], s[2:3], v22, s2, v[14:15]
	v_cmp_lt_u32_e64 s[2:3], 31, v23
	v_cndmask_b32_e64 v21, 0, v24, s[2:3]
	v_cndmask_b32_e32 v22, v20, v18, vcc
	v_cndmask_b32_e32 v14, v14, v19, vcc
	;; [unrolled: 1-line block ×3, first 2 shown]
	v_add_u32_e32 v21, v21, v23
	v_cndmask_b32_e64 v23, v14, v22, s[0:1]
	v_cndmask_b32_e64 v14, v15, v14, s[0:1]
	v_cndmask_b32_e32 v15, v19, v17, vcc
	v_cndmask_b32_e64 v19, v22, v15, s[0:1]
	v_cndmask_b32_e64 v14, v14, v23, s[2:3]
	;; [unrolled: 1-line block ×3, first 2 shown]
	v_sub_u32_e32 v22, 32, v21
	v_alignbit_b32 v23, v14, v20, v22
	v_cmp_eq_u32_e64 s[4:5], 0, v21
	v_cndmask_b32_e64 v21, v23, v14, s[4:5]
	v_cndmask_b32_e32 v14, v18, v16, vcc
	v_cndmask_b32_e64 v15, v15, v14, s[0:1]
	v_cndmask_b32_e64 v16, v19, v15, s[2:3]
	v_alignbit_b32 v18, v20, v16, v22
	v_cndmask_b32_e32 v13, v17, v13, vcc
	v_cndmask_b32_e64 v18, v18, v20, s[4:5]
	v_bfe_u32 v23, v21, 29, 1
	v_cndmask_b32_e64 v13, v14, v13, s[0:1]
	v_alignbit_b32 v19, v21, v18, 30
	v_sub_u32_e32 v24, 0, v23
	v_cndmask_b32_e64 v13, v15, v13, s[2:3]
	v_xor_b32_e32 v19, v19, v24
	v_alignbit_b32 v14, v16, v13, v22
	v_cndmask_b32_e64 v14, v14, v16, s[4:5]
	v_ffbh_u32_e32 v16, v19
	v_alignbit_b32 v15, v18, v14, 30
	v_min_u32_e32 v16, 32, v16
	v_alignbit_b32 v13, v14, v13, 30
	v_xor_b32_e32 v15, v15, v24
	v_sub_u32_e32 v17, 31, v16
	v_xor_b32_e32 v13, v13, v24
	v_alignbit_b32 v18, v19, v15, v17
	v_alignbit_b32 v13, v15, v13, v17
	;; [unrolled: 1-line block ×3, first 2 shown]
	v_ffbh_u32_e32 v15, v14
	v_min_u32_e32 v15, 32, v15
	v_lshrrev_b32_e32 v20, 29, v21
	v_not_b32_e32 v17, v15
	v_alignbit_b32 v13, v14, v13, v17
	v_lshlrev_b32_e32 v14, 31, v20
	v_or_b32_e32 v17, 0x33000000, v14
	v_add_lshl_u32 v15, v15, v16, 23
	v_lshrrev_b32_e32 v13, 9, v13
	v_sub_u32_e32 v15, v17, v15
	v_or_b32_e32 v14, 0.5, v14
	v_lshlrev_b32_e32 v16, 23, v16
	v_or_b32_e32 v13, v15, v13
	v_lshrrev_b32_e32 v15, 9, v18
	v_sub_u32_e32 v14, v14, v16
	v_or_b32_e32 v14, v15, v14
	s_mov_b32 s0, 0x3fc90fda
	v_mul_f32_e32 v15, 0x3fc90fda, v14
	v_fma_f32 v16, v14, s0, -v15
	v_fmac_f32_e32 v16, 0x33a22168, v14
	v_fmac_f32_e32 v16, 0x3fc90fda, v13
	v_lshrrev_b32_e32 v13, 30, v21
	v_add_f32_e32 v14, v15, v16
	v_add_u32_e32 v15, v23, v13
.LBB10_11:
	s_andn2_saveexec_b64 s[0:1], s[14:15]
	s_cbranch_execz .LBB10_13
; %bb.12:
	s_mov_b32 s2, 0x3f22f983
	v_mul_f32_e64 v13, |v3|, s2
	v_rndne_f32_e32 v13, v13
	s_mov_b32 s2, 0xbfc90fda
	v_cvt_i32_f32_e32 v15, v13
	v_fma_f32 v14, v13, s2, |v3|
	v_fmac_f32_e32 v14, 0xb3a22168, v13
	v_fmac_f32_e32 v14, 0xa7c234c4, v13
.LBB10_13:
	s_or_b64 exec, exec, s[0:1]
	s_brev_b32 s0, 18
	v_and_b32_e32 v13, 0x7fffffff, v4
	v_cmp_nlt_f32_e64 s[0:1], |v4|, s0
                                        ; implicit-def: $vgpr16
                                        ; implicit-def: $vgpr17
	s_and_saveexec_b64 s[2:3], s[0:1]
	s_xor_b64 s[14:15], exec, s[2:3]
	s_cbranch_execz .LBB10_15
; %bb.14:
	v_and_b32_e32 v16, 0x7fffff, v13
	v_or_b32_e32 v25, 0x800000, v16
	s_mov_b32 s0, 0xfe5163ab
	v_mad_u64_u32 v[16:17], s[0:1], v25, s0, 0
	v_mov_b32_e32 v18, 0
	s_mov_b32 s0, 0x3c439041
	v_mad_u64_u32 v[19:20], s[0:1], v25, s0, v[17:18]
	s_mov_b32 s0, 0xdb629599
	v_not_b32_e32 v24, 63
	v_mov_b32_e32 v17, v20
	v_mad_u64_u32 v[20:21], s[0:1], v25, s0, v[17:18]
	s_mov_b32 s0, 0xf534ddc0
	v_not_b32_e32 v27, 31
	v_mov_b32_e32 v17, v21
	v_mad_u64_u32 v[21:22], s[0:1], v25, s0, v[17:18]
	v_lshrrev_b32_e32 v17, 23, v13
	v_add_u32_e32 v26, 0xffffff88, v17
	v_mov_b32_e32 v17, v22
	s_mov_b32 s0, 0xfc2757d1
	v_mad_u64_u32 v[22:23], s[0:1], v25, s0, v[17:18]
	v_cmp_lt_u32_e32 vcc, 63, v26
	v_cndmask_b32_e32 v17, 0, v24, vcc
	v_add_u32_e32 v26, v17, v26
	v_mov_b32_e32 v17, v23
	s_mov_b32 s0, 0x4e441529
	v_mad_u64_u32 v[23:24], s[0:1], v25, s0, v[17:18]
	v_cmp_lt_u32_e64 s[0:1], 31, v26
	v_cndmask_b32_e64 v17, 0, v27, s[0:1]
	v_add_u32_e32 v26, v17, v26
	v_mov_b32_e32 v17, v24
	s_mov_b32 s2, 0xa2f9836e
	v_mad_u64_u32 v[17:18], s[2:3], v25, s2, v[17:18]
	v_cmp_lt_u32_e64 s[2:3], 31, v26
	v_cndmask_b32_e64 v24, 0, v27, s[2:3]
	v_cndmask_b32_e32 v25, v23, v21, vcc
	v_cndmask_b32_e32 v17, v17, v22, vcc
	v_cndmask_b32_e32 v18, v18, v23, vcc
	v_add_u32_e32 v24, v24, v26
	v_cndmask_b32_e64 v26, v17, v25, s[0:1]
	v_cndmask_b32_e64 v17, v18, v17, s[0:1]
	v_cndmask_b32_e32 v18, v22, v20, vcc
	v_cndmask_b32_e64 v22, v25, v18, s[0:1]
	v_cndmask_b32_e64 v17, v17, v26, s[2:3]
	;; [unrolled: 1-line block ×3, first 2 shown]
	v_sub_u32_e32 v25, 32, v24
	v_alignbit_b32 v26, v17, v23, v25
	v_cmp_eq_u32_e64 s[4:5], 0, v24
	v_cndmask_b32_e64 v24, v26, v17, s[4:5]
	v_cndmask_b32_e32 v17, v21, v19, vcc
	v_cndmask_b32_e64 v18, v18, v17, s[0:1]
	v_cndmask_b32_e64 v19, v22, v18, s[2:3]
	v_alignbit_b32 v21, v23, v19, v25
	v_cndmask_b32_e32 v16, v20, v16, vcc
	v_cndmask_b32_e64 v21, v21, v23, s[4:5]
	v_bfe_u32 v26, v24, 29, 1
	v_cndmask_b32_e64 v16, v17, v16, s[0:1]
	v_alignbit_b32 v22, v24, v21, 30
	v_sub_u32_e32 v27, 0, v26
	v_cndmask_b32_e64 v16, v18, v16, s[2:3]
	v_xor_b32_e32 v22, v22, v27
	v_alignbit_b32 v17, v19, v16, v25
	v_cndmask_b32_e64 v17, v17, v19, s[4:5]
	v_ffbh_u32_e32 v19, v22
	v_alignbit_b32 v18, v21, v17, 30
	v_min_u32_e32 v19, 32, v19
	v_alignbit_b32 v16, v17, v16, 30
	v_xor_b32_e32 v18, v18, v27
	v_sub_u32_e32 v20, 31, v19
	v_xor_b32_e32 v16, v16, v27
	v_alignbit_b32 v21, v22, v18, v20
	v_alignbit_b32 v16, v18, v16, v20
	;; [unrolled: 1-line block ×3, first 2 shown]
	v_ffbh_u32_e32 v18, v17
	v_min_u32_e32 v18, 32, v18
	v_lshrrev_b32_e32 v23, 29, v24
	v_not_b32_e32 v20, v18
	v_alignbit_b32 v16, v17, v16, v20
	v_lshlrev_b32_e32 v17, 31, v23
	v_or_b32_e32 v20, 0x33000000, v17
	v_add_lshl_u32 v18, v18, v19, 23
	v_lshrrev_b32_e32 v16, 9, v16
	v_sub_u32_e32 v18, v20, v18
	v_or_b32_e32 v17, 0.5, v17
	v_lshlrev_b32_e32 v19, 23, v19
	v_or_b32_e32 v16, v18, v16
	v_lshrrev_b32_e32 v18, 9, v21
	v_sub_u32_e32 v17, v17, v19
	v_or_b32_e32 v17, v18, v17
	s_mov_b32 s0, 0x3fc90fda
	v_mul_f32_e32 v18, 0x3fc90fda, v17
	v_fma_f32 v19, v17, s0, -v18
	v_fmac_f32_e32 v19, 0x33a22168, v17
	v_fmac_f32_e32 v19, 0x3fc90fda, v16
	v_lshrrev_b32_e32 v16, 30, v24
	v_add_f32_e32 v17, v18, v19
	v_add_u32_e32 v16, v26, v16
.LBB10_15:
	s_andn2_saveexec_b64 s[0:1], s[14:15]
	s_cbranch_execz .LBB10_17
; %bb.16:
	s_mov_b32 s2, 0x3f22f983
	v_mul_f32_e64 v16, |v4|, s2
	v_rndne_f32_e32 v18, v16
	s_mov_b32 s2, 0xbfc90fda
	v_cvt_i32_f32_e32 v16, v18
	v_fma_f32 v17, v18, s2, |v4|
	v_fmac_f32_e32 v17, 0xb3a22168, v18
	v_fmac_f32_e32 v17, 0xa7c234c4, v18
.LBB10_17:
	s_or_b64 exec, exec, s[0:1]
	v_lshlrev_b32_e32 v18, 30, v15
	v_xor_b32_e32 v12, v12, v3
	v_and_b32_e32 v18, 0x80000000, v18
	v_xor_b32_e32 v12, v12, v18
	v_mul_f32_e32 v18, v14, v14
	v_mov_b32_e32 v20, 0x3c0881c4
	v_mov_b32_e32 v22, 0xbab64f3b
	v_fmac_f32_e32 v20, 0xb94c1982, v18
	v_mov_b32_e32 v21, 0xbe2aaa9d
	v_fmac_f32_e32 v22, 0x37d75334, v18
	v_mov_b32_e32 v23, 0x3d2aabf7
	v_fma_f32 v20, v18, v20, v21
	v_fma_f32 v22, v18, v22, v23
	v_mov_b32_e32 v24, 0xbf000004
	v_and_b32_e32 v15, 1, v15
	v_mul_f32_e32 v20, v18, v20
	v_fma_f32 v22, v18, v22, v24
	v_fmac_f32_e32 v14, v14, v20
	v_fma_f32 v18, v18, v22, 1.0
	v_cmp_eq_u32_e32 vcc, 0, v15
	s_movk_i32 s0, 0x1f8
	v_cndmask_b32_e32 v14, v18, v14, vcc
	v_xor_b32_e32 v12, v12, v14
	v_mov_b32_e32 v14, 0x7fc00000
	v_cmp_class_f32_e64 vcc, v3, s0
	v_cndmask_b32_e32 v3, v14, v12, vcc
	v_lshlrev_b32_e32 v12, 30, v11
	v_xor_b32_e32 v6, v6, v2
	v_and_b32_e32 v12, 0x80000000, v12
	v_xor_b32_e32 v6, v6, v12
	v_mul_f32_e32 v12, v10, v10
	v_mov_b32_e32 v15, 0x3c0881c4
	v_fmac_f32_e32 v15, 0xb94c1982, v12
	v_fma_f32 v15, v12, v15, v21
	v_mul_f32_e32 v15, v12, v15
	v_fmac_f32_e32 v10, v10, v15
	v_mov_b32_e32 v15, 0xbab64f3b
	v_fmac_f32_e32 v15, 0x37d75334, v12
	v_fma_f32 v15, v12, v15, v23
	v_and_b32_e32 v11, 1, v11
	v_fma_f32 v15, v12, v15, v24
	v_fma_f32 v12, v12, v15, 1.0
	v_cmp_eq_u32_e32 vcc, 0, v11
	v_cndmask_b32_e32 v10, v12, v10, vcc
	v_xor_b32_e32 v6, v6, v10
	v_cmp_class_f32_e64 vcc, v2, s0
	v_cndmask_b32_e32 v2, v14, v6, vcc
	v_xor_b32_e32 v6, v8, v1
	v_lshlrev_b32_e32 v8, 30, v9
	v_and_b32_e32 v8, 0x80000000, v8
	v_xor_b32_e32 v6, v6, v8
	v_and_b32_e32 v8, 1, v9
	v_mul_f32_e32 v9, v5, v5
	v_mov_b32_e32 v10, 0x3c0881c4
	v_fmac_f32_e32 v10, 0xb94c1982, v9
	v_fma_f32 v10, v9, v10, v21
	v_mul_f32_e32 v10, v9, v10
	v_fmac_f32_e32 v5, v5, v10
	v_mov_b32_e32 v10, 0xbab64f3b
	v_fmac_f32_e32 v10, 0x37d75334, v9
	v_fma_f32 v10, v9, v10, v23
	v_fma_f32 v10, v9, v10, v24
	v_fma_f32 v9, v9, v10, 1.0
	v_cmp_eq_u32_e32 vcc, 0, v8
	v_cndmask_b32_e32 v5, v9, v5, vcc
	v_xor_b32_e32 v5, v6, v5
	v_cmp_class_f32_e64 vcc, v1, s0
	v_mov_b32_e32 v19, 0x3c0881c4
	v_cndmask_b32_e32 v1, v14, v5, vcc
	v_mul_f32_e32 v5, v17, v17
	v_fmac_f32_e32 v19, 0xb94c1982, v5
	v_mov_b32_e32 v20, 0xbab64f3b
	v_fmac_f32_e32 v21, v5, v19
	v_mul_f32_e32 v6, v5, v21
	v_fmac_f32_e32 v20, 0x37d75334, v5
	v_fmac_f32_e32 v17, v17, v6
	;; [unrolled: 1-line block ×3, first 2 shown]
	v_and_b32_e32 v6, 1, v16
	v_fmac_f32_e32 v24, v5, v23
	v_cmp_eq_u32_e32 vcc, 0, v6
	v_lshlrev_b32_e32 v6, 30, v16
	v_fma_f32 v5, v5, v24, 1.0
	v_and_b32_e32 v6, 0x80000000, v6
	v_xor_b32_e32 v8, v13, v4
	v_cndmask_b32_e32 v5, v5, v17, vcc
	v_xor_b32_e32 v6, v8, v6
	v_xor_b32_e32 v5, v6, v5
	v_cmp_class_f32_e64 vcc, v4, s0
	s_add_u32 s0, s8, s6
	v_cndmask_b32_e32 v4, v14, v5, vcc
	s_addc_u32 s1, s9, s7
	global_store_dwordx4 v7, v[1:4], s[0:1]
	s_mov_b64 s[0:1], 0
.LBB10_18:
	s_and_b64 vcc, exec, s[0:1]
	s_cbranch_vccz .LBB10_51
; %bb.19:
	v_cmp_gt_i32_e32 vcc, s16, v0
	v_mov_b32_e32 v8, 0
	v_or_b32_e32 v1, s12, v0
	v_mov_b32_e32 v5, 0
	v_mov_b32_e32 v3, v0
	s_and_saveexec_b64 s[2:3], vcc
	s_cbranch_execz .LBB10_21
; %bb.20:
	v_mov_b32_e32 v2, 0
	v_lshlrev_b64 v[2:3], 2, v[1:2]
	v_mov_b32_e32 v4, s11
	v_add_co_u32_e64 v2, s[0:1], s10, v2
	v_addc_co_u32_e64 v3, s[0:1], v4, v3, s[0:1]
	global_load_dword v5, v[2:3], off
	v_or_b32_e32 v3, 0x100, v0
.LBB10_21:
	s_or_b64 exec, exec, s[2:3]
	v_cmp_gt_i32_e64 s[0:1], s16, v3
	s_and_saveexec_b64 s[2:3], s[0:1]
	s_cbranch_execz .LBB10_23
; %bb.22:
	v_add_u32_e32 v6, s12, v3
	v_mov_b32_e32 v7, 0
	v_lshlrev_b64 v[6:7], 2, v[6:7]
	v_mov_b32_e32 v2, s11
	v_add_co_u32_e64 v6, s[0:1], s10, v6
	v_addc_co_u32_e64 v7, s[0:1], v2, v7, s[0:1]
	global_load_dword v8, v[6:7], off
	v_add_u32_e32 v3, 0x100, v3
.LBB10_23:
	s_or_b64 exec, exec, s[2:3]
	v_cmp_gt_i32_e64 s[0:1], s16, v3
	v_mov_b32_e32 v2, 0
	v_mov_b32_e32 v4, 0
	s_and_saveexec_b64 s[2:3], s[0:1]
	s_cbranch_execz .LBB10_25
; %bb.24:
	v_add_u32_e32 v6, s12, v3
	v_mov_b32_e32 v7, 0
	v_lshlrev_b64 v[6:7], 2, v[6:7]
	v_mov_b32_e32 v4, s11
	v_add_co_u32_e64 v6, s[0:1], s10, v6
	v_addc_co_u32_e64 v7, s[0:1], v4, v7, s[0:1]
	global_load_dword v4, v[6:7], off
	v_add_u32_e32 v3, 0x100, v3
.LBB10_25:
	s_or_b64 exec, exec, s[2:3]
	v_cmp_gt_i32_e64 s[0:1], s16, v3
	s_and_saveexec_b64 s[2:3], s[0:1]
	s_cbranch_execz .LBB10_27
; %bb.26:
	v_add_u32_e32 v2, s12, v3
	v_mov_b32_e32 v3, 0
	v_lshlrev_b64 v[2:3], 2, v[2:3]
	v_mov_b32_e32 v6, s11
	v_add_co_u32_e64 v2, s[0:1], s10, v2
	v_addc_co_u32_e64 v3, s[0:1], v6, v3, s[0:1]
	global_load_dword v2, v[2:3], off
.LBB10_27:
	s_or_b64 exec, exec, s[2:3]
	v_mov_b32_e32 v3, 0
	v_mov_b32_e32 v9, v3
	;; [unrolled: 1-line block ×4, first 2 shown]
	s_and_saveexec_b64 s[10:11], vcc
	s_cbranch_execz .LBB10_33
; %bb.28:
	s_brev_b32 s0, 18
	s_waitcnt vmcnt(0)
	v_and_b32_e32 v3, 0x7fffffff, v5
	v_cmp_nlt_f32_e64 s[0:1], |v5|, s0
                                        ; implicit-def: $vgpr6
                                        ; implicit-def: $vgpr7
	s_and_saveexec_b64 s[2:3], s[0:1]
	s_xor_b64 s[14:15], exec, s[2:3]
	s_cbranch_execz .LBB10_30
; %bb.29:
	v_and_b32_e32 v6, 0x7fffff, v3
	v_or_b32_e32 v17, 0x800000, v6
	s_mov_b32 s0, 0xfe5163ab
	v_mad_u64_u32 v[6:7], s[0:1], v17, s0, 0
	v_mov_b32_e32 v10, 0
	s_mov_b32 s0, 0x3c439041
	v_mov_b32_e32 v9, v7
	v_mad_u64_u32 v[11:12], s[0:1], v17, s0, v[9:10]
	s_mov_b32 s0, 0xdb629599
	v_lshrrev_b32_e32 v7, 23, v3
	v_mov_b32_e32 v9, v12
	v_mad_u64_u32 v[12:13], s[0:1], v17, s0, v[9:10]
	s_mov_b32 s0, 0xf534ddc0
	v_add_u32_e32 v7, 0xffffff88, v7
	v_mov_b32_e32 v9, v13
	v_mad_u64_u32 v[13:14], s[0:1], v17, s0, v[9:10]
	s_mov_b32 s0, 0xfc2757d1
	v_not_b32_e32 v16, 63
	v_mov_b32_e32 v9, v14
	v_mad_u64_u32 v[14:15], s[0:1], v17, s0, v[9:10]
	v_cmp_lt_u32_e64 s[0:1], 63, v7
	v_cndmask_b32_e64 v9, 0, v16, s[0:1]
	v_add_u32_e32 v7, v9, v7
	v_mov_b32_e32 v9, v15
	s_mov_b32 s2, 0x4e441529
	v_mad_u64_u32 v[15:16], s[2:3], v17, s2, v[9:10]
	v_not_b32_e32 v18, 31
	v_cmp_lt_u32_e64 s[2:3], 31, v7
	v_cndmask_b32_e64 v9, 0, v18, s[2:3]
	v_add_u32_e32 v7, v9, v7
	v_mov_b32_e32 v9, v16
	s_mov_b32 s4, 0xa2f9836e
	v_mad_u64_u32 v[9:10], s[4:5], v17, s4, v[9:10]
	v_cmp_lt_u32_e64 s[4:5], 31, v7
	v_cndmask_b32_e64 v16, 0, v18, s[4:5]
	v_add_u32_e32 v7, v16, v7
	v_cndmask_b32_e64 v16, v15, v13, s[0:1]
	v_cndmask_b32_e64 v9, v9, v14, s[0:1]
	;; [unrolled: 1-line block ×7, first 2 shown]
	v_sub_u32_e32 v16, 32, v7
	v_cmp_eq_u32_e64 s[6:7], 0, v7
	v_cndmask_b32_e64 v7, v13, v11, s[0:1]
	v_cndmask_b32_e64 v9, v9, v17, s[4:5]
	;; [unrolled: 1-line block ×4, first 2 shown]
	v_alignbit_b32 v17, v9, v15, v16
	v_cndmask_b32_e64 v11, v14, v10, s[4:5]
	v_cndmask_b32_e64 v9, v17, v9, s[6:7]
	v_alignbit_b32 v13, v15, v11, v16
	v_cndmask_b32_e64 v6, v12, v6, s[0:1]
	v_cndmask_b32_e64 v13, v13, v15, s[6:7]
	v_bfe_u32 v17, v9, 29, 1
	v_cndmask_b32_e64 v6, v7, v6, s[2:3]
	v_alignbit_b32 v14, v9, v13, 30
	v_sub_u32_e32 v18, 0, v17
	v_cndmask_b32_e64 v6, v10, v6, s[4:5]
	v_xor_b32_e32 v14, v14, v18
	v_alignbit_b32 v7, v11, v6, v16
	v_cndmask_b32_e64 v7, v7, v11, s[6:7]
	v_ffbh_u32_e32 v11, v14
	v_alignbit_b32 v10, v13, v7, 30
	v_min_u32_e32 v11, 32, v11
	v_alignbit_b32 v6, v7, v6, 30
	v_xor_b32_e32 v10, v10, v18
	v_sub_u32_e32 v12, 31, v11
	v_xor_b32_e32 v6, v6, v18
	v_alignbit_b32 v13, v14, v10, v12
	v_alignbit_b32 v6, v10, v6, v12
	;; [unrolled: 1-line block ×3, first 2 shown]
	v_ffbh_u32_e32 v10, v7
	v_min_u32_e32 v10, 32, v10
	v_lshrrev_b32_e32 v15, 29, v9
	v_not_b32_e32 v12, v10
	v_alignbit_b32 v6, v7, v6, v12
	v_lshlrev_b32_e32 v7, 31, v15
	v_or_b32_e32 v12, 0x33000000, v7
	v_add_lshl_u32 v10, v10, v11, 23
	v_lshrrev_b32_e32 v6, 9, v6
	v_sub_u32_e32 v10, v12, v10
	v_or_b32_e32 v7, 0.5, v7
	v_lshlrev_b32_e32 v11, 23, v11
	v_or_b32_e32 v6, v10, v6
	v_lshrrev_b32_e32 v10, 9, v13
	v_sub_u32_e32 v7, v7, v11
	v_or_b32_e32 v7, v10, v7
	s_mov_b32 s0, 0x3fc90fda
	v_mul_f32_e32 v10, 0x3fc90fda, v7
	v_fma_f32 v11, v7, s0, -v10
	v_fmac_f32_e32 v11, 0x33a22168, v7
	v_fmac_f32_e32 v11, 0x3fc90fda, v6
	v_lshrrev_b32_e32 v6, 30, v9
	v_add_f32_e32 v7, v10, v11
	v_add_u32_e32 v6, v17, v6
.LBB10_30:
	s_andn2_saveexec_b64 s[0:1], s[14:15]
	s_cbranch_execz .LBB10_32
; %bb.31:
	s_mov_b32 s2, 0x3f22f983
	v_mul_f32_e64 v6, |v5|, s2
	v_rndne_f32_e32 v9, v6
	s_mov_b32 s2, 0xbfc90fda
	v_cvt_i32_f32_e32 v6, v9
	v_fma_f32 v7, v9, s2, |v5|
	v_fmac_f32_e32 v7, 0xb3a22168, v9
	v_fmac_f32_e32 v7, 0xa7c234c4, v9
.LBB10_32:
	s_or_b64 exec, exec, s[0:1]
	v_mul_f32_e32 v9, v7, v7
	v_mov_b32_e32 v10, 0x3c0881c4
	v_fmac_f32_e32 v10, 0xb94c1982, v9
	v_mov_b32_e32 v11, 0xbe2aaa9d
	v_fmac_f32_e32 v11, v9, v10
	v_mul_f32_e32 v10, v9, v11
	v_fmac_f32_e32 v7, v7, v10
	v_mov_b32_e32 v10, 0xbab64f3b
	v_fmac_f32_e32 v10, 0x37d75334, v9
	v_mov_b32_e32 v11, 0x3d2aabf7
	v_fmac_f32_e32 v11, v9, v10
	v_mov_b32_e32 v10, 0xbf000004
	v_fmac_f32_e32 v10, v9, v11
	v_fma_f32 v9, v9, v10, 1.0
	v_and_b32_e32 v10, 1, v6
	v_lshlrev_b32_e32 v6, 30, v6
	v_cmp_eq_u32_e64 s[0:1], 0, v10
	v_and_b32_e32 v6, 0x80000000, v6
	v_xor_b32_e32 v3, v3, v5
	v_cndmask_b32_e64 v7, v9, v7, s[0:1]
	v_xor_b32_e32 v3, v3, v6
	s_movk_i32 s0, 0x1f8
	v_xor_b32_e32 v3, v3, v7
	v_mov_b32_e32 v6, 0x7fc00000
	v_cmp_class_f32_e64 s[0:1], v5, s0
	v_mov_b32_e32 v9, 0
	v_cndmask_b32_e64 v3, v6, v3, s[0:1]
	v_mov_b32_e32 v7, v9
	v_mov_b32_e32 v6, v9
.LBB10_33:
	s_or_b64 exec, exec, s[10:11]
	s_waitcnt vmcnt(0)
	v_or_b32_e32 v5, 0x100, v0
	v_cmp_gt_i32_e64 s[0:1], s16, v5
	s_and_saveexec_b64 s[10:11], s[0:1]
	s_cbranch_execz .LBB10_39
; %bb.34:
	s_brev_b32 s0, 18
	v_and_b32_e32 v9, 0x7fffffff, v8
	v_cmp_nlt_f32_e64 s[0:1], |v8|, s0
                                        ; implicit-def: $vgpr10
                                        ; implicit-def: $vgpr11
	s_and_saveexec_b64 s[2:3], s[0:1]
	s_xor_b64 s[14:15], exec, s[2:3]
	s_cbranch_execz .LBB10_36
; %bb.35:
	v_and_b32_e32 v10, 0x7fffff, v9
	v_or_b32_e32 v19, 0x800000, v10
	s_mov_b32 s0, 0xfe5163ab
	v_mad_u64_u32 v[10:11], s[0:1], v19, s0, 0
	v_mov_b32_e32 v12, 0
	s_mov_b32 s0, 0x3c439041
	v_mad_u64_u32 v[13:14], s[0:1], v19, s0, v[11:12]
	s_mov_b32 s0, 0xdb629599
	v_not_b32_e32 v18, 63
	v_mov_b32_e32 v11, v14
	v_mad_u64_u32 v[14:15], s[0:1], v19, s0, v[11:12]
	s_mov_b32 s0, 0xf534ddc0
	s_mov_b32 s2, 0x4e441529
	v_mov_b32_e32 v11, v15
	v_mad_u64_u32 v[15:16], s[0:1], v19, s0, v[11:12]
	v_lshrrev_b32_e32 v11, 23, v9
	v_add_u32_e32 v20, 0xffffff88, v11
	v_mov_b32_e32 v11, v16
	s_mov_b32 s0, 0xfc2757d1
	v_mad_u64_u32 v[16:17], s[0:1], v19, s0, v[11:12]
	v_cmp_lt_u32_e64 s[0:1], 63, v20
	v_cndmask_b32_e64 v11, 0, v18, s[0:1]
	v_add_u32_e32 v20, v11, v20
	v_mov_b32_e32 v11, v17
	v_mad_u64_u32 v[17:18], s[2:3], v19, s2, v[11:12]
	v_not_b32_e32 v21, 31
	v_cmp_lt_u32_e64 s[2:3], 31, v20
	v_cndmask_b32_e64 v11, 0, v21, s[2:3]
	v_add_u32_e32 v20, v11, v20
	v_mov_b32_e32 v11, v18
	s_mov_b32 s4, 0xa2f9836e
	v_mad_u64_u32 v[11:12], s[4:5], v19, s4, v[11:12]
	v_cmp_lt_u32_e64 s[4:5], 31, v20
	v_cndmask_b32_e64 v18, 0, v21, s[4:5]
	v_cndmask_b32_e64 v19, v17, v15, s[0:1]
	;; [unrolled: 1-line block ×4, first 2 shown]
	v_add_u32_e32 v18, v18, v20
	v_cndmask_b32_e64 v20, v11, v19, s[2:3]
	v_cndmask_b32_e64 v11, v12, v11, s[2:3]
	;; [unrolled: 1-line block ×6, first 2 shown]
	v_sub_u32_e32 v19, 32, v18
	v_alignbit_b32 v20, v11, v17, v19
	v_cmp_eq_u32_e64 s[6:7], 0, v18
	v_cndmask_b32_e64 v18, v20, v11, s[6:7]
	v_cndmask_b32_e64 v11, v15, v13, s[0:1]
	;; [unrolled: 1-line block ×4, first 2 shown]
	v_alignbit_b32 v15, v17, v13, v19
	v_cndmask_b32_e64 v10, v14, v10, s[0:1]
	v_cndmask_b32_e64 v15, v15, v17, s[6:7]
	v_bfe_u32 v20, v18, 29, 1
	v_cndmask_b32_e64 v10, v11, v10, s[2:3]
	v_alignbit_b32 v16, v18, v15, 30
	v_sub_u32_e32 v21, 0, v20
	v_cndmask_b32_e64 v10, v12, v10, s[4:5]
	v_xor_b32_e32 v16, v16, v21
	v_alignbit_b32 v11, v13, v10, v19
	v_cndmask_b32_e64 v11, v11, v13, s[6:7]
	v_ffbh_u32_e32 v13, v16
	v_alignbit_b32 v12, v15, v11, 30
	v_min_u32_e32 v13, 32, v13
	v_alignbit_b32 v10, v11, v10, 30
	v_xor_b32_e32 v12, v12, v21
	v_sub_u32_e32 v14, 31, v13
	v_xor_b32_e32 v10, v10, v21
	v_alignbit_b32 v15, v16, v12, v14
	v_alignbit_b32 v10, v12, v10, v14
	;; [unrolled: 1-line block ×3, first 2 shown]
	v_ffbh_u32_e32 v12, v11
	v_min_u32_e32 v12, 32, v12
	v_lshrrev_b32_e32 v17, 29, v18
	v_not_b32_e32 v14, v12
	v_alignbit_b32 v10, v11, v10, v14
	v_lshlrev_b32_e32 v11, 31, v17
	v_or_b32_e32 v14, 0x33000000, v11
	v_add_lshl_u32 v12, v12, v13, 23
	v_lshrrev_b32_e32 v10, 9, v10
	v_sub_u32_e32 v12, v14, v12
	v_or_b32_e32 v11, 0.5, v11
	v_lshlrev_b32_e32 v13, 23, v13
	v_or_b32_e32 v10, v12, v10
	v_lshrrev_b32_e32 v12, 9, v15
	v_sub_u32_e32 v11, v11, v13
	v_or_b32_e32 v11, v12, v11
	s_mov_b32 s0, 0x3fc90fda
	v_mul_f32_e32 v12, 0x3fc90fda, v11
	v_fma_f32 v13, v11, s0, -v12
	v_fmac_f32_e32 v13, 0x33a22168, v11
	v_fmac_f32_e32 v13, 0x3fc90fda, v10
	v_lshrrev_b32_e32 v10, 30, v18
	v_add_f32_e32 v11, v12, v13
	v_add_u32_e32 v10, v20, v10
.LBB10_36:
	s_andn2_saveexec_b64 s[0:1], s[14:15]
	s_cbranch_execz .LBB10_38
; %bb.37:
	s_mov_b32 s2, 0x3f22f983
	v_mul_f32_e64 v10, |v8|, s2
	v_rndne_f32_e32 v12, v10
	s_mov_b32 s2, 0xbfc90fda
	v_cvt_i32_f32_e32 v10, v12
	v_fma_f32 v11, v12, s2, |v8|
	v_fmac_f32_e32 v11, 0xb3a22168, v12
	v_fmac_f32_e32 v11, 0xa7c234c4, v12
.LBB10_38:
	s_or_b64 exec, exec, s[0:1]
	v_mul_f32_e32 v12, v11, v11
	v_mov_b32_e32 v13, 0x3c0881c4
	v_fmac_f32_e32 v13, 0xb94c1982, v12
	v_mov_b32_e32 v14, 0xbe2aaa9d
	v_fmac_f32_e32 v14, v12, v13
	v_mul_f32_e32 v13, v12, v14
	v_fmac_f32_e32 v11, v11, v13
	v_mov_b32_e32 v13, 0xbab64f3b
	v_fmac_f32_e32 v13, 0x37d75334, v12
	v_mov_b32_e32 v14, 0x3d2aabf7
	;; [unrolled: 2-line block ×3, first 2 shown]
	v_fmac_f32_e32 v13, v12, v14
	v_fma_f32 v12, v12, v13, 1.0
	v_and_b32_e32 v13, 1, v10
	v_lshlrev_b32_e32 v10, 30, v10
	v_cmp_eq_u32_e64 s[0:1], 0, v13
	v_and_b32_e32 v10, 0x80000000, v10
	v_xor_b32_e32 v9, v9, v8
	v_cndmask_b32_e64 v11, v12, v11, s[0:1]
	v_xor_b32_e32 v9, v9, v10
	s_movk_i32 s0, 0x1f8
	v_xor_b32_e32 v9, v9, v11
	v_mov_b32_e32 v10, 0x7fc00000
	v_cmp_class_f32_e64 s[0:1], v8, s0
	v_cndmask_b32_e64 v9, v10, v9, s[0:1]
.LBB10_39:
	s_or_b64 exec, exec, s[10:11]
	v_or_b32_e32 v8, 0x200, v0
	v_cmp_gt_i32_e64 s[0:1], s16, v8
	s_and_saveexec_b64 s[10:11], s[0:1]
	s_cbranch_execz .LBB10_45
; %bb.40:
	s_brev_b32 s0, 18
	v_and_b32_e32 v7, 0x7fffffff, v4
	v_cmp_nlt_f32_e64 s[0:1], |v4|, s0
                                        ; implicit-def: $vgpr8
                                        ; implicit-def: $vgpr10
	s_and_saveexec_b64 s[2:3], s[0:1]
	s_xor_b64 s[14:15], exec, s[2:3]
	s_cbranch_execz .LBB10_42
; %bb.41:
	v_and_b32_e32 v8, 0x7fffff, v7
	v_or_b32_e32 v8, 0x800000, v8
	s_mov_b32 s0, 0xfe5163ab
	v_mad_u64_u32 v[10:11], s[0:1], v8, s0, 0
	v_mov_b32_e32 v12, 0
	s_mov_b32 s0, 0x3c439041
	v_mad_u64_u32 v[13:14], s[0:1], v8, s0, v[11:12]
	s_mov_b32 s0, 0xdb629599
	v_not_b32_e32 v18, 63
	v_mov_b32_e32 v11, v14
	v_mad_u64_u32 v[14:15], s[0:1], v8, s0, v[11:12]
	s_mov_b32 s0, 0xf534ddc0
	s_mov_b32 s2, 0x4e441529
	v_mov_b32_e32 v11, v15
	v_mad_u64_u32 v[15:16], s[0:1], v8, s0, v[11:12]
	v_lshrrev_b32_e32 v11, 23, v7
	v_add_u32_e32 v19, 0xffffff88, v11
	v_mov_b32_e32 v11, v16
	s_mov_b32 s0, 0xfc2757d1
	v_mad_u64_u32 v[16:17], s[0:1], v8, s0, v[11:12]
	v_cmp_lt_u32_e64 s[0:1], 63, v19
	v_cndmask_b32_e64 v11, 0, v18, s[0:1]
	v_add_u32_e32 v19, v11, v19
	v_mov_b32_e32 v11, v17
	v_mad_u64_u32 v[17:18], s[2:3], v8, s2, v[11:12]
	v_not_b32_e32 v20, 31
	v_cmp_lt_u32_e64 s[2:3], 31, v19
	v_cndmask_b32_e64 v11, 0, v20, s[2:3]
	v_add_u32_e32 v19, v11, v19
	v_mov_b32_e32 v11, v18
	s_mov_b32 s4, 0xa2f9836e
	v_mad_u64_u32 v[11:12], s[4:5], v8, s4, v[11:12]
	v_cmp_lt_u32_e64 s[4:5], 31, v19
	v_cndmask_b32_e64 v8, 0, v20, s[4:5]
	v_cndmask_b32_e64 v18, v17, v15, s[0:1]
	;; [unrolled: 1-line block ×4, first 2 shown]
	v_add_u32_e32 v8, v8, v19
	v_cndmask_b32_e64 v19, v11, v18, s[2:3]
	v_cndmask_b32_e64 v11, v12, v11, s[2:3]
	;; [unrolled: 1-line block ×6, first 2 shown]
	v_sub_u32_e32 v18, 32, v8
	v_alignbit_b32 v19, v11, v17, v18
	v_cmp_eq_u32_e64 s[6:7], 0, v8
	v_cndmask_b32_e64 v8, v19, v11, s[6:7]
	v_cndmask_b32_e64 v11, v15, v13, s[0:1]
	;; [unrolled: 1-line block ×4, first 2 shown]
	v_alignbit_b32 v15, v17, v13, v18
	v_cndmask_b32_e64 v10, v14, v10, s[0:1]
	v_cndmask_b32_e64 v15, v15, v17, s[6:7]
	v_bfe_u32 v19, v8, 29, 1
	v_cndmask_b32_e64 v10, v11, v10, s[2:3]
	v_alignbit_b32 v16, v8, v15, 30
	v_sub_u32_e32 v20, 0, v19
	v_cndmask_b32_e64 v10, v12, v10, s[4:5]
	v_xor_b32_e32 v16, v16, v20
	v_alignbit_b32 v11, v13, v10, v18
	v_cndmask_b32_e64 v11, v11, v13, s[6:7]
	v_ffbh_u32_e32 v13, v16
	v_alignbit_b32 v12, v15, v11, 30
	v_min_u32_e32 v13, 32, v13
	v_alignbit_b32 v10, v11, v10, 30
	v_xor_b32_e32 v12, v12, v20
	v_sub_u32_e32 v14, 31, v13
	v_xor_b32_e32 v10, v10, v20
	v_alignbit_b32 v15, v16, v12, v14
	v_alignbit_b32 v10, v12, v10, v14
	;; [unrolled: 1-line block ×3, first 2 shown]
	v_ffbh_u32_e32 v12, v11
	v_min_u32_e32 v12, 32, v12
	v_lshrrev_b32_e32 v17, 29, v8
	v_not_b32_e32 v14, v12
	v_alignbit_b32 v10, v11, v10, v14
	v_lshlrev_b32_e32 v11, 31, v17
	v_or_b32_e32 v14, 0x33000000, v11
	v_add_lshl_u32 v12, v12, v13, 23
	v_lshrrev_b32_e32 v10, 9, v10
	v_sub_u32_e32 v12, v14, v12
	v_or_b32_e32 v11, 0.5, v11
	v_lshlrev_b32_e32 v13, 23, v13
	v_or_b32_e32 v10, v12, v10
	v_lshrrev_b32_e32 v12, 9, v15
	v_sub_u32_e32 v11, v11, v13
	v_or_b32_e32 v11, v12, v11
	s_mov_b32 s0, 0x3fc90fda
	v_mul_f32_e32 v12, 0x3fc90fda, v11
	v_fma_f32 v13, v11, s0, -v12
	v_fmac_f32_e32 v13, 0x33a22168, v11
	v_fmac_f32_e32 v13, 0x3fc90fda, v10
	v_lshrrev_b32_e32 v8, 30, v8
	v_add_f32_e32 v10, v12, v13
	v_add_u32_e32 v8, v19, v8
.LBB10_42:
	s_andn2_saveexec_b64 s[0:1], s[14:15]
	s_cbranch_execz .LBB10_44
; %bb.43:
	s_mov_b32 s2, 0x3f22f983
	v_mul_f32_e64 v8, |v4|, s2
	v_rndne_f32_e32 v11, v8
	s_mov_b32 s2, 0xbfc90fda
	v_cvt_i32_f32_e32 v8, v11
	v_fma_f32 v10, v11, s2, |v4|
	v_fmac_f32_e32 v10, 0xb3a22168, v11
	v_fmac_f32_e32 v10, 0xa7c234c4, v11
.LBB10_44:
	s_or_b64 exec, exec, s[0:1]
	v_mul_f32_e32 v11, v10, v10
	v_mov_b32_e32 v12, 0x3c0881c4
	v_fmac_f32_e32 v12, 0xb94c1982, v11
	v_mov_b32_e32 v13, 0xbe2aaa9d
	v_fmac_f32_e32 v13, v11, v12
	v_mul_f32_e32 v12, v11, v13
	v_fmac_f32_e32 v10, v10, v12
	v_mov_b32_e32 v12, 0xbab64f3b
	v_fmac_f32_e32 v12, 0x37d75334, v11
	v_mov_b32_e32 v13, 0x3d2aabf7
	;; [unrolled: 2-line block ×3, first 2 shown]
	v_fmac_f32_e32 v12, v11, v13
	v_fma_f32 v11, v11, v12, 1.0
	v_and_b32_e32 v12, 1, v8
	v_lshlrev_b32_e32 v8, 30, v8
	v_cmp_eq_u32_e64 s[0:1], 0, v12
	v_and_b32_e32 v8, 0x80000000, v8
	v_xor_b32_e32 v7, v7, v4
	v_cndmask_b32_e64 v10, v11, v10, s[0:1]
	v_xor_b32_e32 v7, v7, v8
	s_movk_i32 s0, 0x1f8
	v_xor_b32_e32 v7, v7, v10
	v_mov_b32_e32 v8, 0x7fc00000
	v_cmp_class_f32_e64 s[0:1], v4, s0
	v_cndmask_b32_e64 v7, v8, v7, s[0:1]
.LBB10_45:
	s_or_b64 exec, exec, s[10:11]
	v_or_b32_e32 v4, 0x300, v0
	v_cmp_gt_i32_e64 s[0:1], s16, v4
	s_and_saveexec_b64 s[10:11], s[0:1]
	s_cbranch_execnz .LBB10_52
; %bb.46:
	s_or_b64 exec, exec, s[10:11]
	s_and_saveexec_b64 s[0:1], vcc
	s_xor_b64 s[0:1], exec, s[0:1]
	s_cbranch_execnz .LBB10_57
.LBB10_47:
	s_or_b64 exec, exec, s[0:1]
	v_cmp_gt_i32_e32 vcc, s16, v0
	s_and_saveexec_b64 s[0:1], vcc
	s_cbranch_execnz .LBB10_58
.LBB10_48:
	s_or_b64 exec, exec, s[0:1]
	v_cmp_gt_i32_e32 vcc, s16, v0
	s_and_saveexec_b64 s[0:1], vcc
	s_cbranch_execnz .LBB10_59
.LBB10_49:
	s_or_b64 exec, exec, s[0:1]
	v_cmp_gt_i32_e32 vcc, s16, v0
	s_and_saveexec_b64 s[0:1], vcc
	s_cbranch_execz .LBB10_51
.LBB10_50:
	v_add_u32_e32 v0, s12, v0
	v_mov_b32_e32 v1, 0
	v_lshlrev_b64 v[0:1], 2, v[0:1]
	v_mov_b32_e32 v2, s9
	v_add_co_u32_e32 v0, vcc, s8, v0
	v_addc_co_u32_e32 v1, vcc, v2, v1, vcc
	global_store_dword v[0:1], v6, off
.LBB10_51:
	s_endpgm
.LBB10_52:
	s_brev_b32 s0, 18
	v_and_b32_e32 v4, 0x7fffffff, v2
	v_cmp_nlt_f32_e64 s[0:1], |v2|, s0
                                        ; implicit-def: $vgpr6
                                        ; implicit-def: $vgpr8
	s_and_saveexec_b64 s[2:3], s[0:1]
	s_xor_b64 s[14:15], exec, s[2:3]
	s_cbranch_execz .LBB10_54
; %bb.53:
	v_and_b32_e32 v6, 0x7fffff, v4
	v_or_b32_e32 v6, 0x800000, v6
	s_mov_b32 s0, 0xfe5163ab
	v_mad_u64_u32 v[10:11], s[0:1], v6, s0, 0
	v_mov_b32_e32 v12, 0
	s_mov_b32 s0, 0x3c439041
	v_mad_u64_u32 v[13:14], s[0:1], v6, s0, v[11:12]
	s_mov_b32 s0, 0xdb629599
	v_lshrrev_b32_e32 v8, 23, v4
	v_mov_b32_e32 v11, v14
	v_mad_u64_u32 v[14:15], s[0:1], v6, s0, v[11:12]
	s_mov_b32 s0, 0xf534ddc0
	v_add_u32_e32 v8, 0xffffff88, v8
	v_mov_b32_e32 v11, v15
	v_mad_u64_u32 v[15:16], s[0:1], v6, s0, v[11:12]
	s_mov_b32 s0, 0xfc2757d1
	v_not_b32_e32 v18, 63
	v_mov_b32_e32 v11, v16
	v_mad_u64_u32 v[16:17], s[0:1], v6, s0, v[11:12]
	v_cmp_lt_u32_e64 s[0:1], 63, v8
	v_cndmask_b32_e64 v11, 0, v18, s[0:1]
	v_add_u32_e32 v8, v11, v8
	v_mov_b32_e32 v11, v17
	s_mov_b32 s2, 0x4e441529
	v_mad_u64_u32 v[17:18], s[2:3], v6, s2, v[11:12]
	v_not_b32_e32 v19, 31
	v_cmp_lt_u32_e64 s[2:3], 31, v8
	v_cndmask_b32_e64 v11, 0, v19, s[2:3]
	v_add_u32_e32 v8, v11, v8
	v_mov_b32_e32 v11, v18
	s_mov_b32 s4, 0xa2f9836e
	v_mad_u64_u32 v[11:12], s[4:5], v6, s4, v[11:12]
	v_cmp_lt_u32_e64 s[4:5], 31, v8
	v_cndmask_b32_e64 v6, 0, v19, s[4:5]
	v_add_u32_e32 v6, v6, v8
	v_cndmask_b32_e64 v8, v17, v15, s[0:1]
	v_cndmask_b32_e64 v11, v11, v16, s[0:1]
	v_cndmask_b32_e64 v12, v12, v17, s[0:1]
	v_cndmask_b32_e64 v18, v11, v8, s[2:3]
	v_cndmask_b32_e64 v11, v12, v11, s[2:3]
	v_cndmask_b32_e64 v12, v16, v14, s[0:1]
	v_cndmask_b32_e64 v8, v8, v12, s[2:3]
	v_cndmask_b32_e64 v11, v11, v18, s[4:5]
	v_cndmask_b32_e64 v16, v18, v8, s[4:5]
	v_sub_u32_e32 v17, 32, v6
	v_alignbit_b32 v18, v11, v16, v17
	v_cmp_eq_u32_e64 s[6:7], 0, v6
	v_cndmask_b32_e64 v6, v18, v11, s[6:7]
	v_cndmask_b32_e64 v11, v15, v13, s[0:1]
	;; [unrolled: 1-line block ×4, first 2 shown]
	v_alignbit_b32 v13, v16, v8, v17
	v_cndmask_b32_e64 v10, v14, v10, s[0:1]
	v_cndmask_b32_e64 v13, v13, v16, s[6:7]
	v_bfe_u32 v18, v6, 29, 1
	v_cndmask_b32_e64 v10, v11, v10, s[2:3]
	v_alignbit_b32 v15, v6, v13, 30
	v_sub_u32_e32 v19, 0, v18
	v_cndmask_b32_e64 v10, v12, v10, s[4:5]
	v_xor_b32_e32 v15, v15, v19
	v_alignbit_b32 v11, v8, v10, v17
	v_cndmask_b32_e64 v8, v11, v8, s[6:7]
	v_ffbh_u32_e32 v12, v15
	v_alignbit_b32 v11, v13, v8, 30
	v_min_u32_e32 v12, 32, v12
	v_alignbit_b32 v8, v8, v10, 30
	v_xor_b32_e32 v11, v11, v19
	v_sub_u32_e32 v13, 31, v12
	v_xor_b32_e32 v8, v8, v19
	v_alignbit_b32 v14, v15, v11, v13
	v_alignbit_b32 v8, v11, v8, v13
	;; [unrolled: 1-line block ×3, first 2 shown]
	v_ffbh_u32_e32 v11, v10
	v_min_u32_e32 v11, 32, v11
	v_lshrrev_b32_e32 v16, 29, v6
	v_not_b32_e32 v13, v11
	v_alignbit_b32 v8, v10, v8, v13
	v_lshlrev_b32_e32 v10, 31, v16
	v_or_b32_e32 v13, 0x33000000, v10
	v_add_lshl_u32 v11, v11, v12, 23
	v_lshrrev_b32_e32 v8, 9, v8
	v_sub_u32_e32 v11, v13, v11
	v_or_b32_e32 v10, 0.5, v10
	v_lshlrev_b32_e32 v12, 23, v12
	v_or_b32_e32 v8, v11, v8
	v_lshrrev_b32_e32 v11, 9, v14
	v_sub_u32_e32 v10, v10, v12
	v_or_b32_e32 v10, v11, v10
	s_mov_b32 s0, 0x3fc90fda
	v_mul_f32_e32 v11, 0x3fc90fda, v10
	v_fma_f32 v12, v10, s0, -v11
	v_fmac_f32_e32 v12, 0x33a22168, v10
	v_fmac_f32_e32 v12, 0x3fc90fda, v8
	v_lshrrev_b32_e32 v6, 30, v6
	v_add_f32_e32 v8, v11, v12
	v_add_u32_e32 v6, v18, v6
.LBB10_54:
	s_andn2_saveexec_b64 s[0:1], s[14:15]
	s_cbranch_execz .LBB10_56
; %bb.55:
	s_mov_b32 s2, 0x3f22f983
	v_mul_f32_e64 v6, |v2|, s2
	v_rndne_f32_e32 v10, v6
	s_mov_b32 s2, 0xbfc90fda
	v_cvt_i32_f32_e32 v6, v10
	v_fma_f32 v8, v10, s2, |v2|
	v_fmac_f32_e32 v8, 0xb3a22168, v10
	v_fmac_f32_e32 v8, 0xa7c234c4, v10
.LBB10_56:
	s_or_b64 exec, exec, s[0:1]
	v_mul_f32_e32 v10, v8, v8
	v_mov_b32_e32 v11, 0x3c0881c4
	v_fmac_f32_e32 v11, 0xb94c1982, v10
	v_mov_b32_e32 v12, 0xbe2aaa9d
	v_fmac_f32_e32 v12, v10, v11
	v_mul_f32_e32 v11, v10, v12
	v_fmac_f32_e32 v8, v8, v11
	v_mov_b32_e32 v11, 0xbab64f3b
	v_fmac_f32_e32 v11, 0x37d75334, v10
	v_mov_b32_e32 v12, 0x3d2aabf7
	;; [unrolled: 2-line block ×3, first 2 shown]
	v_fmac_f32_e32 v11, v10, v12
	v_fma_f32 v10, v10, v11, 1.0
	v_and_b32_e32 v11, 1, v6
	v_lshlrev_b32_e32 v6, 30, v6
	v_cmp_eq_u32_e64 s[0:1], 0, v11
	v_and_b32_e32 v6, 0x80000000, v6
	v_xor_b32_e32 v4, v4, v2
	v_cndmask_b32_e64 v8, v10, v8, s[0:1]
	v_xor_b32_e32 v4, v4, v6
	s_movk_i32 s0, 0x1f8
	v_xor_b32_e32 v4, v4, v8
	v_mov_b32_e32 v6, 0x7fc00000
	v_cmp_class_f32_e64 s[0:1], v2, s0
	v_cndmask_b32_e64 v6, v6, v4, s[0:1]
	s_or_b64 exec, exec, s[10:11]
	s_and_saveexec_b64 s[0:1], vcc
	s_xor_b64 s[0:1], exec, s[0:1]
	s_cbranch_execz .LBB10_47
.LBB10_57:
	v_mov_b32_e32 v2, 0
	v_lshlrev_b64 v[0:1], 2, v[1:2]
	v_mov_b32_e32 v2, s9
	v_add_co_u32_e32 v0, vcc, s8, v0
	v_addc_co_u32_e32 v1, vcc, v2, v1, vcc
	global_store_dword v[0:1], v3, off
	v_mov_b32_e32 v0, v5
	s_or_b64 exec, exec, s[0:1]
	v_cmp_gt_i32_e32 vcc, s16, v0
	s_and_saveexec_b64 s[0:1], vcc
	s_cbranch_execz .LBB10_48
.LBB10_58:
	v_add_u32_e32 v1, s12, v0
	v_mov_b32_e32 v2, 0
	v_lshlrev_b64 v[1:2], 2, v[1:2]
	v_mov_b32_e32 v3, s9
	v_add_co_u32_e32 v1, vcc, s8, v1
	v_addc_co_u32_e32 v2, vcc, v3, v2, vcc
	v_add_u32_e32 v0, 0x100, v0
	global_store_dword v[1:2], v9, off
	s_or_b64 exec, exec, s[0:1]
	v_cmp_gt_i32_e32 vcc, s16, v0
	s_and_saveexec_b64 s[0:1], vcc
	s_cbranch_execz .LBB10_49
.LBB10_59:
	v_add_u32_e32 v1, s12, v0
	v_mov_b32_e32 v2, 0
	v_lshlrev_b64 v[1:2], 2, v[1:2]
	v_mov_b32_e32 v3, s9
	v_add_co_u32_e32 v1, vcc, s8, v1
	v_addc_co_u32_e32 v2, vcc, v3, v2, vcc
	v_add_u32_e32 v0, 0x100, v0
	global_store_dword v[1:2], v7, off
	s_or_b64 exec, exec, s[0:1]
	v_cmp_gt_i32_e32 vcc, s16, v0
	s_and_saveexec_b64 s[0:1], vcc
	s_cbranch_execnz .LBB10_50
	s_branch .LBB10_51
	.section	.rodata,"a",@progbits
	.p2align	6, 0x0
	.amdhsa_kernel _ZN2at6native29vectorized_elementwise_kernelILi4EZZZNS0_15sin_kernel_cudaERNS_18TensorIteratorBaseEENKUlvE0_clEvENKUlvE0_clEvEUlfE_St5arrayIPcLm2EEEEviT0_T1_
		.amdhsa_group_segment_fixed_size 0
		.amdhsa_private_segment_fixed_size 0
		.amdhsa_kernarg_size 24
		.amdhsa_user_sgpr_count 6
		.amdhsa_user_sgpr_private_segment_buffer 1
		.amdhsa_user_sgpr_dispatch_ptr 0
		.amdhsa_user_sgpr_queue_ptr 0
		.amdhsa_user_sgpr_kernarg_segment_ptr 1
		.amdhsa_user_sgpr_dispatch_id 0
		.amdhsa_user_sgpr_flat_scratch_init 0
		.amdhsa_user_sgpr_private_segment_size 0
		.amdhsa_uses_dynamic_stack 0
		.amdhsa_system_sgpr_private_segment_wavefront_offset 0
		.amdhsa_system_sgpr_workgroup_id_x 1
		.amdhsa_system_sgpr_workgroup_id_y 0
		.amdhsa_system_sgpr_workgroup_id_z 0
		.amdhsa_system_sgpr_workgroup_info 0
		.amdhsa_system_vgpr_workitem_id 0
		.amdhsa_next_free_vgpr 28
		.amdhsa_next_free_sgpr 17
		.amdhsa_reserve_vcc 1
		.amdhsa_reserve_flat_scratch 0
		.amdhsa_float_round_mode_32 0
		.amdhsa_float_round_mode_16_64 0
		.amdhsa_float_denorm_mode_32 3
		.amdhsa_float_denorm_mode_16_64 3
		.amdhsa_dx10_clamp 1
		.amdhsa_ieee_mode 1
		.amdhsa_fp16_overflow 0
		.amdhsa_exception_fp_ieee_invalid_op 0
		.amdhsa_exception_fp_denorm_src 0
		.amdhsa_exception_fp_ieee_div_zero 0
		.amdhsa_exception_fp_ieee_overflow 0
		.amdhsa_exception_fp_ieee_underflow 0
		.amdhsa_exception_fp_ieee_inexact 0
		.amdhsa_exception_int_div_zero 0
	.end_amdhsa_kernel
	.section	.text._ZN2at6native29vectorized_elementwise_kernelILi4EZZZNS0_15sin_kernel_cudaERNS_18TensorIteratorBaseEENKUlvE0_clEvENKUlvE0_clEvEUlfE_St5arrayIPcLm2EEEEviT0_T1_,"axG",@progbits,_ZN2at6native29vectorized_elementwise_kernelILi4EZZZNS0_15sin_kernel_cudaERNS_18TensorIteratorBaseEENKUlvE0_clEvENKUlvE0_clEvEUlfE_St5arrayIPcLm2EEEEviT0_T1_,comdat
.Lfunc_end10:
	.size	_ZN2at6native29vectorized_elementwise_kernelILi4EZZZNS0_15sin_kernel_cudaERNS_18TensorIteratorBaseEENKUlvE0_clEvENKUlvE0_clEvEUlfE_St5arrayIPcLm2EEEEviT0_T1_, .Lfunc_end10-_ZN2at6native29vectorized_elementwise_kernelILi4EZZZNS0_15sin_kernel_cudaERNS_18TensorIteratorBaseEENKUlvE0_clEvENKUlvE0_clEvEUlfE_St5arrayIPcLm2EEEEviT0_T1_
                                        ; -- End function
	.set _ZN2at6native29vectorized_elementwise_kernelILi4EZZZNS0_15sin_kernel_cudaERNS_18TensorIteratorBaseEENKUlvE0_clEvENKUlvE0_clEvEUlfE_St5arrayIPcLm2EEEEviT0_T1_.num_vgpr, 28
	.set _ZN2at6native29vectorized_elementwise_kernelILi4EZZZNS0_15sin_kernel_cudaERNS_18TensorIteratorBaseEENKUlvE0_clEvENKUlvE0_clEvEUlfE_St5arrayIPcLm2EEEEviT0_T1_.num_agpr, 0
	.set _ZN2at6native29vectorized_elementwise_kernelILi4EZZZNS0_15sin_kernel_cudaERNS_18TensorIteratorBaseEENKUlvE0_clEvENKUlvE0_clEvEUlfE_St5arrayIPcLm2EEEEviT0_T1_.numbered_sgpr, 17
	.set _ZN2at6native29vectorized_elementwise_kernelILi4EZZZNS0_15sin_kernel_cudaERNS_18TensorIteratorBaseEENKUlvE0_clEvENKUlvE0_clEvEUlfE_St5arrayIPcLm2EEEEviT0_T1_.num_named_barrier, 0
	.set _ZN2at6native29vectorized_elementwise_kernelILi4EZZZNS0_15sin_kernel_cudaERNS_18TensorIteratorBaseEENKUlvE0_clEvENKUlvE0_clEvEUlfE_St5arrayIPcLm2EEEEviT0_T1_.private_seg_size, 0
	.set _ZN2at6native29vectorized_elementwise_kernelILi4EZZZNS0_15sin_kernel_cudaERNS_18TensorIteratorBaseEENKUlvE0_clEvENKUlvE0_clEvEUlfE_St5arrayIPcLm2EEEEviT0_T1_.uses_vcc, 1
	.set _ZN2at6native29vectorized_elementwise_kernelILi4EZZZNS0_15sin_kernel_cudaERNS_18TensorIteratorBaseEENKUlvE0_clEvENKUlvE0_clEvEUlfE_St5arrayIPcLm2EEEEviT0_T1_.uses_flat_scratch, 0
	.set _ZN2at6native29vectorized_elementwise_kernelILi4EZZZNS0_15sin_kernel_cudaERNS_18TensorIteratorBaseEENKUlvE0_clEvENKUlvE0_clEvEUlfE_St5arrayIPcLm2EEEEviT0_T1_.has_dyn_sized_stack, 0
	.set _ZN2at6native29vectorized_elementwise_kernelILi4EZZZNS0_15sin_kernel_cudaERNS_18TensorIteratorBaseEENKUlvE0_clEvENKUlvE0_clEvEUlfE_St5arrayIPcLm2EEEEviT0_T1_.has_recursion, 0
	.set _ZN2at6native29vectorized_elementwise_kernelILi4EZZZNS0_15sin_kernel_cudaERNS_18TensorIteratorBaseEENKUlvE0_clEvENKUlvE0_clEvEUlfE_St5arrayIPcLm2EEEEviT0_T1_.has_indirect_call, 0
	.section	.AMDGPU.csdata,"",@progbits
; Kernel info:
; codeLenInByte = 7652
; TotalNumSgprs: 21
; NumVgprs: 28
; ScratchSize: 0
; MemoryBound: 0
; FloatMode: 240
; IeeeMode: 1
; LDSByteSize: 0 bytes/workgroup (compile time only)
; SGPRBlocks: 2
; VGPRBlocks: 6
; NumSGPRsForWavesPerEU: 21
; NumVGPRsForWavesPerEU: 28
; Occupancy: 9
; WaveLimiterHint : 0
; COMPUTE_PGM_RSRC2:SCRATCH_EN: 0
; COMPUTE_PGM_RSRC2:USER_SGPR: 6
; COMPUTE_PGM_RSRC2:TRAP_HANDLER: 0
; COMPUTE_PGM_RSRC2:TGID_X_EN: 1
; COMPUTE_PGM_RSRC2:TGID_Y_EN: 0
; COMPUTE_PGM_RSRC2:TGID_Z_EN: 0
; COMPUTE_PGM_RSRC2:TIDIG_COMP_CNT: 0
	.section	.text._ZN2at6native29vectorized_elementwise_kernelILi2EZZZNS0_15sin_kernel_cudaERNS_18TensorIteratorBaseEENKUlvE0_clEvENKUlvE0_clEvEUlfE_St5arrayIPcLm2EEEEviT0_T1_,"axG",@progbits,_ZN2at6native29vectorized_elementwise_kernelILi2EZZZNS0_15sin_kernel_cudaERNS_18TensorIteratorBaseEENKUlvE0_clEvENKUlvE0_clEvEUlfE_St5arrayIPcLm2EEEEviT0_T1_,comdat
	.globl	_ZN2at6native29vectorized_elementwise_kernelILi2EZZZNS0_15sin_kernel_cudaERNS_18TensorIteratorBaseEENKUlvE0_clEvENKUlvE0_clEvEUlfE_St5arrayIPcLm2EEEEviT0_T1_ ; -- Begin function _ZN2at6native29vectorized_elementwise_kernelILi2EZZZNS0_15sin_kernel_cudaERNS_18TensorIteratorBaseEENKUlvE0_clEvENKUlvE0_clEvEUlfE_St5arrayIPcLm2EEEEviT0_T1_
	.p2align	8
	.type	_ZN2at6native29vectorized_elementwise_kernelILi2EZZZNS0_15sin_kernel_cudaERNS_18TensorIteratorBaseEENKUlvE0_clEvENKUlvE0_clEvEUlfE_St5arrayIPcLm2EEEEviT0_T1_,@function
_ZN2at6native29vectorized_elementwise_kernelILi2EZZZNS0_15sin_kernel_cudaERNS_18TensorIteratorBaseEENKUlvE0_clEvENKUlvE0_clEvEUlfE_St5arrayIPcLm2EEEEviT0_T1_: ; @_ZN2at6native29vectorized_elementwise_kernelILi2EZZZNS0_15sin_kernel_cudaERNS_18TensorIteratorBaseEENKUlvE0_clEvENKUlvE0_clEvEUlfE_St5arrayIPcLm2EEEEviT0_T1_
; %bb.0:
	s_load_dword s0, s[4:5], 0x0
	s_load_dwordx4 s[8:11], s[4:5], 0x8
	s_lshl_b32 s12, s6, 10
	s_waitcnt lgkmcnt(0)
	s_sub_i32 s16, s0, s12
	s_cmpk_gt_i32 s16, 0x3ff
	s_mov_b64 s[0:1], -1
	s_cbranch_scc0 .LBB11_18
; %bb.1:
	s_ashr_i32 s13, s12, 31
	s_lshl_b64 s[6:7], s[12:13], 2
	s_add_u32 s0, s10, s6
	s_addc_u32 s1, s11, s7
	v_lshlrev_b32_e32 v7, 3, v0
	global_load_dwordx2 v[3:4], v7, s[0:1]
	global_load_dwordx2 v[1:2], v7, s[0:1] offset:2048
	s_brev_b32 s0, 18
	v_mov_b32_e32 v6, 0
                                        ; implicit-def: $vgpr9
                                        ; implicit-def: $vgpr5
	s_waitcnt vmcnt(1)
	v_and_b32_e32 v8, 0x7fffffff, v3
	v_cmp_nlt_f32_e64 s[0:1], |v3|, s0
	s_and_saveexec_b64 s[2:3], s[0:1]
	s_xor_b64 s[14:15], exec, s[2:3]
	s_cbranch_execz .LBB11_3
; %bb.2:
	v_and_b32_e32 v5, 0x7fffff, v8
	v_or_b32_e32 v16, 0x800000, v5
	s_mov_b32 s0, 0xfe5163ab
	v_mad_u64_u32 v[9:10], s[0:1], v16, s0, 0
	s_mov_b32 s0, 0x3c439041
	v_lshrrev_b32_e32 v14, 23, v8
	v_mov_b32_e32 v5, v10
	v_mad_u64_u32 v[10:11], s[0:1], v16, s0, v[5:6]
	s_mov_b32 s0, 0xdb629599
	v_add_u32_e32 v17, 0xffffff88, v14
	v_mov_b32_e32 v5, v11
	v_mad_u64_u32 v[11:12], s[0:1], v16, s0, v[5:6]
	s_mov_b32 s0, 0xf534ddc0
	v_not_b32_e32 v15, 63
	v_mov_b32_e32 v5, v12
	v_mad_u64_u32 v[12:13], s[0:1], v16, s0, v[5:6]
	s_mov_b32 s0, 0xfc2757d1
	v_cmp_lt_u32_e32 vcc, 63, v17
	v_mov_b32_e32 v5, v13
	v_mad_u64_u32 v[13:14], s[0:1], v16, s0, v[5:6]
	v_cndmask_b32_e32 v5, 0, v15, vcc
	v_add_u32_e32 v17, v5, v17
	v_mov_b32_e32 v5, v14
	s_mov_b32 s0, 0x4e441529
	v_mad_u64_u32 v[14:15], s[0:1], v16, s0, v[5:6]
	v_not_b32_e32 v18, 31
	v_cmp_lt_u32_e64 s[0:1], 31, v17
	v_cndmask_b32_e64 v5, 0, v18, s[0:1]
	v_add_u32_e32 v17, v5, v17
	v_mov_b32_e32 v5, v15
	s_mov_b32 s2, 0xa2f9836e
	v_mad_u64_u32 v[5:6], s[2:3], v16, s2, v[5:6]
	v_cmp_lt_u32_e64 s[2:3], 31, v17
	v_cndmask_b32_e64 v15, 0, v18, s[2:3]
	v_cndmask_b32_e32 v16, v14, v12, vcc
	v_cndmask_b32_e32 v5, v5, v13, vcc
	;; [unrolled: 1-line block ×3, first 2 shown]
	v_add_u32_e32 v15, v15, v17
	v_cndmask_b32_e64 v17, v5, v16, s[0:1]
	v_cndmask_b32_e64 v5, v6, v5, s[0:1]
	v_cndmask_b32_e32 v6, v13, v11, vcc
	v_cndmask_b32_e64 v13, v16, v6, s[0:1]
	v_cndmask_b32_e64 v5, v5, v17, s[2:3]
	;; [unrolled: 1-line block ×3, first 2 shown]
	v_sub_u32_e32 v16, 32, v15
	v_alignbit_b32 v17, v5, v14, v16
	v_cmp_eq_u32_e64 s[4:5], 0, v15
	v_cndmask_b32_e64 v15, v17, v5, s[4:5]
	v_cndmask_b32_e32 v5, v12, v10, vcc
	v_cndmask_b32_e64 v6, v6, v5, s[0:1]
	v_cndmask_b32_e64 v10, v13, v6, s[2:3]
	v_alignbit_b32 v12, v14, v10, v16
	v_cndmask_b32_e32 v9, v11, v9, vcc
	v_cndmask_b32_e64 v12, v12, v14, s[4:5]
	v_bfe_u32 v17, v15, 29, 1
	v_cndmask_b32_e64 v5, v5, v9, s[0:1]
	v_alignbit_b32 v13, v15, v12, 30
	v_sub_u32_e32 v18, 0, v17
	v_cndmask_b32_e64 v5, v6, v5, s[2:3]
	v_xor_b32_e32 v13, v13, v18
	v_alignbit_b32 v6, v10, v5, v16
	v_cndmask_b32_e64 v6, v6, v10, s[4:5]
	v_ffbh_u32_e32 v10, v13
	v_alignbit_b32 v9, v12, v6, 30
	v_min_u32_e32 v10, 32, v10
	v_alignbit_b32 v5, v6, v5, 30
	v_xor_b32_e32 v9, v9, v18
	v_sub_u32_e32 v11, 31, v10
	v_xor_b32_e32 v5, v5, v18
	v_alignbit_b32 v12, v13, v9, v11
	v_alignbit_b32 v5, v9, v5, v11
	;; [unrolled: 1-line block ×3, first 2 shown]
	v_ffbh_u32_e32 v9, v6
	v_min_u32_e32 v9, 32, v9
	v_lshrrev_b32_e32 v14, 29, v15
	v_not_b32_e32 v11, v9
	v_alignbit_b32 v5, v6, v5, v11
	v_lshlrev_b32_e32 v6, 31, v14
	v_or_b32_e32 v11, 0x33000000, v6
	v_add_lshl_u32 v9, v9, v10, 23
	v_lshrrev_b32_e32 v5, 9, v5
	v_sub_u32_e32 v9, v11, v9
	v_or_b32_e32 v6, 0.5, v6
	v_lshlrev_b32_e32 v10, 23, v10
	v_or_b32_e32 v5, v9, v5
	v_lshrrev_b32_e32 v9, 9, v12
	v_sub_u32_e32 v6, v6, v10
	v_or_b32_e32 v6, v9, v6
	s_mov_b32 s0, 0x3fc90fda
	v_mul_f32_e32 v9, 0x3fc90fda, v6
	v_fma_f32 v10, v6, s0, -v9
	v_fmac_f32_e32 v10, 0x33a22168, v6
	v_fmac_f32_e32 v10, 0x3fc90fda, v5
	v_lshrrev_b32_e32 v6, 30, v15
	v_add_f32_e32 v5, v9, v10
	v_add_u32_e32 v9, v17, v6
.LBB11_3:
	s_andn2_saveexec_b64 s[0:1], s[14:15]
	s_cbranch_execz .LBB11_5
; %bb.4:
	s_mov_b32 s2, 0x3f22f983
	v_mul_f32_e64 v5, |v3|, s2
	v_rndne_f32_e32 v6, v5
	s_mov_b32 s2, 0xbfc90fda
	v_cvt_i32_f32_e32 v9, v6
	v_fma_f32 v5, v6, s2, |v3|
	v_fmac_f32_e32 v5, 0xb3a22168, v6
	v_fmac_f32_e32 v5, 0xa7c234c4, v6
.LBB11_5:
	s_or_b64 exec, exec, s[0:1]
	s_brev_b32 s0, 18
	v_and_b32_e32 v6, 0x7fffffff, v4
	v_cmp_nlt_f32_e64 s[0:1], |v4|, s0
                                        ; implicit-def: $vgpr11
                                        ; implicit-def: $vgpr10
	s_and_saveexec_b64 s[2:3], s[0:1]
	s_xor_b64 s[14:15], exec, s[2:3]
	s_cbranch_execz .LBB11_7
; %bb.6:
	v_and_b32_e32 v10, 0x7fffff, v6
	v_or_b32_e32 v19, 0x800000, v10
	s_mov_b32 s0, 0xfe5163ab
	v_mad_u64_u32 v[10:11], s[0:1], v19, s0, 0
	v_mov_b32_e32 v12, 0
	s_mov_b32 s0, 0x3c439041
	v_mad_u64_u32 v[13:14], s[0:1], v19, s0, v[11:12]
	s_mov_b32 s0, 0xdb629599
	v_not_b32_e32 v18, 63
	v_mov_b32_e32 v11, v14
	v_mad_u64_u32 v[14:15], s[0:1], v19, s0, v[11:12]
	s_mov_b32 s0, 0xf534ddc0
	v_not_b32_e32 v21, 31
	v_mov_b32_e32 v11, v15
	v_mad_u64_u32 v[15:16], s[0:1], v19, s0, v[11:12]
	v_lshrrev_b32_e32 v11, 23, v6
	v_add_u32_e32 v20, 0xffffff88, v11
	v_mov_b32_e32 v11, v16
	s_mov_b32 s0, 0xfc2757d1
	v_mad_u64_u32 v[16:17], s[0:1], v19, s0, v[11:12]
	v_cmp_lt_u32_e32 vcc, 63, v20
	v_cndmask_b32_e32 v11, 0, v18, vcc
	v_add_u32_e32 v20, v11, v20
	v_mov_b32_e32 v11, v17
	s_mov_b32 s0, 0x4e441529
	v_mad_u64_u32 v[17:18], s[0:1], v19, s0, v[11:12]
	v_cmp_lt_u32_e64 s[0:1], 31, v20
	v_cndmask_b32_e64 v11, 0, v21, s[0:1]
	v_add_u32_e32 v20, v11, v20
	v_mov_b32_e32 v11, v18
	s_mov_b32 s2, 0xa2f9836e
	v_mad_u64_u32 v[11:12], s[2:3], v19, s2, v[11:12]
	v_cmp_lt_u32_e64 s[2:3], 31, v20
	v_cndmask_b32_e64 v18, 0, v21, s[2:3]
	v_cndmask_b32_e32 v19, v17, v15, vcc
	v_cndmask_b32_e32 v11, v11, v16, vcc
	;; [unrolled: 1-line block ×3, first 2 shown]
	v_add_u32_e32 v18, v18, v20
	v_cndmask_b32_e64 v20, v11, v19, s[0:1]
	v_cndmask_b32_e64 v11, v12, v11, s[0:1]
	v_cndmask_b32_e32 v12, v16, v14, vcc
	v_cndmask_b32_e64 v16, v19, v12, s[0:1]
	v_cndmask_b32_e32 v13, v15, v13, vcc
	v_cndmask_b32_e64 v11, v11, v20, s[2:3]
	v_cndmask_b32_e64 v17, v20, v16, s[2:3]
	v_sub_u32_e32 v19, 32, v18
	v_cndmask_b32_e64 v12, v12, v13, s[0:1]
	v_alignbit_b32 v20, v11, v17, v19
	v_cmp_eq_u32_e64 s[4:5], 0, v18
	v_cndmask_b32_e64 v15, v16, v12, s[2:3]
	v_cndmask_b32_e64 v11, v20, v11, s[4:5]
	v_alignbit_b32 v16, v17, v15, v19
	v_cndmask_b32_e32 v10, v14, v10, vcc
	v_cndmask_b32_e64 v16, v16, v17, s[4:5]
	v_bfe_u32 v20, v11, 29, 1
	v_cndmask_b32_e64 v10, v13, v10, s[0:1]
	v_alignbit_b32 v17, v11, v16, 30
	v_sub_u32_e32 v21, 0, v20
	v_cndmask_b32_e64 v10, v12, v10, s[2:3]
	v_xor_b32_e32 v17, v17, v21
	v_alignbit_b32 v12, v15, v10, v19
	v_cndmask_b32_e64 v12, v12, v15, s[4:5]
	v_ffbh_u32_e32 v14, v17
	v_alignbit_b32 v13, v16, v12, 30
	v_min_u32_e32 v14, 32, v14
	v_alignbit_b32 v10, v12, v10, 30
	v_xor_b32_e32 v13, v13, v21
	v_sub_u32_e32 v15, 31, v14
	v_xor_b32_e32 v10, v10, v21
	v_alignbit_b32 v16, v17, v13, v15
	v_alignbit_b32 v10, v13, v10, v15
	;; [unrolled: 1-line block ×3, first 2 shown]
	v_ffbh_u32_e32 v13, v12
	v_min_u32_e32 v13, 32, v13
	v_lshrrev_b32_e32 v18, 29, v11
	v_not_b32_e32 v15, v13
	v_alignbit_b32 v10, v12, v10, v15
	v_lshlrev_b32_e32 v12, 31, v18
	v_or_b32_e32 v15, 0x33000000, v12
	v_add_lshl_u32 v13, v13, v14, 23
	v_lshrrev_b32_e32 v10, 9, v10
	v_sub_u32_e32 v13, v15, v13
	v_or_b32_e32 v12, 0.5, v12
	v_lshlrev_b32_e32 v14, 23, v14
	v_or_b32_e32 v10, v13, v10
	v_lshrrev_b32_e32 v13, 9, v16
	v_sub_u32_e32 v12, v12, v14
	v_or_b32_e32 v12, v13, v12
	s_mov_b32 s0, 0x3fc90fda
	v_mul_f32_e32 v13, 0x3fc90fda, v12
	v_fma_f32 v14, v12, s0, -v13
	v_fmac_f32_e32 v14, 0x33a22168, v12
	v_fmac_f32_e32 v14, 0x3fc90fda, v10
	v_lshrrev_b32_e32 v11, 30, v11
	v_add_f32_e32 v10, v13, v14
	v_add_u32_e32 v11, v20, v11
.LBB11_7:
	s_andn2_saveexec_b64 s[0:1], s[14:15]
	s_cbranch_execz .LBB11_9
; %bb.8:
	s_mov_b32 s2, 0x3f22f983
	v_mul_f32_e64 v10, |v4|, s2
	v_rndne_f32_e32 v12, v10
	s_mov_b32 s2, 0xbfc90fda
	v_cvt_i32_f32_e32 v11, v12
	v_fma_f32 v10, v12, s2, |v4|
	v_fmac_f32_e32 v10, 0xb3a22168, v12
	v_fmac_f32_e32 v10, 0xa7c234c4, v12
.LBB11_9:
	s_or_b64 exec, exec, s[0:1]
	s_brev_b32 s0, 18
	s_waitcnt vmcnt(0)
	v_and_b32_e32 v12, 0x7fffffff, v1
	v_cmp_nlt_f32_e64 s[0:1], |v1|, s0
                                        ; implicit-def: $vgpr14
                                        ; implicit-def: $vgpr13
	s_and_saveexec_b64 s[2:3], s[0:1]
	s_xor_b64 s[14:15], exec, s[2:3]
	s_cbranch_execz .LBB11_11
; %bb.10:
	v_and_b32_e32 v13, 0x7fffff, v12
	v_or_b32_e32 v22, 0x800000, v13
	s_mov_b32 s0, 0xfe5163ab
	v_mad_u64_u32 v[13:14], s[0:1], v22, s0, 0
	v_mov_b32_e32 v15, 0
	s_mov_b32 s0, 0x3c439041
	v_mad_u64_u32 v[16:17], s[0:1], v22, s0, v[14:15]
	s_mov_b32 s0, 0xdb629599
	v_not_b32_e32 v21, 63
	v_mov_b32_e32 v14, v17
	v_mad_u64_u32 v[17:18], s[0:1], v22, s0, v[14:15]
	s_mov_b32 s0, 0xf534ddc0
	v_not_b32_e32 v24, 31
	v_mov_b32_e32 v14, v18
	v_mad_u64_u32 v[18:19], s[0:1], v22, s0, v[14:15]
	v_lshrrev_b32_e32 v14, 23, v12
	v_add_u32_e32 v23, 0xffffff88, v14
	v_mov_b32_e32 v14, v19
	s_mov_b32 s0, 0xfc2757d1
	v_mad_u64_u32 v[19:20], s[0:1], v22, s0, v[14:15]
	v_cmp_lt_u32_e32 vcc, 63, v23
	v_cndmask_b32_e32 v14, 0, v21, vcc
	v_add_u32_e32 v23, v14, v23
	v_mov_b32_e32 v14, v20
	s_mov_b32 s0, 0x4e441529
	v_mad_u64_u32 v[20:21], s[0:1], v22, s0, v[14:15]
	v_cmp_lt_u32_e64 s[0:1], 31, v23
	v_cndmask_b32_e64 v14, 0, v24, s[0:1]
	v_add_u32_e32 v23, v14, v23
	v_mov_b32_e32 v14, v21
	s_mov_b32 s2, 0xa2f9836e
	v_mad_u64_u32 v[14:15], s[2:3], v22, s2, v[14:15]
	v_cmp_lt_u32_e64 s[2:3], 31, v23
	v_cndmask_b32_e64 v21, 0, v24, s[2:3]
	v_cndmask_b32_e32 v22, v20, v18, vcc
	v_cndmask_b32_e32 v14, v14, v19, vcc
	v_cndmask_b32_e32 v15, v15, v20, vcc
	v_add_u32_e32 v21, v21, v23
	v_cndmask_b32_e64 v23, v14, v22, s[0:1]
	v_cndmask_b32_e64 v14, v15, v14, s[0:1]
	v_cndmask_b32_e32 v15, v19, v17, vcc
	v_cndmask_b32_e64 v19, v22, v15, s[0:1]
	v_cndmask_b32_e32 v16, v18, v16, vcc
	v_cndmask_b32_e64 v14, v14, v23, s[2:3]
	v_cndmask_b32_e64 v20, v23, v19, s[2:3]
	v_sub_u32_e32 v22, 32, v21
	v_cndmask_b32_e64 v15, v15, v16, s[0:1]
	v_alignbit_b32 v23, v14, v20, v22
	v_cmp_eq_u32_e64 s[4:5], 0, v21
	v_cndmask_b32_e64 v18, v19, v15, s[2:3]
	v_cndmask_b32_e64 v14, v23, v14, s[4:5]
	v_alignbit_b32 v19, v20, v18, v22
	v_cndmask_b32_e32 v13, v17, v13, vcc
	v_cndmask_b32_e64 v19, v19, v20, s[4:5]
	v_bfe_u32 v23, v14, 29, 1
	v_cndmask_b32_e64 v13, v16, v13, s[0:1]
	v_alignbit_b32 v20, v14, v19, 30
	v_sub_u32_e32 v24, 0, v23
	v_cndmask_b32_e64 v13, v15, v13, s[2:3]
	v_xor_b32_e32 v20, v20, v24
	v_alignbit_b32 v15, v18, v13, v22
	v_cndmask_b32_e64 v15, v15, v18, s[4:5]
	v_ffbh_u32_e32 v17, v20
	v_alignbit_b32 v16, v19, v15, 30
	v_min_u32_e32 v17, 32, v17
	v_alignbit_b32 v13, v15, v13, 30
	v_xor_b32_e32 v16, v16, v24
	v_sub_u32_e32 v18, 31, v17
	v_xor_b32_e32 v13, v13, v24
	v_alignbit_b32 v19, v20, v16, v18
	v_alignbit_b32 v13, v16, v13, v18
	v_alignbit_b32 v15, v19, v13, 9
	v_ffbh_u32_e32 v16, v15
	v_min_u32_e32 v16, 32, v16
	v_lshrrev_b32_e32 v21, 29, v14
	v_not_b32_e32 v18, v16
	v_alignbit_b32 v13, v15, v13, v18
	v_lshlrev_b32_e32 v15, 31, v21
	v_or_b32_e32 v18, 0x33000000, v15
	v_add_lshl_u32 v16, v16, v17, 23
	v_lshrrev_b32_e32 v13, 9, v13
	v_sub_u32_e32 v16, v18, v16
	v_or_b32_e32 v15, 0.5, v15
	v_lshlrev_b32_e32 v17, 23, v17
	v_or_b32_e32 v13, v16, v13
	v_lshrrev_b32_e32 v16, 9, v19
	v_sub_u32_e32 v15, v15, v17
	v_or_b32_e32 v15, v16, v15
	s_mov_b32 s0, 0x3fc90fda
	v_mul_f32_e32 v16, 0x3fc90fda, v15
	v_fma_f32 v17, v15, s0, -v16
	v_fmac_f32_e32 v17, 0x33a22168, v15
	v_fmac_f32_e32 v17, 0x3fc90fda, v13
	v_lshrrev_b32_e32 v14, 30, v14
	v_add_f32_e32 v13, v16, v17
	v_add_u32_e32 v14, v23, v14
.LBB11_11:
	s_andn2_saveexec_b64 s[0:1], s[14:15]
	s_cbranch_execz .LBB11_13
; %bb.12:
	s_mov_b32 s2, 0x3f22f983
	v_mul_f32_e64 v13, |v1|, s2
	v_rndne_f32_e32 v15, v13
	s_mov_b32 s2, 0xbfc90fda
	v_cvt_i32_f32_e32 v14, v15
	v_fma_f32 v13, v15, s2, |v1|
	v_fmac_f32_e32 v13, 0xb3a22168, v15
	v_fmac_f32_e32 v13, 0xa7c234c4, v15
.LBB11_13:
	s_or_b64 exec, exec, s[0:1]
	s_brev_b32 s0, 18
	v_and_b32_e32 v15, 0x7fffffff, v2
	v_cmp_nlt_f32_e64 s[0:1], |v2|, s0
                                        ; implicit-def: $vgpr16
                                        ; implicit-def: $vgpr17
	s_and_saveexec_b64 s[2:3], s[0:1]
	s_xor_b64 s[14:15], exec, s[2:3]
	s_cbranch_execz .LBB11_15
; %bb.14:
	v_and_b32_e32 v16, 0x7fffff, v15
	v_or_b32_e32 v25, 0x800000, v16
	s_mov_b32 s0, 0xfe5163ab
	v_mad_u64_u32 v[16:17], s[0:1], v25, s0, 0
	v_mov_b32_e32 v18, 0
	s_mov_b32 s0, 0x3c439041
	v_mad_u64_u32 v[19:20], s[0:1], v25, s0, v[17:18]
	s_mov_b32 s0, 0xdb629599
	v_not_b32_e32 v24, 63
	v_mov_b32_e32 v17, v20
	v_mad_u64_u32 v[20:21], s[0:1], v25, s0, v[17:18]
	s_mov_b32 s0, 0xf534ddc0
	v_not_b32_e32 v27, 31
	v_mov_b32_e32 v17, v21
	v_mad_u64_u32 v[21:22], s[0:1], v25, s0, v[17:18]
	v_lshrrev_b32_e32 v17, 23, v15
	v_add_u32_e32 v26, 0xffffff88, v17
	v_mov_b32_e32 v17, v22
	s_mov_b32 s0, 0xfc2757d1
	v_mad_u64_u32 v[22:23], s[0:1], v25, s0, v[17:18]
	v_cmp_lt_u32_e32 vcc, 63, v26
	v_cndmask_b32_e32 v17, 0, v24, vcc
	v_add_u32_e32 v26, v17, v26
	v_mov_b32_e32 v17, v23
	s_mov_b32 s0, 0x4e441529
	v_mad_u64_u32 v[23:24], s[0:1], v25, s0, v[17:18]
	v_cmp_lt_u32_e64 s[0:1], 31, v26
	v_cndmask_b32_e64 v17, 0, v27, s[0:1]
	v_add_u32_e32 v26, v17, v26
	v_mov_b32_e32 v17, v24
	s_mov_b32 s2, 0xa2f9836e
	v_mad_u64_u32 v[17:18], s[2:3], v25, s2, v[17:18]
	v_cmp_lt_u32_e64 s[2:3], 31, v26
	v_cndmask_b32_e64 v24, 0, v27, s[2:3]
	v_cndmask_b32_e32 v25, v23, v21, vcc
	v_cndmask_b32_e32 v17, v17, v22, vcc
	;; [unrolled: 1-line block ×3, first 2 shown]
	v_add_u32_e32 v24, v24, v26
	v_cndmask_b32_e64 v26, v17, v25, s[0:1]
	v_cndmask_b32_e64 v17, v18, v17, s[0:1]
	v_cndmask_b32_e32 v18, v22, v20, vcc
	v_cndmask_b32_e64 v22, v25, v18, s[0:1]
	v_cndmask_b32_e64 v17, v17, v26, s[2:3]
	;; [unrolled: 1-line block ×3, first 2 shown]
	v_sub_u32_e32 v25, 32, v24
	v_alignbit_b32 v26, v17, v23, v25
	v_cmp_eq_u32_e64 s[4:5], 0, v24
	v_cndmask_b32_e64 v24, v26, v17, s[4:5]
	v_cndmask_b32_e32 v17, v21, v19, vcc
	v_cndmask_b32_e64 v18, v18, v17, s[0:1]
	v_cndmask_b32_e64 v19, v22, v18, s[2:3]
	v_alignbit_b32 v21, v23, v19, v25
	v_cndmask_b32_e32 v16, v20, v16, vcc
	v_cndmask_b32_e64 v21, v21, v23, s[4:5]
	v_bfe_u32 v26, v24, 29, 1
	v_cndmask_b32_e64 v16, v17, v16, s[0:1]
	v_alignbit_b32 v22, v24, v21, 30
	v_sub_u32_e32 v27, 0, v26
	v_cndmask_b32_e64 v16, v18, v16, s[2:3]
	v_xor_b32_e32 v22, v22, v27
	v_alignbit_b32 v17, v19, v16, v25
	v_cndmask_b32_e64 v17, v17, v19, s[4:5]
	v_ffbh_u32_e32 v19, v22
	v_alignbit_b32 v18, v21, v17, 30
	v_min_u32_e32 v19, 32, v19
	v_alignbit_b32 v16, v17, v16, 30
	v_xor_b32_e32 v18, v18, v27
	v_sub_u32_e32 v20, 31, v19
	v_xor_b32_e32 v16, v16, v27
	v_alignbit_b32 v21, v22, v18, v20
	v_alignbit_b32 v16, v18, v16, v20
	;; [unrolled: 1-line block ×3, first 2 shown]
	v_ffbh_u32_e32 v18, v17
	v_min_u32_e32 v18, 32, v18
	v_lshrrev_b32_e32 v23, 29, v24
	v_not_b32_e32 v20, v18
	v_alignbit_b32 v16, v17, v16, v20
	v_lshlrev_b32_e32 v17, 31, v23
	v_or_b32_e32 v20, 0x33000000, v17
	v_add_lshl_u32 v18, v18, v19, 23
	v_lshrrev_b32_e32 v16, 9, v16
	v_sub_u32_e32 v18, v20, v18
	v_or_b32_e32 v17, 0.5, v17
	v_lshlrev_b32_e32 v19, 23, v19
	v_or_b32_e32 v16, v18, v16
	v_lshrrev_b32_e32 v18, 9, v21
	v_sub_u32_e32 v17, v17, v19
	v_or_b32_e32 v17, v18, v17
	s_mov_b32 s0, 0x3fc90fda
	v_mul_f32_e32 v18, 0x3fc90fda, v17
	v_fma_f32 v19, v17, s0, -v18
	v_fmac_f32_e32 v19, 0x33a22168, v17
	v_fmac_f32_e32 v19, 0x3fc90fda, v16
	v_lshrrev_b32_e32 v16, 30, v24
	v_add_f32_e32 v17, v18, v19
	v_add_u32_e32 v16, v26, v16
.LBB11_15:
	s_andn2_saveexec_b64 s[0:1], s[14:15]
	s_cbranch_execz .LBB11_17
; %bb.16:
	s_mov_b32 s2, 0x3f22f983
	v_mul_f32_e64 v16, |v2|, s2
	v_rndne_f32_e32 v18, v16
	s_mov_b32 s2, 0xbfc90fda
	v_cvt_i32_f32_e32 v16, v18
	v_fma_f32 v17, v18, s2, |v2|
	v_fmac_f32_e32 v17, 0xb3a22168, v18
	v_fmac_f32_e32 v17, 0xa7c234c4, v18
.LBB11_17:
	s_or_b64 exec, exec, s[0:1]
	v_lshlrev_b32_e32 v18, 30, v9
	v_xor_b32_e32 v8, v8, v3
	v_and_b32_e32 v18, 0x80000000, v18
	v_xor_b32_e32 v8, v8, v18
	v_mul_f32_e32 v18, v5, v5
	v_mov_b32_e32 v20, 0x3c0881c4
	v_mov_b32_e32 v22, 0xbab64f3b
	v_fmac_f32_e32 v20, 0xb94c1982, v18
	v_mov_b32_e32 v21, 0xbe2aaa9d
	v_fmac_f32_e32 v22, 0x37d75334, v18
	v_mov_b32_e32 v23, 0x3d2aabf7
	v_fma_f32 v20, v18, v20, v21
	v_fma_f32 v22, v18, v22, v23
	v_mov_b32_e32 v24, 0xbf000004
	v_and_b32_e32 v9, 1, v9
	v_mul_f32_e32 v20, v18, v20
	v_fma_f32 v22, v18, v22, v24
	v_fmac_f32_e32 v5, v5, v20
	v_fma_f32 v18, v18, v22, 1.0
	v_cmp_eq_u32_e32 vcc, 0, v9
	s_movk_i32 s2, 0x1f8
	v_cndmask_b32_e32 v5, v18, v5, vcc
	v_xor_b32_e32 v5, v8, v5
	v_mov_b32_e32 v8, 0x7fc00000
	v_cmp_class_f32_e64 vcc, v3, s2
	v_cndmask_b32_e32 v3, v8, v5, vcc
	v_xor_b32_e32 v5, v6, v4
	v_lshlrev_b32_e32 v6, 30, v11
	v_and_b32_e32 v6, 0x80000000, v6
	v_xor_b32_e32 v5, v5, v6
	v_and_b32_e32 v6, 1, v11
	v_mul_f32_e32 v9, v10, v10
	v_mov_b32_e32 v11, 0x3c0881c4
	v_fmac_f32_e32 v11, 0xb94c1982, v9
	v_fma_f32 v11, v9, v11, v21
	v_mul_f32_e32 v11, v9, v11
	v_fmac_f32_e32 v10, v10, v11
	v_mov_b32_e32 v11, 0xbab64f3b
	v_fmac_f32_e32 v11, 0x37d75334, v9
	v_fma_f32 v11, v9, v11, v23
	v_fma_f32 v11, v9, v11, v24
	v_fma_f32 v9, v9, v11, 1.0
	v_cmp_eq_u32_e32 vcc, 0, v6
	v_cndmask_b32_e32 v6, v9, v10, vcc
	v_mul_f32_e32 v9, v13, v13
	v_mov_b32_e32 v10, 0x3c0881c4
	v_fmac_f32_e32 v10, 0xb94c1982, v9
	v_fma_f32 v10, v9, v10, v21
	v_mul_f32_e32 v10, v9, v10
	v_fmac_f32_e32 v13, v13, v10
	v_mov_b32_e32 v10, 0xbab64f3b
	v_xor_b32_e32 v5, v5, v6
	v_cmp_class_f32_e64 vcc, v4, s2
	v_lshlrev_b32_e32 v6, 30, v14
	v_fmac_f32_e32 v10, 0x37d75334, v9
	v_cndmask_b32_e32 v4, v8, v5, vcc
	v_xor_b32_e32 v5, v12, v1
	v_and_b32_e32 v6, 0x80000000, v6
	v_fma_f32 v10, v9, v10, v23
	v_xor_b32_e32 v5, v5, v6
	v_and_b32_e32 v6, 1, v14
	v_fma_f32 v10, v9, v10, v24
	v_fma_f32 v9, v9, v10, 1.0
	v_cmp_eq_u32_e32 vcc, 0, v6
	v_cndmask_b32_e32 v6, v9, v13, vcc
	v_mov_b32_e32 v19, 0x3c0881c4
	v_xor_b32_e32 v5, v5, v6
	v_mul_f32_e32 v6, v17, v17
	v_fmac_f32_e32 v19, 0xb94c1982, v6
	v_mov_b32_e32 v20, 0xbab64f3b
	v_fmac_f32_e32 v21, v6, v19
	v_mul_f32_e32 v9, v6, v21
	v_fmac_f32_e32 v20, 0x37d75334, v6
	v_fmac_f32_e32 v17, v17, v9
	;; [unrolled: 1-line block ×3, first 2 shown]
	v_and_b32_e32 v9, 1, v16
	v_fmac_f32_e32 v24, v6, v23
	v_cmp_eq_u32_e32 vcc, 0, v9
	v_lshlrev_b32_e32 v9, 30, v16
	v_fma_f32 v6, v6, v24, 1.0
	v_and_b32_e32 v9, 0x80000000, v9
	v_xor_b32_e32 v10, v15, v2
	v_cndmask_b32_e32 v6, v6, v17, vcc
	v_xor_b32_e32 v9, v10, v9
	v_cmp_class_f32_e64 vcc, v1, s2
	v_xor_b32_e32 v6, v9, v6
	s_add_u32 s0, s8, s6
	v_cndmask_b32_e32 v1, v8, v5, vcc
	v_cmp_class_f32_e64 vcc, v2, s2
	s_addc_u32 s1, s9, s7
	v_cndmask_b32_e32 v2, v8, v6, vcc
	global_store_dwordx2 v7, v[3:4], s[0:1]
	global_store_dwordx2 v7, v[1:2], s[0:1] offset:2048
	s_mov_b64 s[0:1], 0
.LBB11_18:
	s_and_b64 vcc, exec, s[0:1]
	s_cbranch_vccz .LBB11_51
; %bb.19:
	v_cmp_gt_i32_e32 vcc, s16, v0
	v_mov_b32_e32 v8, 0
	v_or_b32_e32 v1, s12, v0
	v_mov_b32_e32 v5, 0
	v_mov_b32_e32 v3, v0
	s_and_saveexec_b64 s[2:3], vcc
	s_cbranch_execz .LBB11_21
; %bb.20:
	v_mov_b32_e32 v2, 0
	v_lshlrev_b64 v[2:3], 2, v[1:2]
	v_mov_b32_e32 v4, s11
	v_add_co_u32_e64 v2, s[0:1], s10, v2
	v_addc_co_u32_e64 v3, s[0:1], v4, v3, s[0:1]
	global_load_dword v5, v[2:3], off
	v_or_b32_e32 v3, 0x100, v0
.LBB11_21:
	s_or_b64 exec, exec, s[2:3]
	v_cmp_gt_i32_e64 s[0:1], s16, v3
	s_and_saveexec_b64 s[2:3], s[0:1]
	s_cbranch_execz .LBB11_23
; %bb.22:
	v_add_u32_e32 v6, s12, v3
	v_mov_b32_e32 v7, 0
	v_lshlrev_b64 v[6:7], 2, v[6:7]
	v_mov_b32_e32 v2, s11
	v_add_co_u32_e64 v6, s[0:1], s10, v6
	v_addc_co_u32_e64 v7, s[0:1], v2, v7, s[0:1]
	global_load_dword v8, v[6:7], off
	v_add_u32_e32 v3, 0x100, v3
.LBB11_23:
	s_or_b64 exec, exec, s[2:3]
	v_cmp_gt_i32_e64 s[0:1], s16, v3
	v_mov_b32_e32 v2, 0
	v_mov_b32_e32 v4, 0
	s_and_saveexec_b64 s[2:3], s[0:1]
	s_cbranch_execz .LBB11_25
; %bb.24:
	v_add_u32_e32 v6, s12, v3
	v_mov_b32_e32 v7, 0
	v_lshlrev_b64 v[6:7], 2, v[6:7]
	v_mov_b32_e32 v4, s11
	v_add_co_u32_e64 v6, s[0:1], s10, v6
	v_addc_co_u32_e64 v7, s[0:1], v4, v7, s[0:1]
	global_load_dword v4, v[6:7], off
	v_add_u32_e32 v3, 0x100, v3
.LBB11_25:
	s_or_b64 exec, exec, s[2:3]
	v_cmp_gt_i32_e64 s[0:1], s16, v3
	s_and_saveexec_b64 s[2:3], s[0:1]
	s_cbranch_execz .LBB11_27
; %bb.26:
	v_add_u32_e32 v2, s12, v3
	v_mov_b32_e32 v3, 0
	v_lshlrev_b64 v[2:3], 2, v[2:3]
	v_mov_b32_e32 v6, s11
	v_add_co_u32_e64 v2, s[0:1], s10, v2
	v_addc_co_u32_e64 v3, s[0:1], v6, v3, s[0:1]
	global_load_dword v2, v[2:3], off
.LBB11_27:
	s_or_b64 exec, exec, s[2:3]
	v_mov_b32_e32 v3, 0
	v_mov_b32_e32 v9, v3
	;; [unrolled: 1-line block ×4, first 2 shown]
	s_and_saveexec_b64 s[10:11], vcc
	s_cbranch_execz .LBB11_33
; %bb.28:
	s_brev_b32 s0, 18
	s_waitcnt vmcnt(0)
	v_and_b32_e32 v3, 0x7fffffff, v5
	v_cmp_nlt_f32_e64 s[0:1], |v5|, s0
                                        ; implicit-def: $vgpr6
                                        ; implicit-def: $vgpr7
	s_and_saveexec_b64 s[2:3], s[0:1]
	s_xor_b64 s[14:15], exec, s[2:3]
	s_cbranch_execz .LBB11_30
; %bb.29:
	v_and_b32_e32 v6, 0x7fffff, v3
	v_or_b32_e32 v17, 0x800000, v6
	s_mov_b32 s0, 0xfe5163ab
	v_mad_u64_u32 v[6:7], s[0:1], v17, s0, 0
	v_mov_b32_e32 v10, 0
	s_mov_b32 s0, 0x3c439041
	v_mov_b32_e32 v9, v7
	v_mad_u64_u32 v[11:12], s[0:1], v17, s0, v[9:10]
	s_mov_b32 s0, 0xdb629599
	v_lshrrev_b32_e32 v7, 23, v3
	v_mov_b32_e32 v9, v12
	v_mad_u64_u32 v[12:13], s[0:1], v17, s0, v[9:10]
	s_mov_b32 s0, 0xf534ddc0
	v_add_u32_e32 v7, 0xffffff88, v7
	v_mov_b32_e32 v9, v13
	v_mad_u64_u32 v[13:14], s[0:1], v17, s0, v[9:10]
	s_mov_b32 s0, 0xfc2757d1
	v_not_b32_e32 v16, 63
	v_mov_b32_e32 v9, v14
	v_mad_u64_u32 v[14:15], s[0:1], v17, s0, v[9:10]
	v_cmp_lt_u32_e64 s[0:1], 63, v7
	v_cndmask_b32_e64 v9, 0, v16, s[0:1]
	v_add_u32_e32 v7, v9, v7
	v_mov_b32_e32 v9, v15
	s_mov_b32 s2, 0x4e441529
	v_mad_u64_u32 v[15:16], s[2:3], v17, s2, v[9:10]
	v_not_b32_e32 v18, 31
	v_cmp_lt_u32_e64 s[2:3], 31, v7
	v_cndmask_b32_e64 v9, 0, v18, s[2:3]
	v_add_u32_e32 v7, v9, v7
	v_mov_b32_e32 v9, v16
	s_mov_b32 s4, 0xa2f9836e
	v_mad_u64_u32 v[9:10], s[4:5], v17, s4, v[9:10]
	v_cmp_lt_u32_e64 s[4:5], 31, v7
	v_cndmask_b32_e64 v16, 0, v18, s[4:5]
	v_add_u32_e32 v7, v16, v7
	v_cndmask_b32_e64 v16, v15, v13, s[0:1]
	v_cndmask_b32_e64 v9, v9, v14, s[0:1]
	;; [unrolled: 1-line block ×7, first 2 shown]
	v_sub_u32_e32 v16, 32, v7
	v_cmp_eq_u32_e64 s[6:7], 0, v7
	v_cndmask_b32_e64 v7, v13, v11, s[0:1]
	v_cndmask_b32_e64 v9, v9, v17, s[4:5]
	;; [unrolled: 1-line block ×4, first 2 shown]
	v_alignbit_b32 v17, v9, v15, v16
	v_cndmask_b32_e64 v11, v14, v10, s[4:5]
	v_cndmask_b32_e64 v9, v17, v9, s[6:7]
	v_alignbit_b32 v13, v15, v11, v16
	v_cndmask_b32_e64 v6, v12, v6, s[0:1]
	v_cndmask_b32_e64 v13, v13, v15, s[6:7]
	v_bfe_u32 v17, v9, 29, 1
	v_cndmask_b32_e64 v6, v7, v6, s[2:3]
	v_alignbit_b32 v14, v9, v13, 30
	v_sub_u32_e32 v18, 0, v17
	v_cndmask_b32_e64 v6, v10, v6, s[4:5]
	v_xor_b32_e32 v14, v14, v18
	v_alignbit_b32 v7, v11, v6, v16
	v_cndmask_b32_e64 v7, v7, v11, s[6:7]
	v_ffbh_u32_e32 v11, v14
	v_alignbit_b32 v10, v13, v7, 30
	v_min_u32_e32 v11, 32, v11
	v_alignbit_b32 v6, v7, v6, 30
	v_xor_b32_e32 v10, v10, v18
	v_sub_u32_e32 v12, 31, v11
	v_xor_b32_e32 v6, v6, v18
	v_alignbit_b32 v13, v14, v10, v12
	v_alignbit_b32 v6, v10, v6, v12
	;; [unrolled: 1-line block ×3, first 2 shown]
	v_ffbh_u32_e32 v10, v7
	v_min_u32_e32 v10, 32, v10
	v_lshrrev_b32_e32 v15, 29, v9
	v_not_b32_e32 v12, v10
	v_alignbit_b32 v6, v7, v6, v12
	v_lshlrev_b32_e32 v7, 31, v15
	v_or_b32_e32 v12, 0x33000000, v7
	v_add_lshl_u32 v10, v10, v11, 23
	v_lshrrev_b32_e32 v6, 9, v6
	v_sub_u32_e32 v10, v12, v10
	v_or_b32_e32 v7, 0.5, v7
	v_lshlrev_b32_e32 v11, 23, v11
	v_or_b32_e32 v6, v10, v6
	v_lshrrev_b32_e32 v10, 9, v13
	v_sub_u32_e32 v7, v7, v11
	v_or_b32_e32 v7, v10, v7
	s_mov_b32 s0, 0x3fc90fda
	v_mul_f32_e32 v10, 0x3fc90fda, v7
	v_fma_f32 v11, v7, s0, -v10
	v_fmac_f32_e32 v11, 0x33a22168, v7
	v_fmac_f32_e32 v11, 0x3fc90fda, v6
	v_lshrrev_b32_e32 v6, 30, v9
	v_add_f32_e32 v7, v10, v11
	v_add_u32_e32 v6, v17, v6
.LBB11_30:
	s_andn2_saveexec_b64 s[0:1], s[14:15]
	s_cbranch_execz .LBB11_32
; %bb.31:
	s_mov_b32 s2, 0x3f22f983
	v_mul_f32_e64 v6, |v5|, s2
	v_rndne_f32_e32 v9, v6
	s_mov_b32 s2, 0xbfc90fda
	v_cvt_i32_f32_e32 v6, v9
	v_fma_f32 v7, v9, s2, |v5|
	v_fmac_f32_e32 v7, 0xb3a22168, v9
	v_fmac_f32_e32 v7, 0xa7c234c4, v9
.LBB11_32:
	s_or_b64 exec, exec, s[0:1]
	v_mul_f32_e32 v9, v7, v7
	v_mov_b32_e32 v10, 0x3c0881c4
	v_fmac_f32_e32 v10, 0xb94c1982, v9
	v_mov_b32_e32 v11, 0xbe2aaa9d
	v_fmac_f32_e32 v11, v9, v10
	v_mul_f32_e32 v10, v9, v11
	v_fmac_f32_e32 v7, v7, v10
	v_mov_b32_e32 v10, 0xbab64f3b
	v_fmac_f32_e32 v10, 0x37d75334, v9
	v_mov_b32_e32 v11, 0x3d2aabf7
	v_fmac_f32_e32 v11, v9, v10
	v_mov_b32_e32 v10, 0xbf000004
	v_fmac_f32_e32 v10, v9, v11
	v_fma_f32 v9, v9, v10, 1.0
	v_and_b32_e32 v10, 1, v6
	v_lshlrev_b32_e32 v6, 30, v6
	v_cmp_eq_u32_e64 s[0:1], 0, v10
	v_and_b32_e32 v6, 0x80000000, v6
	v_xor_b32_e32 v3, v3, v5
	v_cndmask_b32_e64 v7, v9, v7, s[0:1]
	v_xor_b32_e32 v3, v3, v6
	s_movk_i32 s0, 0x1f8
	v_xor_b32_e32 v3, v3, v7
	v_mov_b32_e32 v6, 0x7fc00000
	v_cmp_class_f32_e64 s[0:1], v5, s0
	v_mov_b32_e32 v9, 0
	v_cndmask_b32_e64 v3, v6, v3, s[0:1]
	v_mov_b32_e32 v7, v9
	v_mov_b32_e32 v6, v9
.LBB11_33:
	s_or_b64 exec, exec, s[10:11]
	s_waitcnt vmcnt(0)
	v_or_b32_e32 v5, 0x100, v0
	v_cmp_gt_i32_e64 s[0:1], s16, v5
	s_and_saveexec_b64 s[10:11], s[0:1]
	s_cbranch_execz .LBB11_39
; %bb.34:
	s_brev_b32 s0, 18
	v_and_b32_e32 v9, 0x7fffffff, v8
	v_cmp_nlt_f32_e64 s[0:1], |v8|, s0
                                        ; implicit-def: $vgpr10
                                        ; implicit-def: $vgpr11
	s_and_saveexec_b64 s[2:3], s[0:1]
	s_xor_b64 s[14:15], exec, s[2:3]
	s_cbranch_execz .LBB11_36
; %bb.35:
	v_and_b32_e32 v10, 0x7fffff, v9
	v_or_b32_e32 v19, 0x800000, v10
	s_mov_b32 s0, 0xfe5163ab
	v_mad_u64_u32 v[10:11], s[0:1], v19, s0, 0
	v_mov_b32_e32 v12, 0
	s_mov_b32 s0, 0x3c439041
	v_mad_u64_u32 v[13:14], s[0:1], v19, s0, v[11:12]
	s_mov_b32 s0, 0xdb629599
	v_not_b32_e32 v18, 63
	v_mov_b32_e32 v11, v14
	v_mad_u64_u32 v[14:15], s[0:1], v19, s0, v[11:12]
	s_mov_b32 s0, 0xf534ddc0
	s_mov_b32 s2, 0x4e441529
	v_mov_b32_e32 v11, v15
	v_mad_u64_u32 v[15:16], s[0:1], v19, s0, v[11:12]
	v_lshrrev_b32_e32 v11, 23, v9
	v_add_u32_e32 v20, 0xffffff88, v11
	v_mov_b32_e32 v11, v16
	s_mov_b32 s0, 0xfc2757d1
	v_mad_u64_u32 v[16:17], s[0:1], v19, s0, v[11:12]
	v_cmp_lt_u32_e64 s[0:1], 63, v20
	v_cndmask_b32_e64 v11, 0, v18, s[0:1]
	v_add_u32_e32 v20, v11, v20
	v_mov_b32_e32 v11, v17
	v_mad_u64_u32 v[17:18], s[2:3], v19, s2, v[11:12]
	v_not_b32_e32 v21, 31
	v_cmp_lt_u32_e64 s[2:3], 31, v20
	v_cndmask_b32_e64 v11, 0, v21, s[2:3]
	v_add_u32_e32 v20, v11, v20
	v_mov_b32_e32 v11, v18
	s_mov_b32 s4, 0xa2f9836e
	v_mad_u64_u32 v[11:12], s[4:5], v19, s4, v[11:12]
	v_cmp_lt_u32_e64 s[4:5], 31, v20
	v_cndmask_b32_e64 v18, 0, v21, s[4:5]
	v_cndmask_b32_e64 v19, v17, v15, s[0:1]
	;; [unrolled: 1-line block ×4, first 2 shown]
	v_add_u32_e32 v18, v18, v20
	v_cndmask_b32_e64 v20, v11, v19, s[2:3]
	v_cndmask_b32_e64 v11, v12, v11, s[2:3]
	;; [unrolled: 1-line block ×6, first 2 shown]
	v_sub_u32_e32 v19, 32, v18
	v_alignbit_b32 v20, v11, v17, v19
	v_cmp_eq_u32_e64 s[6:7], 0, v18
	v_cndmask_b32_e64 v18, v20, v11, s[6:7]
	v_cndmask_b32_e64 v11, v15, v13, s[0:1]
	;; [unrolled: 1-line block ×4, first 2 shown]
	v_alignbit_b32 v15, v17, v13, v19
	v_cndmask_b32_e64 v10, v14, v10, s[0:1]
	v_cndmask_b32_e64 v15, v15, v17, s[6:7]
	v_bfe_u32 v20, v18, 29, 1
	v_cndmask_b32_e64 v10, v11, v10, s[2:3]
	v_alignbit_b32 v16, v18, v15, 30
	v_sub_u32_e32 v21, 0, v20
	v_cndmask_b32_e64 v10, v12, v10, s[4:5]
	v_xor_b32_e32 v16, v16, v21
	v_alignbit_b32 v11, v13, v10, v19
	v_cndmask_b32_e64 v11, v11, v13, s[6:7]
	v_ffbh_u32_e32 v13, v16
	v_alignbit_b32 v12, v15, v11, 30
	v_min_u32_e32 v13, 32, v13
	v_alignbit_b32 v10, v11, v10, 30
	v_xor_b32_e32 v12, v12, v21
	v_sub_u32_e32 v14, 31, v13
	v_xor_b32_e32 v10, v10, v21
	v_alignbit_b32 v15, v16, v12, v14
	v_alignbit_b32 v10, v12, v10, v14
	v_alignbit_b32 v11, v15, v10, 9
	v_ffbh_u32_e32 v12, v11
	v_min_u32_e32 v12, 32, v12
	v_lshrrev_b32_e32 v17, 29, v18
	v_not_b32_e32 v14, v12
	v_alignbit_b32 v10, v11, v10, v14
	v_lshlrev_b32_e32 v11, 31, v17
	v_or_b32_e32 v14, 0x33000000, v11
	v_add_lshl_u32 v12, v12, v13, 23
	v_lshrrev_b32_e32 v10, 9, v10
	v_sub_u32_e32 v12, v14, v12
	v_or_b32_e32 v11, 0.5, v11
	v_lshlrev_b32_e32 v13, 23, v13
	v_or_b32_e32 v10, v12, v10
	v_lshrrev_b32_e32 v12, 9, v15
	v_sub_u32_e32 v11, v11, v13
	v_or_b32_e32 v11, v12, v11
	s_mov_b32 s0, 0x3fc90fda
	v_mul_f32_e32 v12, 0x3fc90fda, v11
	v_fma_f32 v13, v11, s0, -v12
	v_fmac_f32_e32 v13, 0x33a22168, v11
	v_fmac_f32_e32 v13, 0x3fc90fda, v10
	v_lshrrev_b32_e32 v10, 30, v18
	v_add_f32_e32 v11, v12, v13
	v_add_u32_e32 v10, v20, v10
.LBB11_36:
	s_andn2_saveexec_b64 s[0:1], s[14:15]
	s_cbranch_execz .LBB11_38
; %bb.37:
	s_mov_b32 s2, 0x3f22f983
	v_mul_f32_e64 v10, |v8|, s2
	v_rndne_f32_e32 v12, v10
	s_mov_b32 s2, 0xbfc90fda
	v_cvt_i32_f32_e32 v10, v12
	v_fma_f32 v11, v12, s2, |v8|
	v_fmac_f32_e32 v11, 0xb3a22168, v12
	v_fmac_f32_e32 v11, 0xa7c234c4, v12
.LBB11_38:
	s_or_b64 exec, exec, s[0:1]
	v_mul_f32_e32 v12, v11, v11
	v_mov_b32_e32 v13, 0x3c0881c4
	v_fmac_f32_e32 v13, 0xb94c1982, v12
	v_mov_b32_e32 v14, 0xbe2aaa9d
	v_fmac_f32_e32 v14, v12, v13
	v_mul_f32_e32 v13, v12, v14
	v_fmac_f32_e32 v11, v11, v13
	v_mov_b32_e32 v13, 0xbab64f3b
	v_fmac_f32_e32 v13, 0x37d75334, v12
	v_mov_b32_e32 v14, 0x3d2aabf7
	;; [unrolled: 2-line block ×3, first 2 shown]
	v_fmac_f32_e32 v13, v12, v14
	v_fma_f32 v12, v12, v13, 1.0
	v_and_b32_e32 v13, 1, v10
	v_lshlrev_b32_e32 v10, 30, v10
	v_cmp_eq_u32_e64 s[0:1], 0, v13
	v_and_b32_e32 v10, 0x80000000, v10
	v_xor_b32_e32 v9, v9, v8
	v_cndmask_b32_e64 v11, v12, v11, s[0:1]
	v_xor_b32_e32 v9, v9, v10
	s_movk_i32 s0, 0x1f8
	v_xor_b32_e32 v9, v9, v11
	v_mov_b32_e32 v10, 0x7fc00000
	v_cmp_class_f32_e64 s[0:1], v8, s0
	v_cndmask_b32_e64 v9, v10, v9, s[0:1]
.LBB11_39:
	s_or_b64 exec, exec, s[10:11]
	v_or_b32_e32 v8, 0x200, v0
	v_cmp_gt_i32_e64 s[0:1], s16, v8
	s_and_saveexec_b64 s[10:11], s[0:1]
	s_cbranch_execz .LBB11_45
; %bb.40:
	s_brev_b32 s0, 18
	v_and_b32_e32 v7, 0x7fffffff, v4
	v_cmp_nlt_f32_e64 s[0:1], |v4|, s0
                                        ; implicit-def: $vgpr8
                                        ; implicit-def: $vgpr10
	s_and_saveexec_b64 s[2:3], s[0:1]
	s_xor_b64 s[14:15], exec, s[2:3]
	s_cbranch_execz .LBB11_42
; %bb.41:
	v_and_b32_e32 v8, 0x7fffff, v7
	v_or_b32_e32 v8, 0x800000, v8
	s_mov_b32 s0, 0xfe5163ab
	v_mad_u64_u32 v[10:11], s[0:1], v8, s0, 0
	v_mov_b32_e32 v12, 0
	s_mov_b32 s0, 0x3c439041
	v_mad_u64_u32 v[13:14], s[0:1], v8, s0, v[11:12]
	s_mov_b32 s0, 0xdb629599
	v_not_b32_e32 v18, 63
	v_mov_b32_e32 v11, v14
	v_mad_u64_u32 v[14:15], s[0:1], v8, s0, v[11:12]
	s_mov_b32 s0, 0xf534ddc0
	s_mov_b32 s2, 0x4e441529
	v_mov_b32_e32 v11, v15
	v_mad_u64_u32 v[15:16], s[0:1], v8, s0, v[11:12]
	v_lshrrev_b32_e32 v11, 23, v7
	v_add_u32_e32 v19, 0xffffff88, v11
	v_mov_b32_e32 v11, v16
	s_mov_b32 s0, 0xfc2757d1
	v_mad_u64_u32 v[16:17], s[0:1], v8, s0, v[11:12]
	v_cmp_lt_u32_e64 s[0:1], 63, v19
	v_cndmask_b32_e64 v11, 0, v18, s[0:1]
	v_add_u32_e32 v19, v11, v19
	v_mov_b32_e32 v11, v17
	v_mad_u64_u32 v[17:18], s[2:3], v8, s2, v[11:12]
	v_not_b32_e32 v20, 31
	v_cmp_lt_u32_e64 s[2:3], 31, v19
	v_cndmask_b32_e64 v11, 0, v20, s[2:3]
	v_add_u32_e32 v19, v11, v19
	v_mov_b32_e32 v11, v18
	s_mov_b32 s4, 0xa2f9836e
	v_mad_u64_u32 v[11:12], s[4:5], v8, s4, v[11:12]
	v_cmp_lt_u32_e64 s[4:5], 31, v19
	v_cndmask_b32_e64 v8, 0, v20, s[4:5]
	v_cndmask_b32_e64 v18, v17, v15, s[0:1]
	;; [unrolled: 1-line block ×4, first 2 shown]
	v_add_u32_e32 v8, v8, v19
	v_cndmask_b32_e64 v19, v11, v18, s[2:3]
	v_cndmask_b32_e64 v11, v12, v11, s[2:3]
	;; [unrolled: 1-line block ×6, first 2 shown]
	v_sub_u32_e32 v18, 32, v8
	v_alignbit_b32 v19, v11, v17, v18
	v_cmp_eq_u32_e64 s[6:7], 0, v8
	v_cndmask_b32_e64 v8, v19, v11, s[6:7]
	v_cndmask_b32_e64 v11, v15, v13, s[0:1]
	;; [unrolled: 1-line block ×4, first 2 shown]
	v_alignbit_b32 v15, v17, v13, v18
	v_cndmask_b32_e64 v10, v14, v10, s[0:1]
	v_cndmask_b32_e64 v15, v15, v17, s[6:7]
	v_bfe_u32 v19, v8, 29, 1
	v_cndmask_b32_e64 v10, v11, v10, s[2:3]
	v_alignbit_b32 v16, v8, v15, 30
	v_sub_u32_e32 v20, 0, v19
	v_cndmask_b32_e64 v10, v12, v10, s[4:5]
	v_xor_b32_e32 v16, v16, v20
	v_alignbit_b32 v11, v13, v10, v18
	v_cndmask_b32_e64 v11, v11, v13, s[6:7]
	v_ffbh_u32_e32 v13, v16
	v_alignbit_b32 v12, v15, v11, 30
	v_min_u32_e32 v13, 32, v13
	v_alignbit_b32 v10, v11, v10, 30
	v_xor_b32_e32 v12, v12, v20
	v_sub_u32_e32 v14, 31, v13
	v_xor_b32_e32 v10, v10, v20
	v_alignbit_b32 v15, v16, v12, v14
	v_alignbit_b32 v10, v12, v10, v14
	;; [unrolled: 1-line block ×3, first 2 shown]
	v_ffbh_u32_e32 v12, v11
	v_min_u32_e32 v12, 32, v12
	v_lshrrev_b32_e32 v17, 29, v8
	v_not_b32_e32 v14, v12
	v_alignbit_b32 v10, v11, v10, v14
	v_lshlrev_b32_e32 v11, 31, v17
	v_or_b32_e32 v14, 0x33000000, v11
	v_add_lshl_u32 v12, v12, v13, 23
	v_lshrrev_b32_e32 v10, 9, v10
	v_sub_u32_e32 v12, v14, v12
	v_or_b32_e32 v11, 0.5, v11
	v_lshlrev_b32_e32 v13, 23, v13
	v_or_b32_e32 v10, v12, v10
	v_lshrrev_b32_e32 v12, 9, v15
	v_sub_u32_e32 v11, v11, v13
	v_or_b32_e32 v11, v12, v11
	s_mov_b32 s0, 0x3fc90fda
	v_mul_f32_e32 v12, 0x3fc90fda, v11
	v_fma_f32 v13, v11, s0, -v12
	v_fmac_f32_e32 v13, 0x33a22168, v11
	v_fmac_f32_e32 v13, 0x3fc90fda, v10
	v_lshrrev_b32_e32 v8, 30, v8
	v_add_f32_e32 v10, v12, v13
	v_add_u32_e32 v8, v19, v8
.LBB11_42:
	s_andn2_saveexec_b64 s[0:1], s[14:15]
	s_cbranch_execz .LBB11_44
; %bb.43:
	s_mov_b32 s2, 0x3f22f983
	v_mul_f32_e64 v8, |v4|, s2
	v_rndne_f32_e32 v11, v8
	s_mov_b32 s2, 0xbfc90fda
	v_cvt_i32_f32_e32 v8, v11
	v_fma_f32 v10, v11, s2, |v4|
	v_fmac_f32_e32 v10, 0xb3a22168, v11
	v_fmac_f32_e32 v10, 0xa7c234c4, v11
.LBB11_44:
	s_or_b64 exec, exec, s[0:1]
	v_mul_f32_e32 v11, v10, v10
	v_mov_b32_e32 v12, 0x3c0881c4
	v_fmac_f32_e32 v12, 0xb94c1982, v11
	v_mov_b32_e32 v13, 0xbe2aaa9d
	v_fmac_f32_e32 v13, v11, v12
	v_mul_f32_e32 v12, v11, v13
	v_fmac_f32_e32 v10, v10, v12
	v_mov_b32_e32 v12, 0xbab64f3b
	v_fmac_f32_e32 v12, 0x37d75334, v11
	v_mov_b32_e32 v13, 0x3d2aabf7
	;; [unrolled: 2-line block ×3, first 2 shown]
	v_fmac_f32_e32 v12, v11, v13
	v_fma_f32 v11, v11, v12, 1.0
	v_and_b32_e32 v12, 1, v8
	v_lshlrev_b32_e32 v8, 30, v8
	v_cmp_eq_u32_e64 s[0:1], 0, v12
	v_and_b32_e32 v8, 0x80000000, v8
	v_xor_b32_e32 v7, v7, v4
	v_cndmask_b32_e64 v10, v11, v10, s[0:1]
	v_xor_b32_e32 v7, v7, v8
	s_movk_i32 s0, 0x1f8
	v_xor_b32_e32 v7, v7, v10
	v_mov_b32_e32 v8, 0x7fc00000
	v_cmp_class_f32_e64 s[0:1], v4, s0
	v_cndmask_b32_e64 v7, v8, v7, s[0:1]
.LBB11_45:
	s_or_b64 exec, exec, s[10:11]
	v_or_b32_e32 v4, 0x300, v0
	v_cmp_gt_i32_e64 s[0:1], s16, v4
	s_and_saveexec_b64 s[10:11], s[0:1]
	s_cbranch_execnz .LBB11_52
; %bb.46:
	s_or_b64 exec, exec, s[10:11]
	s_and_saveexec_b64 s[0:1], vcc
	s_xor_b64 s[0:1], exec, s[0:1]
	s_cbranch_execnz .LBB11_57
.LBB11_47:
	s_or_b64 exec, exec, s[0:1]
	v_cmp_gt_i32_e32 vcc, s16, v0
	s_and_saveexec_b64 s[0:1], vcc
	s_cbranch_execnz .LBB11_58
.LBB11_48:
	s_or_b64 exec, exec, s[0:1]
	v_cmp_gt_i32_e32 vcc, s16, v0
	s_and_saveexec_b64 s[0:1], vcc
	s_cbranch_execnz .LBB11_59
.LBB11_49:
	s_or_b64 exec, exec, s[0:1]
	v_cmp_gt_i32_e32 vcc, s16, v0
	s_and_saveexec_b64 s[0:1], vcc
	s_cbranch_execz .LBB11_51
.LBB11_50:
	v_add_u32_e32 v0, s12, v0
	v_mov_b32_e32 v1, 0
	v_lshlrev_b64 v[0:1], 2, v[0:1]
	v_mov_b32_e32 v2, s9
	v_add_co_u32_e32 v0, vcc, s8, v0
	v_addc_co_u32_e32 v1, vcc, v2, v1, vcc
	global_store_dword v[0:1], v6, off
.LBB11_51:
	s_endpgm
.LBB11_52:
	s_brev_b32 s0, 18
	v_and_b32_e32 v4, 0x7fffffff, v2
	v_cmp_nlt_f32_e64 s[0:1], |v2|, s0
                                        ; implicit-def: $vgpr6
                                        ; implicit-def: $vgpr8
	s_and_saveexec_b64 s[2:3], s[0:1]
	s_xor_b64 s[14:15], exec, s[2:3]
	s_cbranch_execz .LBB11_54
; %bb.53:
	v_and_b32_e32 v6, 0x7fffff, v4
	v_or_b32_e32 v6, 0x800000, v6
	s_mov_b32 s0, 0xfe5163ab
	v_mad_u64_u32 v[10:11], s[0:1], v6, s0, 0
	v_mov_b32_e32 v12, 0
	s_mov_b32 s0, 0x3c439041
	v_mad_u64_u32 v[13:14], s[0:1], v6, s0, v[11:12]
	s_mov_b32 s0, 0xdb629599
	v_lshrrev_b32_e32 v8, 23, v4
	v_mov_b32_e32 v11, v14
	v_mad_u64_u32 v[14:15], s[0:1], v6, s0, v[11:12]
	s_mov_b32 s0, 0xf534ddc0
	v_add_u32_e32 v8, 0xffffff88, v8
	v_mov_b32_e32 v11, v15
	v_mad_u64_u32 v[15:16], s[0:1], v6, s0, v[11:12]
	s_mov_b32 s0, 0xfc2757d1
	v_not_b32_e32 v18, 63
	v_mov_b32_e32 v11, v16
	v_mad_u64_u32 v[16:17], s[0:1], v6, s0, v[11:12]
	v_cmp_lt_u32_e64 s[0:1], 63, v8
	v_cndmask_b32_e64 v11, 0, v18, s[0:1]
	v_add_u32_e32 v8, v11, v8
	v_mov_b32_e32 v11, v17
	s_mov_b32 s2, 0x4e441529
	v_mad_u64_u32 v[17:18], s[2:3], v6, s2, v[11:12]
	v_not_b32_e32 v19, 31
	v_cmp_lt_u32_e64 s[2:3], 31, v8
	v_cndmask_b32_e64 v11, 0, v19, s[2:3]
	v_add_u32_e32 v8, v11, v8
	v_mov_b32_e32 v11, v18
	s_mov_b32 s4, 0xa2f9836e
	v_mad_u64_u32 v[11:12], s[4:5], v6, s4, v[11:12]
	v_cmp_lt_u32_e64 s[4:5], 31, v8
	v_cndmask_b32_e64 v6, 0, v19, s[4:5]
	v_add_u32_e32 v6, v6, v8
	v_cndmask_b32_e64 v8, v17, v15, s[0:1]
	v_cndmask_b32_e64 v11, v11, v16, s[0:1]
	;; [unrolled: 1-line block ×9, first 2 shown]
	v_sub_u32_e32 v17, 32, v6
	v_alignbit_b32 v18, v11, v16, v17
	v_cmp_eq_u32_e64 s[6:7], 0, v6
	v_cndmask_b32_e64 v6, v18, v11, s[6:7]
	v_cndmask_b32_e64 v11, v15, v13, s[0:1]
	;; [unrolled: 1-line block ×4, first 2 shown]
	v_alignbit_b32 v13, v16, v8, v17
	v_cndmask_b32_e64 v10, v14, v10, s[0:1]
	v_cndmask_b32_e64 v13, v13, v16, s[6:7]
	v_bfe_u32 v18, v6, 29, 1
	v_cndmask_b32_e64 v10, v11, v10, s[2:3]
	v_alignbit_b32 v15, v6, v13, 30
	v_sub_u32_e32 v19, 0, v18
	v_cndmask_b32_e64 v10, v12, v10, s[4:5]
	v_xor_b32_e32 v15, v15, v19
	v_alignbit_b32 v11, v8, v10, v17
	v_cndmask_b32_e64 v8, v11, v8, s[6:7]
	v_ffbh_u32_e32 v12, v15
	v_alignbit_b32 v11, v13, v8, 30
	v_min_u32_e32 v12, 32, v12
	v_alignbit_b32 v8, v8, v10, 30
	v_xor_b32_e32 v11, v11, v19
	v_sub_u32_e32 v13, 31, v12
	v_xor_b32_e32 v8, v8, v19
	v_alignbit_b32 v14, v15, v11, v13
	v_alignbit_b32 v8, v11, v8, v13
	;; [unrolled: 1-line block ×3, first 2 shown]
	v_ffbh_u32_e32 v11, v10
	v_min_u32_e32 v11, 32, v11
	v_lshrrev_b32_e32 v16, 29, v6
	v_not_b32_e32 v13, v11
	v_alignbit_b32 v8, v10, v8, v13
	v_lshlrev_b32_e32 v10, 31, v16
	v_or_b32_e32 v13, 0x33000000, v10
	v_add_lshl_u32 v11, v11, v12, 23
	v_lshrrev_b32_e32 v8, 9, v8
	v_sub_u32_e32 v11, v13, v11
	v_or_b32_e32 v10, 0.5, v10
	v_lshlrev_b32_e32 v12, 23, v12
	v_or_b32_e32 v8, v11, v8
	v_lshrrev_b32_e32 v11, 9, v14
	v_sub_u32_e32 v10, v10, v12
	v_or_b32_e32 v10, v11, v10
	s_mov_b32 s0, 0x3fc90fda
	v_mul_f32_e32 v11, 0x3fc90fda, v10
	v_fma_f32 v12, v10, s0, -v11
	v_fmac_f32_e32 v12, 0x33a22168, v10
	v_fmac_f32_e32 v12, 0x3fc90fda, v8
	v_lshrrev_b32_e32 v6, 30, v6
	v_add_f32_e32 v8, v11, v12
	v_add_u32_e32 v6, v18, v6
.LBB11_54:
	s_andn2_saveexec_b64 s[0:1], s[14:15]
	s_cbranch_execz .LBB11_56
; %bb.55:
	s_mov_b32 s2, 0x3f22f983
	v_mul_f32_e64 v6, |v2|, s2
	v_rndne_f32_e32 v10, v6
	s_mov_b32 s2, 0xbfc90fda
	v_cvt_i32_f32_e32 v6, v10
	v_fma_f32 v8, v10, s2, |v2|
	v_fmac_f32_e32 v8, 0xb3a22168, v10
	v_fmac_f32_e32 v8, 0xa7c234c4, v10
.LBB11_56:
	s_or_b64 exec, exec, s[0:1]
	v_mul_f32_e32 v10, v8, v8
	v_mov_b32_e32 v11, 0x3c0881c4
	v_fmac_f32_e32 v11, 0xb94c1982, v10
	v_mov_b32_e32 v12, 0xbe2aaa9d
	v_fmac_f32_e32 v12, v10, v11
	v_mul_f32_e32 v11, v10, v12
	v_fmac_f32_e32 v8, v8, v11
	v_mov_b32_e32 v11, 0xbab64f3b
	v_fmac_f32_e32 v11, 0x37d75334, v10
	v_mov_b32_e32 v12, 0x3d2aabf7
	;; [unrolled: 2-line block ×3, first 2 shown]
	v_fmac_f32_e32 v11, v10, v12
	v_fma_f32 v10, v10, v11, 1.0
	v_and_b32_e32 v11, 1, v6
	v_lshlrev_b32_e32 v6, 30, v6
	v_cmp_eq_u32_e64 s[0:1], 0, v11
	v_and_b32_e32 v6, 0x80000000, v6
	v_xor_b32_e32 v4, v4, v2
	v_cndmask_b32_e64 v8, v10, v8, s[0:1]
	v_xor_b32_e32 v4, v4, v6
	s_movk_i32 s0, 0x1f8
	v_xor_b32_e32 v4, v4, v8
	v_mov_b32_e32 v6, 0x7fc00000
	v_cmp_class_f32_e64 s[0:1], v2, s0
	v_cndmask_b32_e64 v6, v6, v4, s[0:1]
	s_or_b64 exec, exec, s[10:11]
	s_and_saveexec_b64 s[0:1], vcc
	s_xor_b64 s[0:1], exec, s[0:1]
	s_cbranch_execz .LBB11_47
.LBB11_57:
	v_mov_b32_e32 v2, 0
	v_lshlrev_b64 v[0:1], 2, v[1:2]
	v_mov_b32_e32 v2, s9
	v_add_co_u32_e32 v0, vcc, s8, v0
	v_addc_co_u32_e32 v1, vcc, v2, v1, vcc
	global_store_dword v[0:1], v3, off
	v_mov_b32_e32 v0, v5
	s_or_b64 exec, exec, s[0:1]
	v_cmp_gt_i32_e32 vcc, s16, v0
	s_and_saveexec_b64 s[0:1], vcc
	s_cbranch_execz .LBB11_48
.LBB11_58:
	v_add_u32_e32 v1, s12, v0
	v_mov_b32_e32 v2, 0
	v_lshlrev_b64 v[1:2], 2, v[1:2]
	v_mov_b32_e32 v3, s9
	v_add_co_u32_e32 v1, vcc, s8, v1
	v_addc_co_u32_e32 v2, vcc, v3, v2, vcc
	v_add_u32_e32 v0, 0x100, v0
	global_store_dword v[1:2], v9, off
	s_or_b64 exec, exec, s[0:1]
	v_cmp_gt_i32_e32 vcc, s16, v0
	s_and_saveexec_b64 s[0:1], vcc
	s_cbranch_execz .LBB11_49
.LBB11_59:
	v_add_u32_e32 v1, s12, v0
	v_mov_b32_e32 v2, 0
	v_lshlrev_b64 v[1:2], 2, v[1:2]
	v_mov_b32_e32 v3, s9
	v_add_co_u32_e32 v1, vcc, s8, v1
	v_addc_co_u32_e32 v2, vcc, v3, v2, vcc
	v_add_u32_e32 v0, 0x100, v0
	global_store_dword v[1:2], v7, off
	s_or_b64 exec, exec, s[0:1]
	v_cmp_gt_i32_e32 vcc, s16, v0
	s_and_saveexec_b64 s[0:1], vcc
	s_cbranch_execnz .LBB11_50
	s_branch .LBB11_51
	.section	.rodata,"a",@progbits
	.p2align	6, 0x0
	.amdhsa_kernel _ZN2at6native29vectorized_elementwise_kernelILi2EZZZNS0_15sin_kernel_cudaERNS_18TensorIteratorBaseEENKUlvE0_clEvENKUlvE0_clEvEUlfE_St5arrayIPcLm2EEEEviT0_T1_
		.amdhsa_group_segment_fixed_size 0
		.amdhsa_private_segment_fixed_size 0
		.amdhsa_kernarg_size 24
		.amdhsa_user_sgpr_count 6
		.amdhsa_user_sgpr_private_segment_buffer 1
		.amdhsa_user_sgpr_dispatch_ptr 0
		.amdhsa_user_sgpr_queue_ptr 0
		.amdhsa_user_sgpr_kernarg_segment_ptr 1
		.amdhsa_user_sgpr_dispatch_id 0
		.amdhsa_user_sgpr_flat_scratch_init 0
		.amdhsa_user_sgpr_private_segment_size 0
		.amdhsa_uses_dynamic_stack 0
		.amdhsa_system_sgpr_private_segment_wavefront_offset 0
		.amdhsa_system_sgpr_workgroup_id_x 1
		.amdhsa_system_sgpr_workgroup_id_y 0
		.amdhsa_system_sgpr_workgroup_id_z 0
		.amdhsa_system_sgpr_workgroup_info 0
		.amdhsa_system_vgpr_workitem_id 0
		.amdhsa_next_free_vgpr 28
		.amdhsa_next_free_sgpr 17
		.amdhsa_reserve_vcc 1
		.amdhsa_reserve_flat_scratch 0
		.amdhsa_float_round_mode_32 0
		.amdhsa_float_round_mode_16_64 0
		.amdhsa_float_denorm_mode_32 3
		.amdhsa_float_denorm_mode_16_64 3
		.amdhsa_dx10_clamp 1
		.amdhsa_ieee_mode 1
		.amdhsa_fp16_overflow 0
		.amdhsa_exception_fp_ieee_invalid_op 0
		.amdhsa_exception_fp_denorm_src 0
		.amdhsa_exception_fp_ieee_div_zero 0
		.amdhsa_exception_fp_ieee_overflow 0
		.amdhsa_exception_fp_ieee_underflow 0
		.amdhsa_exception_fp_ieee_inexact 0
		.amdhsa_exception_int_div_zero 0
	.end_amdhsa_kernel
	.section	.text._ZN2at6native29vectorized_elementwise_kernelILi2EZZZNS0_15sin_kernel_cudaERNS_18TensorIteratorBaseEENKUlvE0_clEvENKUlvE0_clEvEUlfE_St5arrayIPcLm2EEEEviT0_T1_,"axG",@progbits,_ZN2at6native29vectorized_elementwise_kernelILi2EZZZNS0_15sin_kernel_cudaERNS_18TensorIteratorBaseEENKUlvE0_clEvENKUlvE0_clEvEUlfE_St5arrayIPcLm2EEEEviT0_T1_,comdat
.Lfunc_end11:
	.size	_ZN2at6native29vectorized_elementwise_kernelILi2EZZZNS0_15sin_kernel_cudaERNS_18TensorIteratorBaseEENKUlvE0_clEvENKUlvE0_clEvEUlfE_St5arrayIPcLm2EEEEviT0_T1_, .Lfunc_end11-_ZN2at6native29vectorized_elementwise_kernelILi2EZZZNS0_15sin_kernel_cudaERNS_18TensorIteratorBaseEENKUlvE0_clEvENKUlvE0_clEvEUlfE_St5arrayIPcLm2EEEEviT0_T1_
                                        ; -- End function
	.set _ZN2at6native29vectorized_elementwise_kernelILi2EZZZNS0_15sin_kernel_cudaERNS_18TensorIteratorBaseEENKUlvE0_clEvENKUlvE0_clEvEUlfE_St5arrayIPcLm2EEEEviT0_T1_.num_vgpr, 28
	.set _ZN2at6native29vectorized_elementwise_kernelILi2EZZZNS0_15sin_kernel_cudaERNS_18TensorIteratorBaseEENKUlvE0_clEvENKUlvE0_clEvEUlfE_St5arrayIPcLm2EEEEviT0_T1_.num_agpr, 0
	.set _ZN2at6native29vectorized_elementwise_kernelILi2EZZZNS0_15sin_kernel_cudaERNS_18TensorIteratorBaseEENKUlvE0_clEvENKUlvE0_clEvEUlfE_St5arrayIPcLm2EEEEviT0_T1_.numbered_sgpr, 17
	.set _ZN2at6native29vectorized_elementwise_kernelILi2EZZZNS0_15sin_kernel_cudaERNS_18TensorIteratorBaseEENKUlvE0_clEvENKUlvE0_clEvEUlfE_St5arrayIPcLm2EEEEviT0_T1_.num_named_barrier, 0
	.set _ZN2at6native29vectorized_elementwise_kernelILi2EZZZNS0_15sin_kernel_cudaERNS_18TensorIteratorBaseEENKUlvE0_clEvENKUlvE0_clEvEUlfE_St5arrayIPcLm2EEEEviT0_T1_.private_seg_size, 0
	.set _ZN2at6native29vectorized_elementwise_kernelILi2EZZZNS0_15sin_kernel_cudaERNS_18TensorIteratorBaseEENKUlvE0_clEvENKUlvE0_clEvEUlfE_St5arrayIPcLm2EEEEviT0_T1_.uses_vcc, 1
	.set _ZN2at6native29vectorized_elementwise_kernelILi2EZZZNS0_15sin_kernel_cudaERNS_18TensorIteratorBaseEENKUlvE0_clEvENKUlvE0_clEvEUlfE_St5arrayIPcLm2EEEEviT0_T1_.uses_flat_scratch, 0
	.set _ZN2at6native29vectorized_elementwise_kernelILi2EZZZNS0_15sin_kernel_cudaERNS_18TensorIteratorBaseEENKUlvE0_clEvENKUlvE0_clEvEUlfE_St5arrayIPcLm2EEEEviT0_T1_.has_dyn_sized_stack, 0
	.set _ZN2at6native29vectorized_elementwise_kernelILi2EZZZNS0_15sin_kernel_cudaERNS_18TensorIteratorBaseEENKUlvE0_clEvENKUlvE0_clEvEUlfE_St5arrayIPcLm2EEEEviT0_T1_.has_recursion, 0
	.set _ZN2at6native29vectorized_elementwise_kernelILi2EZZZNS0_15sin_kernel_cudaERNS_18TensorIteratorBaseEENKUlvE0_clEvENKUlvE0_clEvEUlfE_St5arrayIPcLm2EEEEviT0_T1_.has_indirect_call, 0
	.section	.AMDGPU.csdata,"",@progbits
; Kernel info:
; codeLenInByte = 7672
; TotalNumSgprs: 21
; NumVgprs: 28
; ScratchSize: 0
; MemoryBound: 0
; FloatMode: 240
; IeeeMode: 1
; LDSByteSize: 0 bytes/workgroup (compile time only)
; SGPRBlocks: 2
; VGPRBlocks: 6
; NumSGPRsForWavesPerEU: 21
; NumVGPRsForWavesPerEU: 28
; Occupancy: 9
; WaveLimiterHint : 1
; COMPUTE_PGM_RSRC2:SCRATCH_EN: 0
; COMPUTE_PGM_RSRC2:USER_SGPR: 6
; COMPUTE_PGM_RSRC2:TRAP_HANDLER: 0
; COMPUTE_PGM_RSRC2:TGID_X_EN: 1
; COMPUTE_PGM_RSRC2:TGID_Y_EN: 0
; COMPUTE_PGM_RSRC2:TGID_Z_EN: 0
; COMPUTE_PGM_RSRC2:TIDIG_COMP_CNT: 0
	.section	.text._ZN2at6native27unrolled_elementwise_kernelIZZZNS0_15sin_kernel_cudaERNS_18TensorIteratorBaseEENKUlvE0_clEvENKUlvE0_clEvEUlfE_St5arrayIPcLm2EELi4E23TrivialOffsetCalculatorILi1EjESB_NS0_6memory15LoadWithoutCastENSC_16StoreWithoutCastEEEviT_T0_T2_T3_T4_T5_,"axG",@progbits,_ZN2at6native27unrolled_elementwise_kernelIZZZNS0_15sin_kernel_cudaERNS_18TensorIteratorBaseEENKUlvE0_clEvENKUlvE0_clEvEUlfE_St5arrayIPcLm2EELi4E23TrivialOffsetCalculatorILi1EjESB_NS0_6memory15LoadWithoutCastENSC_16StoreWithoutCastEEEviT_T0_T2_T3_T4_T5_,comdat
	.globl	_ZN2at6native27unrolled_elementwise_kernelIZZZNS0_15sin_kernel_cudaERNS_18TensorIteratorBaseEENKUlvE0_clEvENKUlvE0_clEvEUlfE_St5arrayIPcLm2EELi4E23TrivialOffsetCalculatorILi1EjESB_NS0_6memory15LoadWithoutCastENSC_16StoreWithoutCastEEEviT_T0_T2_T3_T4_T5_ ; -- Begin function _ZN2at6native27unrolled_elementwise_kernelIZZZNS0_15sin_kernel_cudaERNS_18TensorIteratorBaseEENKUlvE0_clEvENKUlvE0_clEvEUlfE_St5arrayIPcLm2EELi4E23TrivialOffsetCalculatorILi1EjESB_NS0_6memory15LoadWithoutCastENSC_16StoreWithoutCastEEEviT_T0_T2_T3_T4_T5_
	.p2align	8
	.type	_ZN2at6native27unrolled_elementwise_kernelIZZZNS0_15sin_kernel_cudaERNS_18TensorIteratorBaseEENKUlvE0_clEvENKUlvE0_clEvEUlfE_St5arrayIPcLm2EELi4E23TrivialOffsetCalculatorILi1EjESB_NS0_6memory15LoadWithoutCastENSC_16StoreWithoutCastEEEviT_T0_T2_T3_T4_T5_,@function
_ZN2at6native27unrolled_elementwise_kernelIZZZNS0_15sin_kernel_cudaERNS_18TensorIteratorBaseEENKUlvE0_clEvENKUlvE0_clEvEUlfE_St5arrayIPcLm2EELi4E23TrivialOffsetCalculatorILi1EjESB_NS0_6memory15LoadWithoutCastENSC_16StoreWithoutCastEEEviT_T0_T2_T3_T4_T5_: ; @_ZN2at6native27unrolled_elementwise_kernelIZZZNS0_15sin_kernel_cudaERNS_18TensorIteratorBaseEENKUlvE0_clEvENKUlvE0_clEvEUlfE_St5arrayIPcLm2EELi4E23TrivialOffsetCalculatorILi1EjESB_NS0_6memory15LoadWithoutCastENSC_16StoreWithoutCastEEEviT_T0_T2_T3_T4_T5_
; %bb.0:
	s_load_dword s0, s[4:5], 0x0
	s_load_dwordx4 s[8:11], s[4:5], 0x8
	s_lshl_b32 s14, s6, 10
	v_mov_b32_e32 v8, 0
	v_or_b32_e32 v1, s14, v0
	s_waitcnt lgkmcnt(0)
	s_sub_i32 s15, s0, s14
	v_cmp_gt_i32_e32 vcc, s15, v0
	v_mov_b32_e32 v5, 0
	v_mov_b32_e32 v3, v0
	s_and_saveexec_b64 s[2:3], vcc
	s_cbranch_execz .LBB12_2
; %bb.1:
	v_mov_b32_e32 v2, 0
	v_lshlrev_b64 v[2:3], 2, v[1:2]
	v_mov_b32_e32 v4, s11
	v_add_co_u32_e64 v2, s[0:1], s10, v2
	v_addc_co_u32_e64 v3, s[0:1], v4, v3, s[0:1]
	global_load_dword v5, v[2:3], off
	v_or_b32_e32 v3, 0x100, v0
.LBB12_2:
	s_or_b64 exec, exec, s[2:3]
	v_cmp_gt_i32_e64 s[0:1], s15, v3
	s_and_saveexec_b64 s[2:3], s[0:1]
	s_cbranch_execz .LBB12_4
; %bb.3:
	v_add_u32_e32 v6, s14, v3
	v_mov_b32_e32 v7, 0
	v_lshlrev_b64 v[6:7], 2, v[6:7]
	v_mov_b32_e32 v2, s11
	v_add_co_u32_e64 v6, s[0:1], s10, v6
	v_addc_co_u32_e64 v7, s[0:1], v2, v7, s[0:1]
	global_load_dword v8, v[6:7], off
	v_add_u32_e32 v3, 0x100, v3
.LBB12_4:
	s_or_b64 exec, exec, s[2:3]
	v_cmp_gt_i32_e64 s[0:1], s15, v3
	v_mov_b32_e32 v2, 0
	v_mov_b32_e32 v4, 0
	s_and_saveexec_b64 s[2:3], s[0:1]
	s_cbranch_execz .LBB12_6
; %bb.5:
	v_add_u32_e32 v6, s14, v3
	v_mov_b32_e32 v7, 0
	v_lshlrev_b64 v[6:7], 2, v[6:7]
	v_mov_b32_e32 v4, s11
	v_add_co_u32_e64 v6, s[0:1], s10, v6
	v_addc_co_u32_e64 v7, s[0:1], v4, v7, s[0:1]
	global_load_dword v4, v[6:7], off
	v_add_u32_e32 v3, 0x100, v3
.LBB12_6:
	s_or_b64 exec, exec, s[2:3]
	v_cmp_gt_i32_e64 s[0:1], s15, v3
	s_and_saveexec_b64 s[2:3], s[0:1]
	s_cbranch_execz .LBB12_8
; %bb.7:
	v_add_u32_e32 v2, s14, v3
	v_mov_b32_e32 v3, 0
	v_lshlrev_b64 v[2:3], 2, v[2:3]
	v_mov_b32_e32 v6, s11
	v_add_co_u32_e64 v2, s[0:1], s10, v2
	v_addc_co_u32_e64 v3, s[0:1], v6, v3, s[0:1]
	global_load_dword v2, v[2:3], off
.LBB12_8:
	s_or_b64 exec, exec, s[2:3]
	v_mov_b32_e32 v3, 0
	v_mov_b32_e32 v9, v3
	;; [unrolled: 1-line block ×4, first 2 shown]
	s_and_saveexec_b64 s[10:11], vcc
	s_cbranch_execz .LBB12_14
; %bb.9:
	s_brev_b32 s0, 18
	s_waitcnt vmcnt(0)
	v_and_b32_e32 v3, 0x7fffffff, v5
	v_cmp_nlt_f32_e64 s[0:1], |v5|, s0
                                        ; implicit-def: $vgpr6
                                        ; implicit-def: $vgpr7
	s_and_saveexec_b64 s[2:3], s[0:1]
	s_xor_b64 s[12:13], exec, s[2:3]
	s_cbranch_execz .LBB12_11
; %bb.10:
	v_and_b32_e32 v6, 0x7fffff, v3
	v_or_b32_e32 v17, 0x800000, v6
	s_mov_b32 s0, 0xfe5163ab
	v_mad_u64_u32 v[6:7], s[0:1], v17, s0, 0
	v_mov_b32_e32 v10, 0
	s_mov_b32 s0, 0x3c439041
	v_mov_b32_e32 v9, v7
	v_mad_u64_u32 v[11:12], s[0:1], v17, s0, v[9:10]
	s_mov_b32 s0, 0xdb629599
	v_lshrrev_b32_e32 v7, 23, v3
	v_mov_b32_e32 v9, v12
	v_mad_u64_u32 v[12:13], s[0:1], v17, s0, v[9:10]
	s_mov_b32 s0, 0xf534ddc0
	v_add_u32_e32 v7, 0xffffff88, v7
	v_mov_b32_e32 v9, v13
	v_mad_u64_u32 v[13:14], s[0:1], v17, s0, v[9:10]
	s_mov_b32 s0, 0xfc2757d1
	v_not_b32_e32 v16, 63
	v_mov_b32_e32 v9, v14
	v_mad_u64_u32 v[14:15], s[0:1], v17, s0, v[9:10]
	v_cmp_lt_u32_e64 s[0:1], 63, v7
	v_cndmask_b32_e64 v9, 0, v16, s[0:1]
	v_add_u32_e32 v7, v9, v7
	v_mov_b32_e32 v9, v15
	s_mov_b32 s2, 0x4e441529
	v_mad_u64_u32 v[15:16], s[2:3], v17, s2, v[9:10]
	v_not_b32_e32 v18, 31
	v_cmp_lt_u32_e64 s[2:3], 31, v7
	v_cndmask_b32_e64 v9, 0, v18, s[2:3]
	v_add_u32_e32 v7, v9, v7
	v_mov_b32_e32 v9, v16
	s_mov_b32 s4, 0xa2f9836e
	v_mad_u64_u32 v[9:10], s[4:5], v17, s4, v[9:10]
	v_cmp_lt_u32_e64 s[4:5], 31, v7
	v_cndmask_b32_e64 v16, 0, v18, s[4:5]
	v_add_u32_e32 v7, v16, v7
	v_cndmask_b32_e64 v16, v15, v13, s[0:1]
	v_cndmask_b32_e64 v9, v9, v14, s[0:1]
	;; [unrolled: 1-line block ×7, first 2 shown]
	v_sub_u32_e32 v16, 32, v7
	v_cmp_eq_u32_e64 s[6:7], 0, v7
	v_cndmask_b32_e64 v7, v13, v11, s[0:1]
	v_cndmask_b32_e64 v9, v9, v17, s[4:5]
	;; [unrolled: 1-line block ×4, first 2 shown]
	v_alignbit_b32 v17, v9, v15, v16
	v_cndmask_b32_e64 v11, v14, v10, s[4:5]
	v_cndmask_b32_e64 v9, v17, v9, s[6:7]
	v_alignbit_b32 v13, v15, v11, v16
	v_cndmask_b32_e64 v6, v12, v6, s[0:1]
	v_cndmask_b32_e64 v13, v13, v15, s[6:7]
	v_bfe_u32 v17, v9, 29, 1
	v_cndmask_b32_e64 v6, v7, v6, s[2:3]
	v_alignbit_b32 v14, v9, v13, 30
	v_sub_u32_e32 v18, 0, v17
	v_cndmask_b32_e64 v6, v10, v6, s[4:5]
	v_xor_b32_e32 v14, v14, v18
	v_alignbit_b32 v7, v11, v6, v16
	v_cndmask_b32_e64 v7, v7, v11, s[6:7]
	v_ffbh_u32_e32 v11, v14
	v_alignbit_b32 v10, v13, v7, 30
	v_min_u32_e32 v11, 32, v11
	v_alignbit_b32 v6, v7, v6, 30
	v_xor_b32_e32 v10, v10, v18
	v_sub_u32_e32 v12, 31, v11
	v_xor_b32_e32 v6, v6, v18
	v_alignbit_b32 v13, v14, v10, v12
	v_alignbit_b32 v6, v10, v6, v12
	;; [unrolled: 1-line block ×3, first 2 shown]
	v_ffbh_u32_e32 v10, v7
	v_min_u32_e32 v10, 32, v10
	v_lshrrev_b32_e32 v15, 29, v9
	v_not_b32_e32 v12, v10
	v_alignbit_b32 v6, v7, v6, v12
	v_lshlrev_b32_e32 v7, 31, v15
	v_or_b32_e32 v12, 0x33000000, v7
	v_add_lshl_u32 v10, v10, v11, 23
	v_lshrrev_b32_e32 v6, 9, v6
	v_sub_u32_e32 v10, v12, v10
	v_or_b32_e32 v7, 0.5, v7
	v_lshlrev_b32_e32 v11, 23, v11
	v_or_b32_e32 v6, v10, v6
	v_lshrrev_b32_e32 v10, 9, v13
	v_sub_u32_e32 v7, v7, v11
	v_or_b32_e32 v7, v10, v7
	s_mov_b32 s0, 0x3fc90fda
	v_mul_f32_e32 v10, 0x3fc90fda, v7
	v_fma_f32 v11, v7, s0, -v10
	v_fmac_f32_e32 v11, 0x33a22168, v7
	v_fmac_f32_e32 v11, 0x3fc90fda, v6
	v_lshrrev_b32_e32 v6, 30, v9
	v_add_f32_e32 v7, v10, v11
	v_add_u32_e32 v6, v17, v6
.LBB12_11:
	s_andn2_saveexec_b64 s[0:1], s[12:13]
	s_cbranch_execz .LBB12_13
; %bb.12:
	s_mov_b32 s2, 0x3f22f983
	v_mul_f32_e64 v6, |v5|, s2
	v_rndne_f32_e32 v9, v6
	s_mov_b32 s2, 0xbfc90fda
	v_cvt_i32_f32_e32 v6, v9
	v_fma_f32 v7, v9, s2, |v5|
	v_fmac_f32_e32 v7, 0xb3a22168, v9
	v_fmac_f32_e32 v7, 0xa7c234c4, v9
.LBB12_13:
	s_or_b64 exec, exec, s[0:1]
	v_mul_f32_e32 v9, v7, v7
	v_mov_b32_e32 v10, 0x3c0881c4
	v_fmac_f32_e32 v10, 0xb94c1982, v9
	v_mov_b32_e32 v11, 0xbe2aaa9d
	v_fmac_f32_e32 v11, v9, v10
	v_mul_f32_e32 v10, v9, v11
	v_fmac_f32_e32 v7, v7, v10
	v_mov_b32_e32 v10, 0xbab64f3b
	v_fmac_f32_e32 v10, 0x37d75334, v9
	v_mov_b32_e32 v11, 0x3d2aabf7
	;; [unrolled: 2-line block ×3, first 2 shown]
	v_fmac_f32_e32 v10, v9, v11
	v_fma_f32 v9, v9, v10, 1.0
	v_and_b32_e32 v10, 1, v6
	v_lshlrev_b32_e32 v6, 30, v6
	v_cmp_eq_u32_e64 s[0:1], 0, v10
	v_and_b32_e32 v6, 0x80000000, v6
	v_xor_b32_e32 v3, v3, v5
	v_cndmask_b32_e64 v7, v9, v7, s[0:1]
	v_xor_b32_e32 v3, v3, v6
	s_movk_i32 s0, 0x1f8
	v_xor_b32_e32 v3, v3, v7
	v_mov_b32_e32 v6, 0x7fc00000
	v_cmp_class_f32_e64 s[0:1], v5, s0
	v_mov_b32_e32 v9, 0
	v_cndmask_b32_e64 v3, v6, v3, s[0:1]
	v_mov_b32_e32 v7, v9
	v_mov_b32_e32 v6, v9
.LBB12_14:
	s_or_b64 exec, exec, s[10:11]
	s_waitcnt vmcnt(0)
	v_or_b32_e32 v5, 0x100, v0
	v_cmp_gt_i32_e64 s[0:1], s15, v5
	s_and_saveexec_b64 s[10:11], s[0:1]
	s_cbranch_execz .LBB12_20
; %bb.15:
	s_brev_b32 s0, 18
	v_and_b32_e32 v9, 0x7fffffff, v8
	v_cmp_nlt_f32_e64 s[0:1], |v8|, s0
                                        ; implicit-def: $vgpr10
                                        ; implicit-def: $vgpr11
	s_and_saveexec_b64 s[2:3], s[0:1]
	s_xor_b64 s[12:13], exec, s[2:3]
	s_cbranch_execz .LBB12_17
; %bb.16:
	v_and_b32_e32 v10, 0x7fffff, v9
	v_or_b32_e32 v19, 0x800000, v10
	s_mov_b32 s0, 0xfe5163ab
	v_mad_u64_u32 v[10:11], s[0:1], v19, s0, 0
	v_mov_b32_e32 v12, 0
	s_mov_b32 s0, 0x3c439041
	v_mad_u64_u32 v[13:14], s[0:1], v19, s0, v[11:12]
	s_mov_b32 s0, 0xdb629599
	v_not_b32_e32 v18, 63
	v_mov_b32_e32 v11, v14
	v_mad_u64_u32 v[14:15], s[0:1], v19, s0, v[11:12]
	s_mov_b32 s0, 0xf534ddc0
	s_mov_b32 s2, 0x4e441529
	v_mov_b32_e32 v11, v15
	v_mad_u64_u32 v[15:16], s[0:1], v19, s0, v[11:12]
	v_lshrrev_b32_e32 v11, 23, v9
	v_add_u32_e32 v20, 0xffffff88, v11
	v_mov_b32_e32 v11, v16
	s_mov_b32 s0, 0xfc2757d1
	v_mad_u64_u32 v[16:17], s[0:1], v19, s0, v[11:12]
	v_cmp_lt_u32_e64 s[0:1], 63, v20
	v_cndmask_b32_e64 v11, 0, v18, s[0:1]
	v_add_u32_e32 v20, v11, v20
	v_mov_b32_e32 v11, v17
	v_mad_u64_u32 v[17:18], s[2:3], v19, s2, v[11:12]
	v_not_b32_e32 v21, 31
	v_cmp_lt_u32_e64 s[2:3], 31, v20
	v_cndmask_b32_e64 v11, 0, v21, s[2:3]
	v_add_u32_e32 v20, v11, v20
	v_mov_b32_e32 v11, v18
	s_mov_b32 s4, 0xa2f9836e
	v_mad_u64_u32 v[11:12], s[4:5], v19, s4, v[11:12]
	v_cmp_lt_u32_e64 s[4:5], 31, v20
	v_cndmask_b32_e64 v18, 0, v21, s[4:5]
	v_cndmask_b32_e64 v19, v17, v15, s[0:1]
	;; [unrolled: 1-line block ×4, first 2 shown]
	v_add_u32_e32 v18, v18, v20
	v_cndmask_b32_e64 v20, v11, v19, s[2:3]
	v_cndmask_b32_e64 v11, v12, v11, s[2:3]
	;; [unrolled: 1-line block ×6, first 2 shown]
	v_sub_u32_e32 v19, 32, v18
	v_alignbit_b32 v20, v11, v17, v19
	v_cmp_eq_u32_e64 s[6:7], 0, v18
	v_cndmask_b32_e64 v18, v20, v11, s[6:7]
	v_cndmask_b32_e64 v11, v15, v13, s[0:1]
	;; [unrolled: 1-line block ×4, first 2 shown]
	v_alignbit_b32 v15, v17, v13, v19
	v_cndmask_b32_e64 v10, v14, v10, s[0:1]
	v_cndmask_b32_e64 v15, v15, v17, s[6:7]
	v_bfe_u32 v20, v18, 29, 1
	v_cndmask_b32_e64 v10, v11, v10, s[2:3]
	v_alignbit_b32 v16, v18, v15, 30
	v_sub_u32_e32 v21, 0, v20
	v_cndmask_b32_e64 v10, v12, v10, s[4:5]
	v_xor_b32_e32 v16, v16, v21
	v_alignbit_b32 v11, v13, v10, v19
	v_cndmask_b32_e64 v11, v11, v13, s[6:7]
	v_ffbh_u32_e32 v13, v16
	v_alignbit_b32 v12, v15, v11, 30
	v_min_u32_e32 v13, 32, v13
	v_alignbit_b32 v10, v11, v10, 30
	v_xor_b32_e32 v12, v12, v21
	v_sub_u32_e32 v14, 31, v13
	v_xor_b32_e32 v10, v10, v21
	v_alignbit_b32 v15, v16, v12, v14
	v_alignbit_b32 v10, v12, v10, v14
	;; [unrolled: 1-line block ×3, first 2 shown]
	v_ffbh_u32_e32 v12, v11
	v_min_u32_e32 v12, 32, v12
	v_lshrrev_b32_e32 v17, 29, v18
	v_not_b32_e32 v14, v12
	v_alignbit_b32 v10, v11, v10, v14
	v_lshlrev_b32_e32 v11, 31, v17
	v_or_b32_e32 v14, 0x33000000, v11
	v_add_lshl_u32 v12, v12, v13, 23
	v_lshrrev_b32_e32 v10, 9, v10
	v_sub_u32_e32 v12, v14, v12
	v_or_b32_e32 v11, 0.5, v11
	v_lshlrev_b32_e32 v13, 23, v13
	v_or_b32_e32 v10, v12, v10
	v_lshrrev_b32_e32 v12, 9, v15
	v_sub_u32_e32 v11, v11, v13
	v_or_b32_e32 v11, v12, v11
	s_mov_b32 s0, 0x3fc90fda
	v_mul_f32_e32 v12, 0x3fc90fda, v11
	v_fma_f32 v13, v11, s0, -v12
	v_fmac_f32_e32 v13, 0x33a22168, v11
	v_fmac_f32_e32 v13, 0x3fc90fda, v10
	v_lshrrev_b32_e32 v10, 30, v18
	v_add_f32_e32 v11, v12, v13
	v_add_u32_e32 v10, v20, v10
.LBB12_17:
	s_andn2_saveexec_b64 s[0:1], s[12:13]
	s_cbranch_execz .LBB12_19
; %bb.18:
	s_mov_b32 s2, 0x3f22f983
	v_mul_f32_e64 v10, |v8|, s2
	v_rndne_f32_e32 v12, v10
	s_mov_b32 s2, 0xbfc90fda
	v_cvt_i32_f32_e32 v10, v12
	v_fma_f32 v11, v12, s2, |v8|
	v_fmac_f32_e32 v11, 0xb3a22168, v12
	v_fmac_f32_e32 v11, 0xa7c234c4, v12
.LBB12_19:
	s_or_b64 exec, exec, s[0:1]
	v_mul_f32_e32 v12, v11, v11
	v_mov_b32_e32 v13, 0x3c0881c4
	v_fmac_f32_e32 v13, 0xb94c1982, v12
	v_mov_b32_e32 v14, 0xbe2aaa9d
	v_fmac_f32_e32 v14, v12, v13
	v_mul_f32_e32 v13, v12, v14
	v_fmac_f32_e32 v11, v11, v13
	v_mov_b32_e32 v13, 0xbab64f3b
	v_fmac_f32_e32 v13, 0x37d75334, v12
	v_mov_b32_e32 v14, 0x3d2aabf7
	;; [unrolled: 2-line block ×3, first 2 shown]
	v_fmac_f32_e32 v13, v12, v14
	v_fma_f32 v12, v12, v13, 1.0
	v_and_b32_e32 v13, 1, v10
	v_lshlrev_b32_e32 v10, 30, v10
	v_cmp_eq_u32_e64 s[0:1], 0, v13
	v_and_b32_e32 v10, 0x80000000, v10
	v_xor_b32_e32 v9, v9, v8
	v_cndmask_b32_e64 v11, v12, v11, s[0:1]
	v_xor_b32_e32 v9, v9, v10
	s_movk_i32 s0, 0x1f8
	v_xor_b32_e32 v9, v9, v11
	v_mov_b32_e32 v10, 0x7fc00000
	v_cmp_class_f32_e64 s[0:1], v8, s0
	v_cndmask_b32_e64 v9, v10, v9, s[0:1]
.LBB12_20:
	s_or_b64 exec, exec, s[10:11]
	v_or_b32_e32 v8, 0x200, v0
	v_cmp_gt_i32_e64 s[0:1], s15, v8
	s_and_saveexec_b64 s[10:11], s[0:1]
	s_cbranch_execz .LBB12_26
; %bb.21:
	s_brev_b32 s0, 18
	v_and_b32_e32 v7, 0x7fffffff, v4
	v_cmp_nlt_f32_e64 s[0:1], |v4|, s0
                                        ; implicit-def: $vgpr8
                                        ; implicit-def: $vgpr10
	s_and_saveexec_b64 s[2:3], s[0:1]
	s_xor_b64 s[12:13], exec, s[2:3]
	s_cbranch_execz .LBB12_23
; %bb.22:
	v_and_b32_e32 v8, 0x7fffff, v7
	v_or_b32_e32 v8, 0x800000, v8
	s_mov_b32 s0, 0xfe5163ab
	v_mad_u64_u32 v[10:11], s[0:1], v8, s0, 0
	v_mov_b32_e32 v12, 0
	s_mov_b32 s0, 0x3c439041
	v_mad_u64_u32 v[13:14], s[0:1], v8, s0, v[11:12]
	s_mov_b32 s0, 0xdb629599
	v_not_b32_e32 v18, 63
	v_mov_b32_e32 v11, v14
	v_mad_u64_u32 v[14:15], s[0:1], v8, s0, v[11:12]
	s_mov_b32 s0, 0xf534ddc0
	s_mov_b32 s2, 0x4e441529
	v_mov_b32_e32 v11, v15
	v_mad_u64_u32 v[15:16], s[0:1], v8, s0, v[11:12]
	v_lshrrev_b32_e32 v11, 23, v7
	v_add_u32_e32 v19, 0xffffff88, v11
	v_mov_b32_e32 v11, v16
	s_mov_b32 s0, 0xfc2757d1
	v_mad_u64_u32 v[16:17], s[0:1], v8, s0, v[11:12]
	v_cmp_lt_u32_e64 s[0:1], 63, v19
	v_cndmask_b32_e64 v11, 0, v18, s[0:1]
	v_add_u32_e32 v19, v11, v19
	v_mov_b32_e32 v11, v17
	v_mad_u64_u32 v[17:18], s[2:3], v8, s2, v[11:12]
	v_not_b32_e32 v20, 31
	v_cmp_lt_u32_e64 s[2:3], 31, v19
	v_cndmask_b32_e64 v11, 0, v20, s[2:3]
	v_add_u32_e32 v19, v11, v19
	v_mov_b32_e32 v11, v18
	s_mov_b32 s4, 0xa2f9836e
	v_mad_u64_u32 v[11:12], s[4:5], v8, s4, v[11:12]
	v_cmp_lt_u32_e64 s[4:5], 31, v19
	v_cndmask_b32_e64 v8, 0, v20, s[4:5]
	v_cndmask_b32_e64 v18, v17, v15, s[0:1]
	;; [unrolled: 1-line block ×4, first 2 shown]
	v_add_u32_e32 v8, v8, v19
	v_cndmask_b32_e64 v19, v11, v18, s[2:3]
	v_cndmask_b32_e64 v11, v12, v11, s[2:3]
	;; [unrolled: 1-line block ×6, first 2 shown]
	v_sub_u32_e32 v18, 32, v8
	v_alignbit_b32 v19, v11, v17, v18
	v_cmp_eq_u32_e64 s[6:7], 0, v8
	v_cndmask_b32_e64 v8, v19, v11, s[6:7]
	v_cndmask_b32_e64 v11, v15, v13, s[0:1]
	v_cndmask_b32_e64 v12, v12, v11, s[2:3]
	v_cndmask_b32_e64 v13, v16, v12, s[4:5]
	v_alignbit_b32 v15, v17, v13, v18
	v_cndmask_b32_e64 v10, v14, v10, s[0:1]
	v_cndmask_b32_e64 v15, v15, v17, s[6:7]
	v_bfe_u32 v19, v8, 29, 1
	v_cndmask_b32_e64 v10, v11, v10, s[2:3]
	v_alignbit_b32 v16, v8, v15, 30
	v_sub_u32_e32 v20, 0, v19
	v_cndmask_b32_e64 v10, v12, v10, s[4:5]
	v_xor_b32_e32 v16, v16, v20
	v_alignbit_b32 v11, v13, v10, v18
	v_cndmask_b32_e64 v11, v11, v13, s[6:7]
	v_ffbh_u32_e32 v13, v16
	v_alignbit_b32 v12, v15, v11, 30
	v_min_u32_e32 v13, 32, v13
	v_alignbit_b32 v10, v11, v10, 30
	v_xor_b32_e32 v12, v12, v20
	v_sub_u32_e32 v14, 31, v13
	v_xor_b32_e32 v10, v10, v20
	v_alignbit_b32 v15, v16, v12, v14
	v_alignbit_b32 v10, v12, v10, v14
	;; [unrolled: 1-line block ×3, first 2 shown]
	v_ffbh_u32_e32 v12, v11
	v_min_u32_e32 v12, 32, v12
	v_lshrrev_b32_e32 v17, 29, v8
	v_not_b32_e32 v14, v12
	v_alignbit_b32 v10, v11, v10, v14
	v_lshlrev_b32_e32 v11, 31, v17
	v_or_b32_e32 v14, 0x33000000, v11
	v_add_lshl_u32 v12, v12, v13, 23
	v_lshrrev_b32_e32 v10, 9, v10
	v_sub_u32_e32 v12, v14, v12
	v_or_b32_e32 v11, 0.5, v11
	v_lshlrev_b32_e32 v13, 23, v13
	v_or_b32_e32 v10, v12, v10
	v_lshrrev_b32_e32 v12, 9, v15
	v_sub_u32_e32 v11, v11, v13
	v_or_b32_e32 v11, v12, v11
	s_mov_b32 s0, 0x3fc90fda
	v_mul_f32_e32 v12, 0x3fc90fda, v11
	v_fma_f32 v13, v11, s0, -v12
	v_fmac_f32_e32 v13, 0x33a22168, v11
	v_fmac_f32_e32 v13, 0x3fc90fda, v10
	v_lshrrev_b32_e32 v8, 30, v8
	v_add_f32_e32 v10, v12, v13
	v_add_u32_e32 v8, v19, v8
.LBB12_23:
	s_andn2_saveexec_b64 s[0:1], s[12:13]
	s_cbranch_execz .LBB12_25
; %bb.24:
	s_mov_b32 s2, 0x3f22f983
	v_mul_f32_e64 v8, |v4|, s2
	v_rndne_f32_e32 v11, v8
	s_mov_b32 s2, 0xbfc90fda
	v_cvt_i32_f32_e32 v8, v11
	v_fma_f32 v10, v11, s2, |v4|
	v_fmac_f32_e32 v10, 0xb3a22168, v11
	v_fmac_f32_e32 v10, 0xa7c234c4, v11
.LBB12_25:
	s_or_b64 exec, exec, s[0:1]
	v_mul_f32_e32 v11, v10, v10
	v_mov_b32_e32 v12, 0x3c0881c4
	v_fmac_f32_e32 v12, 0xb94c1982, v11
	v_mov_b32_e32 v13, 0xbe2aaa9d
	v_fmac_f32_e32 v13, v11, v12
	v_mul_f32_e32 v12, v11, v13
	v_fmac_f32_e32 v10, v10, v12
	v_mov_b32_e32 v12, 0xbab64f3b
	v_fmac_f32_e32 v12, 0x37d75334, v11
	v_mov_b32_e32 v13, 0x3d2aabf7
	;; [unrolled: 2-line block ×3, first 2 shown]
	v_fmac_f32_e32 v12, v11, v13
	v_fma_f32 v11, v11, v12, 1.0
	v_and_b32_e32 v12, 1, v8
	v_lshlrev_b32_e32 v8, 30, v8
	v_cmp_eq_u32_e64 s[0:1], 0, v12
	v_and_b32_e32 v8, 0x80000000, v8
	v_xor_b32_e32 v7, v7, v4
	v_cndmask_b32_e64 v10, v11, v10, s[0:1]
	v_xor_b32_e32 v7, v7, v8
	s_movk_i32 s0, 0x1f8
	v_xor_b32_e32 v7, v7, v10
	v_mov_b32_e32 v8, 0x7fc00000
	v_cmp_class_f32_e64 s[0:1], v4, s0
	v_cndmask_b32_e64 v7, v8, v7, s[0:1]
.LBB12_26:
	s_or_b64 exec, exec, s[10:11]
	v_or_b32_e32 v4, 0x300, v0
	v_cmp_gt_i32_e64 s[0:1], s15, v4
	s_and_saveexec_b64 s[10:11], s[0:1]
	s_cbranch_execnz .LBB12_32
; %bb.27:
	s_or_b64 exec, exec, s[10:11]
	s_and_saveexec_b64 s[0:1], vcc
	s_xor_b64 s[0:1], exec, s[0:1]
	s_cbranch_execnz .LBB12_37
.LBB12_28:
	s_or_b64 exec, exec, s[0:1]
	v_cmp_gt_i32_e32 vcc, s15, v0
	s_and_saveexec_b64 s[0:1], vcc
	s_cbranch_execnz .LBB12_38
.LBB12_29:
	s_or_b64 exec, exec, s[0:1]
	v_cmp_gt_i32_e32 vcc, s15, v0
	s_and_saveexec_b64 s[0:1], vcc
	s_cbranch_execnz .LBB12_39
.LBB12_30:
	s_or_b64 exec, exec, s[0:1]
	v_cmp_gt_i32_e32 vcc, s15, v0
	s_and_saveexec_b64 s[0:1], vcc
	s_cbranch_execnz .LBB12_40
.LBB12_31:
	s_endpgm
.LBB12_32:
	s_brev_b32 s0, 18
	v_and_b32_e32 v4, 0x7fffffff, v2
	v_cmp_nlt_f32_e64 s[0:1], |v2|, s0
                                        ; implicit-def: $vgpr6
                                        ; implicit-def: $vgpr8
	s_and_saveexec_b64 s[2:3], s[0:1]
	s_xor_b64 s[12:13], exec, s[2:3]
	s_cbranch_execz .LBB12_34
; %bb.33:
	v_and_b32_e32 v6, 0x7fffff, v4
	v_or_b32_e32 v6, 0x800000, v6
	s_mov_b32 s0, 0xfe5163ab
	v_mad_u64_u32 v[10:11], s[0:1], v6, s0, 0
	v_mov_b32_e32 v12, 0
	s_mov_b32 s0, 0x3c439041
	v_mad_u64_u32 v[13:14], s[0:1], v6, s0, v[11:12]
	s_mov_b32 s0, 0xdb629599
	v_lshrrev_b32_e32 v8, 23, v4
	v_mov_b32_e32 v11, v14
	v_mad_u64_u32 v[14:15], s[0:1], v6, s0, v[11:12]
	s_mov_b32 s0, 0xf534ddc0
	v_add_u32_e32 v8, 0xffffff88, v8
	v_mov_b32_e32 v11, v15
	v_mad_u64_u32 v[15:16], s[0:1], v6, s0, v[11:12]
	s_mov_b32 s0, 0xfc2757d1
	v_not_b32_e32 v18, 63
	v_mov_b32_e32 v11, v16
	v_mad_u64_u32 v[16:17], s[0:1], v6, s0, v[11:12]
	v_cmp_lt_u32_e64 s[0:1], 63, v8
	v_cndmask_b32_e64 v11, 0, v18, s[0:1]
	v_add_u32_e32 v8, v11, v8
	v_mov_b32_e32 v11, v17
	s_mov_b32 s2, 0x4e441529
	v_mad_u64_u32 v[17:18], s[2:3], v6, s2, v[11:12]
	v_not_b32_e32 v19, 31
	v_cmp_lt_u32_e64 s[2:3], 31, v8
	v_cndmask_b32_e64 v11, 0, v19, s[2:3]
	v_add_u32_e32 v8, v11, v8
	v_mov_b32_e32 v11, v18
	s_mov_b32 s4, 0xa2f9836e
	v_mad_u64_u32 v[11:12], s[4:5], v6, s4, v[11:12]
	v_cmp_lt_u32_e64 s[4:5], 31, v8
	v_cndmask_b32_e64 v6, 0, v19, s[4:5]
	v_add_u32_e32 v6, v6, v8
	v_cndmask_b32_e64 v8, v17, v15, s[0:1]
	v_cndmask_b32_e64 v11, v11, v16, s[0:1]
	;; [unrolled: 1-line block ×9, first 2 shown]
	v_sub_u32_e32 v17, 32, v6
	v_alignbit_b32 v18, v11, v16, v17
	v_cmp_eq_u32_e64 s[6:7], 0, v6
	v_cndmask_b32_e64 v6, v18, v11, s[6:7]
	v_cndmask_b32_e64 v11, v15, v13, s[0:1]
	;; [unrolled: 1-line block ×4, first 2 shown]
	v_alignbit_b32 v13, v16, v8, v17
	v_cndmask_b32_e64 v10, v14, v10, s[0:1]
	v_cndmask_b32_e64 v13, v13, v16, s[6:7]
	v_bfe_u32 v18, v6, 29, 1
	v_cndmask_b32_e64 v10, v11, v10, s[2:3]
	v_alignbit_b32 v15, v6, v13, 30
	v_sub_u32_e32 v19, 0, v18
	v_cndmask_b32_e64 v10, v12, v10, s[4:5]
	v_xor_b32_e32 v15, v15, v19
	v_alignbit_b32 v11, v8, v10, v17
	v_cndmask_b32_e64 v8, v11, v8, s[6:7]
	v_ffbh_u32_e32 v12, v15
	v_alignbit_b32 v11, v13, v8, 30
	v_min_u32_e32 v12, 32, v12
	v_alignbit_b32 v8, v8, v10, 30
	v_xor_b32_e32 v11, v11, v19
	v_sub_u32_e32 v13, 31, v12
	v_xor_b32_e32 v8, v8, v19
	v_alignbit_b32 v14, v15, v11, v13
	v_alignbit_b32 v8, v11, v8, v13
	;; [unrolled: 1-line block ×3, first 2 shown]
	v_ffbh_u32_e32 v11, v10
	v_min_u32_e32 v11, 32, v11
	v_lshrrev_b32_e32 v16, 29, v6
	v_not_b32_e32 v13, v11
	v_alignbit_b32 v8, v10, v8, v13
	v_lshlrev_b32_e32 v10, 31, v16
	v_or_b32_e32 v13, 0x33000000, v10
	v_add_lshl_u32 v11, v11, v12, 23
	v_lshrrev_b32_e32 v8, 9, v8
	v_sub_u32_e32 v11, v13, v11
	v_or_b32_e32 v10, 0.5, v10
	v_lshlrev_b32_e32 v12, 23, v12
	v_or_b32_e32 v8, v11, v8
	v_lshrrev_b32_e32 v11, 9, v14
	v_sub_u32_e32 v10, v10, v12
	v_or_b32_e32 v10, v11, v10
	s_mov_b32 s0, 0x3fc90fda
	v_mul_f32_e32 v11, 0x3fc90fda, v10
	v_fma_f32 v12, v10, s0, -v11
	v_fmac_f32_e32 v12, 0x33a22168, v10
	v_fmac_f32_e32 v12, 0x3fc90fda, v8
	v_lshrrev_b32_e32 v6, 30, v6
	v_add_f32_e32 v8, v11, v12
	v_add_u32_e32 v6, v18, v6
.LBB12_34:
	s_andn2_saveexec_b64 s[0:1], s[12:13]
	s_cbranch_execz .LBB12_36
; %bb.35:
	s_mov_b32 s2, 0x3f22f983
	v_mul_f32_e64 v6, |v2|, s2
	v_rndne_f32_e32 v10, v6
	s_mov_b32 s2, 0xbfc90fda
	v_cvt_i32_f32_e32 v6, v10
	v_fma_f32 v8, v10, s2, |v2|
	v_fmac_f32_e32 v8, 0xb3a22168, v10
	v_fmac_f32_e32 v8, 0xa7c234c4, v10
.LBB12_36:
	s_or_b64 exec, exec, s[0:1]
	v_mul_f32_e32 v10, v8, v8
	v_mov_b32_e32 v11, 0x3c0881c4
	v_fmac_f32_e32 v11, 0xb94c1982, v10
	v_mov_b32_e32 v12, 0xbe2aaa9d
	v_fmac_f32_e32 v12, v10, v11
	v_mul_f32_e32 v11, v10, v12
	v_fmac_f32_e32 v8, v8, v11
	v_mov_b32_e32 v11, 0xbab64f3b
	v_fmac_f32_e32 v11, 0x37d75334, v10
	v_mov_b32_e32 v12, 0x3d2aabf7
	;; [unrolled: 2-line block ×3, first 2 shown]
	v_fmac_f32_e32 v11, v10, v12
	v_fma_f32 v10, v10, v11, 1.0
	v_and_b32_e32 v11, 1, v6
	v_lshlrev_b32_e32 v6, 30, v6
	v_cmp_eq_u32_e64 s[0:1], 0, v11
	v_and_b32_e32 v6, 0x80000000, v6
	v_xor_b32_e32 v4, v4, v2
	v_cndmask_b32_e64 v8, v10, v8, s[0:1]
	v_xor_b32_e32 v4, v4, v6
	s_movk_i32 s0, 0x1f8
	v_xor_b32_e32 v4, v4, v8
	v_mov_b32_e32 v6, 0x7fc00000
	v_cmp_class_f32_e64 s[0:1], v2, s0
	v_cndmask_b32_e64 v6, v6, v4, s[0:1]
	s_or_b64 exec, exec, s[10:11]
	s_and_saveexec_b64 s[0:1], vcc
	s_xor_b64 s[0:1], exec, s[0:1]
	s_cbranch_execz .LBB12_28
.LBB12_37:
	v_mov_b32_e32 v2, 0
	v_lshlrev_b64 v[0:1], 2, v[1:2]
	v_mov_b32_e32 v2, s9
	v_add_co_u32_e32 v0, vcc, s8, v0
	v_addc_co_u32_e32 v1, vcc, v2, v1, vcc
	global_store_dword v[0:1], v3, off
	v_mov_b32_e32 v0, v5
	s_or_b64 exec, exec, s[0:1]
	v_cmp_gt_i32_e32 vcc, s15, v0
	s_and_saveexec_b64 s[0:1], vcc
	s_cbranch_execz .LBB12_29
.LBB12_38:
	v_add_u32_e32 v2, 0x100, v0
	v_add_u32_e32 v0, s14, v0
	v_mov_b32_e32 v1, 0
	v_lshlrev_b64 v[0:1], 2, v[0:1]
	v_mov_b32_e32 v3, s9
	v_add_co_u32_e32 v0, vcc, s8, v0
	v_addc_co_u32_e32 v1, vcc, v3, v1, vcc
	global_store_dword v[0:1], v9, off
	v_mov_b32_e32 v0, v2
	s_or_b64 exec, exec, s[0:1]
	v_cmp_gt_i32_e32 vcc, s15, v0
	s_and_saveexec_b64 s[0:1], vcc
	s_cbranch_execz .LBB12_30
.LBB12_39:
	v_add_u32_e32 v2, 0x100, v0
	v_add_u32_e32 v0, s14, v0
	v_mov_b32_e32 v1, 0
	v_lshlrev_b64 v[0:1], 2, v[0:1]
	v_mov_b32_e32 v3, s9
	v_add_co_u32_e32 v0, vcc, s8, v0
	v_addc_co_u32_e32 v1, vcc, v3, v1, vcc
	global_store_dword v[0:1], v7, off
	v_mov_b32_e32 v0, v2
	s_or_b64 exec, exec, s[0:1]
	v_cmp_gt_i32_e32 vcc, s15, v0
	s_and_saveexec_b64 s[0:1], vcc
	s_cbranch_execz .LBB12_31
.LBB12_40:
	v_add_u32_e32 v0, s14, v0
	v_mov_b32_e32 v1, 0
	v_lshlrev_b64 v[0:1], 2, v[0:1]
	v_mov_b32_e32 v2, s9
	v_add_co_u32_e32 v0, vcc, s8, v0
	v_addc_co_u32_e32 v1, vcc, v2, v1, vcc
	global_store_dword v[0:1], v6, off
	s_endpgm
	.section	.rodata,"a",@progbits
	.p2align	6, 0x0
	.amdhsa_kernel _ZN2at6native27unrolled_elementwise_kernelIZZZNS0_15sin_kernel_cudaERNS_18TensorIteratorBaseEENKUlvE0_clEvENKUlvE0_clEvEUlfE_St5arrayIPcLm2EELi4E23TrivialOffsetCalculatorILi1EjESB_NS0_6memory15LoadWithoutCastENSC_16StoreWithoutCastEEEviT_T0_T2_T3_T4_T5_
		.amdhsa_group_segment_fixed_size 0
		.amdhsa_private_segment_fixed_size 0
		.amdhsa_kernarg_size 28
		.amdhsa_user_sgpr_count 6
		.amdhsa_user_sgpr_private_segment_buffer 1
		.amdhsa_user_sgpr_dispatch_ptr 0
		.amdhsa_user_sgpr_queue_ptr 0
		.amdhsa_user_sgpr_kernarg_segment_ptr 1
		.amdhsa_user_sgpr_dispatch_id 0
		.amdhsa_user_sgpr_flat_scratch_init 0
		.amdhsa_user_sgpr_private_segment_size 0
		.amdhsa_uses_dynamic_stack 0
		.amdhsa_system_sgpr_private_segment_wavefront_offset 0
		.amdhsa_system_sgpr_workgroup_id_x 1
		.amdhsa_system_sgpr_workgroup_id_y 0
		.amdhsa_system_sgpr_workgroup_id_z 0
		.amdhsa_system_sgpr_workgroup_info 0
		.amdhsa_system_vgpr_workitem_id 0
		.amdhsa_next_free_vgpr 22
		.amdhsa_next_free_sgpr 16
		.amdhsa_reserve_vcc 1
		.amdhsa_reserve_flat_scratch 0
		.amdhsa_float_round_mode_32 0
		.amdhsa_float_round_mode_16_64 0
		.amdhsa_float_denorm_mode_32 3
		.amdhsa_float_denorm_mode_16_64 3
		.amdhsa_dx10_clamp 1
		.amdhsa_ieee_mode 1
		.amdhsa_fp16_overflow 0
		.amdhsa_exception_fp_ieee_invalid_op 0
		.amdhsa_exception_fp_denorm_src 0
		.amdhsa_exception_fp_ieee_div_zero 0
		.amdhsa_exception_fp_ieee_overflow 0
		.amdhsa_exception_fp_ieee_underflow 0
		.amdhsa_exception_fp_ieee_inexact 0
		.amdhsa_exception_int_div_zero 0
	.end_amdhsa_kernel
	.section	.text._ZN2at6native27unrolled_elementwise_kernelIZZZNS0_15sin_kernel_cudaERNS_18TensorIteratorBaseEENKUlvE0_clEvENKUlvE0_clEvEUlfE_St5arrayIPcLm2EELi4E23TrivialOffsetCalculatorILi1EjESB_NS0_6memory15LoadWithoutCastENSC_16StoreWithoutCastEEEviT_T0_T2_T3_T4_T5_,"axG",@progbits,_ZN2at6native27unrolled_elementwise_kernelIZZZNS0_15sin_kernel_cudaERNS_18TensorIteratorBaseEENKUlvE0_clEvENKUlvE0_clEvEUlfE_St5arrayIPcLm2EELi4E23TrivialOffsetCalculatorILi1EjESB_NS0_6memory15LoadWithoutCastENSC_16StoreWithoutCastEEEviT_T0_T2_T3_T4_T5_,comdat
.Lfunc_end12:
	.size	_ZN2at6native27unrolled_elementwise_kernelIZZZNS0_15sin_kernel_cudaERNS_18TensorIteratorBaseEENKUlvE0_clEvENKUlvE0_clEvEUlfE_St5arrayIPcLm2EELi4E23TrivialOffsetCalculatorILi1EjESB_NS0_6memory15LoadWithoutCastENSC_16StoreWithoutCastEEEviT_T0_T2_T3_T4_T5_, .Lfunc_end12-_ZN2at6native27unrolled_elementwise_kernelIZZZNS0_15sin_kernel_cudaERNS_18TensorIteratorBaseEENKUlvE0_clEvENKUlvE0_clEvEUlfE_St5arrayIPcLm2EELi4E23TrivialOffsetCalculatorILi1EjESB_NS0_6memory15LoadWithoutCastENSC_16StoreWithoutCastEEEviT_T0_T2_T3_T4_T5_
                                        ; -- End function
	.set _ZN2at6native27unrolled_elementwise_kernelIZZZNS0_15sin_kernel_cudaERNS_18TensorIteratorBaseEENKUlvE0_clEvENKUlvE0_clEvEUlfE_St5arrayIPcLm2EELi4E23TrivialOffsetCalculatorILi1EjESB_NS0_6memory15LoadWithoutCastENSC_16StoreWithoutCastEEEviT_T0_T2_T3_T4_T5_.num_vgpr, 22
	.set _ZN2at6native27unrolled_elementwise_kernelIZZZNS0_15sin_kernel_cudaERNS_18TensorIteratorBaseEENKUlvE0_clEvENKUlvE0_clEvEUlfE_St5arrayIPcLm2EELi4E23TrivialOffsetCalculatorILi1EjESB_NS0_6memory15LoadWithoutCastENSC_16StoreWithoutCastEEEviT_T0_T2_T3_T4_T5_.num_agpr, 0
	.set _ZN2at6native27unrolled_elementwise_kernelIZZZNS0_15sin_kernel_cudaERNS_18TensorIteratorBaseEENKUlvE0_clEvENKUlvE0_clEvEUlfE_St5arrayIPcLm2EELi4E23TrivialOffsetCalculatorILi1EjESB_NS0_6memory15LoadWithoutCastENSC_16StoreWithoutCastEEEviT_T0_T2_T3_T4_T5_.numbered_sgpr, 16
	.set _ZN2at6native27unrolled_elementwise_kernelIZZZNS0_15sin_kernel_cudaERNS_18TensorIteratorBaseEENKUlvE0_clEvENKUlvE0_clEvEUlfE_St5arrayIPcLm2EELi4E23TrivialOffsetCalculatorILi1EjESB_NS0_6memory15LoadWithoutCastENSC_16StoreWithoutCastEEEviT_T0_T2_T3_T4_T5_.num_named_barrier, 0
	.set _ZN2at6native27unrolled_elementwise_kernelIZZZNS0_15sin_kernel_cudaERNS_18TensorIteratorBaseEENKUlvE0_clEvENKUlvE0_clEvEUlfE_St5arrayIPcLm2EELi4E23TrivialOffsetCalculatorILi1EjESB_NS0_6memory15LoadWithoutCastENSC_16StoreWithoutCastEEEviT_T0_T2_T3_T4_T5_.private_seg_size, 0
	.set _ZN2at6native27unrolled_elementwise_kernelIZZZNS0_15sin_kernel_cudaERNS_18TensorIteratorBaseEENKUlvE0_clEvENKUlvE0_clEvEUlfE_St5arrayIPcLm2EELi4E23TrivialOffsetCalculatorILi1EjESB_NS0_6memory15LoadWithoutCastENSC_16StoreWithoutCastEEEviT_T0_T2_T3_T4_T5_.uses_vcc, 1
	.set _ZN2at6native27unrolled_elementwise_kernelIZZZNS0_15sin_kernel_cudaERNS_18TensorIteratorBaseEENKUlvE0_clEvENKUlvE0_clEvEUlfE_St5arrayIPcLm2EELi4E23TrivialOffsetCalculatorILi1EjESB_NS0_6memory15LoadWithoutCastENSC_16StoreWithoutCastEEEviT_T0_T2_T3_T4_T5_.uses_flat_scratch, 0
	.set _ZN2at6native27unrolled_elementwise_kernelIZZZNS0_15sin_kernel_cudaERNS_18TensorIteratorBaseEENKUlvE0_clEvENKUlvE0_clEvEUlfE_St5arrayIPcLm2EELi4E23TrivialOffsetCalculatorILi1EjESB_NS0_6memory15LoadWithoutCastENSC_16StoreWithoutCastEEEviT_T0_T2_T3_T4_T5_.has_dyn_sized_stack, 0
	.set _ZN2at6native27unrolled_elementwise_kernelIZZZNS0_15sin_kernel_cudaERNS_18TensorIteratorBaseEENKUlvE0_clEvENKUlvE0_clEvEUlfE_St5arrayIPcLm2EELi4E23TrivialOffsetCalculatorILi1EjESB_NS0_6memory15LoadWithoutCastENSC_16StoreWithoutCastEEEviT_T0_T2_T3_T4_T5_.has_recursion, 0
	.set _ZN2at6native27unrolled_elementwise_kernelIZZZNS0_15sin_kernel_cudaERNS_18TensorIteratorBaseEENKUlvE0_clEvENKUlvE0_clEvEUlfE_St5arrayIPcLm2EELi4E23TrivialOffsetCalculatorILi1EjESB_NS0_6memory15LoadWithoutCastENSC_16StoreWithoutCastEEEviT_T0_T2_T3_T4_T5_.has_indirect_call, 0
	.section	.AMDGPU.csdata,"",@progbits
; Kernel info:
; codeLenInByte = 4296
; TotalNumSgprs: 20
; NumVgprs: 22
; ScratchSize: 0
; MemoryBound: 0
; FloatMode: 240
; IeeeMode: 1
; LDSByteSize: 0 bytes/workgroup (compile time only)
; SGPRBlocks: 2
; VGPRBlocks: 5
; NumSGPRsForWavesPerEU: 20
; NumVGPRsForWavesPerEU: 22
; Occupancy: 10
; WaveLimiterHint : 0
; COMPUTE_PGM_RSRC2:SCRATCH_EN: 0
; COMPUTE_PGM_RSRC2:USER_SGPR: 6
; COMPUTE_PGM_RSRC2:TRAP_HANDLER: 0
; COMPUTE_PGM_RSRC2:TGID_X_EN: 1
; COMPUTE_PGM_RSRC2:TGID_Y_EN: 0
; COMPUTE_PGM_RSRC2:TGID_Z_EN: 0
; COMPUTE_PGM_RSRC2:TIDIG_COMP_CNT: 0
	.section	.text._ZN2at6native32elementwise_kernel_manual_unrollILi128ELi4EZNS0_22gpu_kernel_impl_nocastIZZZNS0_15sin_kernel_cudaERNS_18TensorIteratorBaseEENKUlvE0_clEvENKUlvE0_clEvEUlfE_EEvS4_RKT_EUlibE_EEviT1_,"axG",@progbits,_ZN2at6native32elementwise_kernel_manual_unrollILi128ELi4EZNS0_22gpu_kernel_impl_nocastIZZZNS0_15sin_kernel_cudaERNS_18TensorIteratorBaseEENKUlvE0_clEvENKUlvE0_clEvEUlfE_EEvS4_RKT_EUlibE_EEviT1_,comdat
	.globl	_ZN2at6native32elementwise_kernel_manual_unrollILi128ELi4EZNS0_22gpu_kernel_impl_nocastIZZZNS0_15sin_kernel_cudaERNS_18TensorIteratorBaseEENKUlvE0_clEvENKUlvE0_clEvEUlfE_EEvS4_RKT_EUlibE_EEviT1_ ; -- Begin function _ZN2at6native32elementwise_kernel_manual_unrollILi128ELi4EZNS0_22gpu_kernel_impl_nocastIZZZNS0_15sin_kernel_cudaERNS_18TensorIteratorBaseEENKUlvE0_clEvENKUlvE0_clEvEUlfE_EEvS4_RKT_EUlibE_EEviT1_
	.p2align	8
	.type	_ZN2at6native32elementwise_kernel_manual_unrollILi128ELi4EZNS0_22gpu_kernel_impl_nocastIZZZNS0_15sin_kernel_cudaERNS_18TensorIteratorBaseEENKUlvE0_clEvENKUlvE0_clEvEUlfE_EEvS4_RKT_EUlibE_EEviT1_,@function
_ZN2at6native32elementwise_kernel_manual_unrollILi128ELi4EZNS0_22gpu_kernel_impl_nocastIZZZNS0_15sin_kernel_cudaERNS_18TensorIteratorBaseEENKUlvE0_clEvENKUlvE0_clEvEUlfE_EEvS4_RKT_EUlibE_EEviT1_: ; @_ZN2at6native32elementwise_kernel_manual_unrollILi128ELi4EZNS0_22gpu_kernel_impl_nocastIZZZNS0_15sin_kernel_cudaERNS_18TensorIteratorBaseEENKUlvE0_clEvENKUlvE0_clEvEUlfE_EEvS4_RKT_EUlibE_EEviT1_
; %bb.0:
	s_load_dword s55, s[4:5], 0x0
	s_load_dword s33, s[4:5], 0x8
	s_add_u32 s34, s4, 8
	s_addc_u32 s35, s5, 0
	v_lshl_or_b32 v6, s6, 9, v0
	v_or_b32_e32 v11, 0x180, v6
	s_waitcnt lgkmcnt(0)
	s_add_i32 s54, s33, -1
	s_cmp_gt_u32 s54, 1
	v_cmp_le_i32_e32 vcc, s55, v11
	s_cselect_b64 s[36:37], -1, 0
	s_and_saveexec_b64 s[0:1], vcc
	s_xor_b64 s[38:39], exec, s[0:1]
	s_cbranch_execz .LBB13_7
; %bb.1:
	s_load_dwordx4 s[24:27], s[34:35], 0x4
	s_load_dwordx2 s[40:41], s[34:35], 0x14
	s_load_dwordx4 s[20:23], s[34:35], 0xc4
	s_load_dwordx4 s[16:19], s[34:35], 0x148
	s_cmp_lg_u32 s33, 0
	s_cselect_b64 s[46:47], -1, 0
	s_add_u32 s44, s34, 0xc4
	s_addc_u32 s45, s35, 0
	s_min_u32 s56, s54, 15
	s_cmp_gt_u32 s33, 1
	s_cselect_b64 s[42:43], -1, 0
	v_cmp_gt_i32_e32 vcc, s55, v6
	s_and_saveexec_b64 s[48:49], vcc
	s_cbranch_execz .LBB13_14
; %bb.2:
	s_andn2_b64 vcc, exec, s[36:37]
	s_cbranch_vccnz .LBB13_21
; %bb.3:
	s_andn2_b64 vcc, exec, s[46:47]
	s_cbranch_vccnz .LBB13_89
; %bb.4:
	s_add_i32 s58, s56, 1
	s_cmp_eq_u32 s54, 2
	s_cbranch_scc1 .LBB13_91
; %bb.5:
	s_and_b32 s57, s58, 28
	v_mov_b32_e32 v2, 0
	s_mov_b32 s59, 0
	s_mov_b64 s[50:51], s[34:35]
	s_mov_b64 s[52:53], s[44:45]
	v_mov_b32_e32 v0, 0
	v_mov_b32_e32 v1, v6
.LBB13_6:                               ; =>This Inner Loop Header: Depth=1
	s_load_dwordx8 s[8:15], s[50:51], 0x4
	s_load_dwordx4 s[28:31], s[50:51], 0x24
	s_load_dwordx8 s[0:7], s[52:53], 0x0
	s_add_u32 s50, s50, 48
	s_addc_u32 s51, s51, 0
	s_waitcnt lgkmcnt(0)
	v_mul_hi_u32 v3, s9, v1
	s_add_i32 s59, s59, 4
	s_add_u32 s52, s52, 32
	s_addc_u32 s53, s53, 0
	v_add_u32_e32 v3, v1, v3
	v_lshrrev_b32_e32 v3, s10, v3
	v_mul_lo_u32 v4, v3, s8
	v_mul_hi_u32 v5, s12, v3
	s_cmp_lg_u32 s57, s59
	v_sub_u32_e32 v1, v1, v4
	v_add_u32_e32 v4, v3, v5
	v_mul_lo_u32 v5, v1, s0
	v_mul_lo_u32 v7, v1, s1
	v_lshrrev_b32_e32 v1, s13, v4
	v_mul_lo_u32 v4, v1, s11
	v_mul_hi_u32 v8, s15, v1
	v_sub_u32_e32 v3, v3, v4
	v_add_u32_e32 v4, v1, v8
	v_lshrrev_b32_e32 v4, s28, v4
	v_mul_hi_u32 v9, s30, v4
	v_mul_lo_u32 v10, v4, s14
	v_mul_lo_u32 v8, v3, s2
	;; [unrolled: 1-line block ×3, first 2 shown]
	v_sub_u32_e32 v10, v1, v10
	v_add_u32_e32 v1, v4, v9
	v_lshrrev_b32_e32 v1, s31, v1
	v_mul_lo_u32 v9, v1, s29
	v_mul_lo_u32 v11, v10, s4
	;; [unrolled: 1-line block ×3, first 2 shown]
	v_add3_u32 v0, v5, v0, v8
	v_sub_u32_e32 v4, v4, v9
	v_mul_lo_u32 v9, v4, s6
	v_mul_lo_u32 v4, v4, s7
	v_add3_u32 v2, v7, v2, v3
	v_add3_u32 v0, v11, v0, v9
	;; [unrolled: 1-line block ×3, first 2 shown]
	s_cbranch_scc1 .LBB13_6
	s_branch .LBB13_92
.LBB13_7:
	s_andn2_saveexec_b64 s[0:1], s[38:39]
	s_cbranch_execz .LBB13_125
.LBB13_8:
	v_cndmask_b32_e64 v0, 0, 1, s[36:37]
	v_cmp_ne_u32_e64 s[0:1], 1, v0
	s_andn2_b64 vcc, exec, s[36:37]
	s_cbranch_vccnz .LBB13_20
; %bb.9:
	s_cmp_lg_u32 s33, 0
	s_waitcnt lgkmcnt(0)
	s_mov_b32 s26, 0
	s_cbranch_scc0 .LBB13_23
; %bb.10:
	s_min_u32 s27, s54, 15
	s_add_i32 s27, s27, 1
	s_cmp_eq_u32 s54, 2
	s_cbranch_scc1 .LBB13_24
; %bb.11:
	s_and_b32 s26, s27, 28
	s_add_u32 s2, s34, 0xc4
	s_addc_u32 s3, s35, 0
	v_mov_b32_e32 v4, 0
	s_mov_b32 s28, 0
	s_mov_b64 s[24:25], s[34:35]
	v_mov_b32_e32 v0, 0
	v_mov_b32_e32 v1, v6
.LBB13_12:                              ; =>This Inner Loop Header: Depth=1
	s_load_dwordx8 s[12:19], s[24:25], 0x4
	s_load_dwordx4 s[20:23], s[24:25], 0x24
	s_load_dwordx8 s[4:11], s[2:3], 0x0
	s_add_u32 s24, s24, 48
	s_addc_u32 s25, s25, 0
	s_waitcnt lgkmcnt(0)
	v_mul_hi_u32 v2, s13, v1
	s_add_i32 s28, s28, 4
	s_add_u32 s2, s2, 32
	s_addc_u32 s3, s3, 0
	v_add_u32_e32 v2, v1, v2
	v_lshrrev_b32_e32 v2, s14, v2
	v_mul_lo_u32 v3, v2, s12
	v_mul_hi_u32 v5, s16, v2
	s_cmp_lg_u32 s26, s28
	v_sub_u32_e32 v1, v1, v3
	v_add_u32_e32 v3, v2, v5
	v_mul_lo_u32 v5, v1, s4
	v_mul_lo_u32 v7, v1, s5
	v_lshrrev_b32_e32 v1, s17, v3
	v_mul_lo_u32 v3, v1, s15
	v_mul_hi_u32 v8, s19, v1
	v_sub_u32_e32 v2, v2, v3
	v_add_u32_e32 v3, v1, v8
	v_lshrrev_b32_e32 v3, s20, v3
	v_mul_hi_u32 v9, s22, v3
	v_mul_lo_u32 v10, v3, s18
	v_mul_lo_u32 v8, v2, s6
	;; [unrolled: 1-line block ×3, first 2 shown]
	v_sub_u32_e32 v10, v1, v10
	v_add_u32_e32 v1, v3, v9
	v_lshrrev_b32_e32 v1, s23, v1
	v_mul_lo_u32 v9, v1, s21
	v_mul_lo_u32 v12, v10, s8
	;; [unrolled: 1-line block ×3, first 2 shown]
	v_add3_u32 v0, v5, v0, v8
	v_sub_u32_e32 v3, v3, v9
	v_mul_lo_u32 v9, v3, s10
	v_mul_lo_u32 v3, v3, s11
	v_add3_u32 v2, v7, v4, v2
	v_add3_u32 v0, v12, v0, v9
	;; [unrolled: 1-line block ×3, first 2 shown]
	s_cbranch_scc1 .LBB13_12
; %bb.13:
	s_and_b32 s6, s27, 3
	s_cmp_eq_u32 s6, 0
	s_cbranch_scc0 .LBB13_25
	s_branch .LBB13_27
.LBB13_14:
	s_or_b64 exec, exec, s[48:49]
	v_cmp_gt_i32_e32 vcc, s55, v6
	s_and_saveexec_b64 s[48:49], vcc
	s_cbranch_execz .LBB13_103
.LBB13_15:
	s_andn2_b64 vcc, exec, s[36:37]
	s_cbranch_vccnz .LBB13_22
; %bb.16:
	s_andn2_b64 vcc, exec, s[46:47]
	s_cbranch_vccnz .LBB13_90
; %bb.17:
	s_add_i32 s58, s56, 1
	s_cmp_eq_u32 s54, 2
	s_cbranch_scc1 .LBB13_111
; %bb.18:
	s_and_b32 s57, s58, 28
	v_mov_b32_e32 v2, 0
	s_mov_b32 s59, 0
	s_mov_b64 s[50:51], s[34:35]
	s_mov_b64 s[52:53], s[44:45]
	v_mov_b32_e32 v0, 0
	v_mov_b32_e32 v1, v6
.LBB13_19:                              ; =>This Inner Loop Header: Depth=1
	s_load_dwordx8 s[8:15], s[50:51], 0x4
	s_load_dwordx4 s[28:31], s[50:51], 0x24
	s_load_dwordx8 s[0:7], s[52:53], 0x0
	s_add_u32 s50, s50, 48
	s_addc_u32 s51, s51, 0
	s_waitcnt lgkmcnt(0)
	v_mul_hi_u32 v3, s9, v1
	s_add_i32 s59, s59, 4
	s_add_u32 s52, s52, 32
	s_addc_u32 s53, s53, 0
	v_add_u32_e32 v3, v1, v3
	v_lshrrev_b32_e32 v3, s10, v3
	v_mul_lo_u32 v4, v3, s8
	v_mul_hi_u32 v5, s12, v3
	s_cmp_eq_u32 s57, s59
	v_sub_u32_e32 v1, v1, v4
	v_add_u32_e32 v4, v3, v5
	v_mul_lo_u32 v5, v1, s0
	v_mul_lo_u32 v7, v1, s1
	v_lshrrev_b32_e32 v1, s13, v4
	v_mul_lo_u32 v4, v1, s11
	v_mul_hi_u32 v8, s15, v1
	v_sub_u32_e32 v3, v3, v4
	v_add_u32_e32 v4, v1, v8
	v_lshrrev_b32_e32 v4, s28, v4
	v_mul_hi_u32 v9, s30, v4
	v_mul_lo_u32 v10, v4, s14
	v_mul_lo_u32 v8, v3, s2
	;; [unrolled: 1-line block ×3, first 2 shown]
	v_sub_u32_e32 v10, v1, v10
	v_add_u32_e32 v1, v4, v9
	v_lshrrev_b32_e32 v1, s31, v1
	v_mul_lo_u32 v9, v1, s29
	v_mul_lo_u32 v11, v10, s4
	;; [unrolled: 1-line block ×3, first 2 shown]
	v_add3_u32 v0, v5, v0, v8
	v_sub_u32_e32 v4, v4, v9
	v_mul_lo_u32 v9, v4, s6
	v_mul_lo_u32 v4, v4, s7
	v_add3_u32 v2, v7, v2, v3
	v_add3_u32 v0, v11, v0, v9
	;; [unrolled: 1-line block ×3, first 2 shown]
	s_cbranch_scc0 .LBB13_19
	s_branch .LBB13_112
.LBB13_20:
                                        ; implicit-def: $vgpr0
                                        ; implicit-def: $vgpr4
	s_branch .LBB13_28
.LBB13_21:
                                        ; implicit-def: $vgpr0
                                        ; implicit-def: $vgpr2
	s_branch .LBB13_96
.LBB13_22:
                                        ; implicit-def: $vgpr0
                                        ; implicit-def: $vgpr2
	s_branch .LBB13_116
.LBB13_23:
	v_mov_b32_e32 v0, 0
	v_mov_b32_e32 v4, 0
	s_branch .LBB13_27
.LBB13_24:
	v_mov_b32_e32 v0, 0
	v_mov_b32_e32 v4, 0
	;; [unrolled: 1-line block ×3, first 2 shown]
	s_and_b32 s6, s27, 3
	s_cmp_eq_u32 s6, 0
	s_cbranch_scc1 .LBB13_27
.LBB13_25:
	s_lshl_b32 s2, s26, 3
	s_add_u32 s2, s34, s2
	s_addc_u32 s3, s35, 0
	s_add_u32 s2, s2, 0xc4
	s_addc_u32 s3, s3, 0
	s_mul_i32 s4, s26, 12
	s_add_u32 s4, s34, s4
	s_addc_u32 s5, s35, 0
.LBB13_26:                              ; =>This Inner Loop Header: Depth=1
	s_load_dwordx2 s[8:9], s[4:5], 0x4
	s_load_dword s7, s[4:5], 0xc
	s_load_dwordx2 s[10:11], s[2:3], 0x0
	s_add_u32 s4, s4, 12
	s_addc_u32 s5, s5, 0
	s_waitcnt lgkmcnt(0)
	v_mul_hi_u32 v2, s9, v1
	s_add_u32 s2, s2, 8
	s_addc_u32 s3, s3, 0
	s_add_i32 s6, s6, -1
	v_add_u32_e32 v2, v1, v2
	v_lshrrev_b32_e32 v2, s7, v2
	v_mul_lo_u32 v3, v2, s8
	s_cmp_lg_u32 s6, 0
	v_sub_u32_e32 v3, v1, v3
	v_mad_u64_u32 v[0:1], s[8:9], v3, s10, v[0:1]
	v_mad_u64_u32 v[4:5], s[8:9], v3, s11, v[4:5]
	v_mov_b32_e32 v1, v2
	s_cbranch_scc1 .LBB13_26
.LBB13_27:
	s_cbranch_execnz .LBB13_30
.LBB13_28:
	s_load_dwordx4 s[4:7], s[34:35], 0x4
	s_load_dwordx2 s[2:3], s[34:35], 0xc4
	s_cmp_lt_u32 s33, 2
	s_waitcnt lgkmcnt(0)
	v_mul_hi_u32 v0, s5, v6
	v_add_u32_e32 v0, v6, v0
	v_lshrrev_b32_e32 v1, s6, v0
	v_mul_lo_u32 v0, v1, s4
	v_sub_u32_e32 v2, v6, v0
	v_mul_lo_u32 v0, v2, s2
	v_mul_lo_u32 v4, v2, s3
	s_cbranch_scc1 .LBB13_30
; %bb.29:
	s_load_dwordx4 s[4:7], s[34:35], 0x10
	s_load_dwordx2 s[2:3], s[34:35], 0xcc
	s_waitcnt lgkmcnt(0)
	v_mul_hi_u32 v2, s5, v1
	v_add_u32_e32 v2, v1, v2
	v_lshrrev_b32_e32 v2, s6, v2
	v_mul_lo_u32 v2, v2, s4
	v_sub_u32_e32 v2, v1, v2
	v_mad_u64_u32 v[0:1], s[4:5], v2, s2, v[0:1]
	v_mad_u64_u32 v[4:5], s[2:3], v2, s3, v[4:5]
.LBB13_30:
	s_and_b64 vcc, exec, s[0:1]
	v_add_u32_e32 v3, 0x80, v6
	s_cbranch_vccnz .LBB13_36
; %bb.31:
	s_cmp_lg_u32 s33, 0
	s_waitcnt lgkmcnt(0)
	s_mov_b32 s26, 0
	s_cbranch_scc0 .LBB13_37
; %bb.32:
	s_min_u32 s27, s54, 15
	s_add_i32 s27, s27, 1
	s_cmp_eq_u32 s54, 2
	s_cbranch_scc1 .LBB13_38
; %bb.33:
	s_and_b32 s26, s27, 28
	s_add_u32 s2, s34, 0xc4
	s_addc_u32 s3, s35, 0
	v_mov_b32_e32 v7, 0
	s_mov_b32 s28, 0
	s_mov_b64 s[24:25], s[34:35]
	v_mov_b32_e32 v1, 0
	v_mov_b32_e32 v2, v3
.LBB13_34:                              ; =>This Inner Loop Header: Depth=1
	s_load_dwordx8 s[12:19], s[24:25], 0x4
	s_load_dwordx4 s[20:23], s[24:25], 0x24
	s_load_dwordx8 s[4:11], s[2:3], 0x0
	s_add_u32 s24, s24, 48
	s_addc_u32 s25, s25, 0
	s_waitcnt lgkmcnt(0)
	v_mul_hi_u32 v5, s13, v2
	s_add_i32 s28, s28, 4
	s_add_u32 s2, s2, 32
	s_addc_u32 s3, s3, 0
	v_add_u32_e32 v5, v2, v5
	v_lshrrev_b32_e32 v5, s14, v5
	v_mul_lo_u32 v8, v5, s12
	v_mul_hi_u32 v9, s16, v5
	s_cmp_lg_u32 s26, s28
	v_sub_u32_e32 v2, v2, v8
	v_add_u32_e32 v8, v5, v9
	v_mul_lo_u32 v9, v2, s4
	v_mul_lo_u32 v10, v2, s5
	v_lshrrev_b32_e32 v2, s17, v8
	v_mul_lo_u32 v8, v2, s15
	v_mul_hi_u32 v12, s19, v2
	v_sub_u32_e32 v5, v5, v8
	v_add_u32_e32 v8, v2, v12
	v_lshrrev_b32_e32 v8, s20, v8
	v_mul_hi_u32 v13, s22, v8
	v_mul_lo_u32 v14, v8, s18
	v_mul_lo_u32 v12, v5, s6
	;; [unrolled: 1-line block ×3, first 2 shown]
	v_sub_u32_e32 v14, v2, v14
	v_add_u32_e32 v2, v8, v13
	v_lshrrev_b32_e32 v2, s23, v2
	v_mul_lo_u32 v13, v2, s21
	v_mul_lo_u32 v15, v14, s8
	;; [unrolled: 1-line block ×3, first 2 shown]
	v_add3_u32 v1, v9, v1, v12
	v_sub_u32_e32 v8, v8, v13
	v_mul_lo_u32 v13, v8, s10
	v_mul_lo_u32 v8, v8, s11
	v_add3_u32 v5, v10, v7, v5
	v_add3_u32 v1, v15, v1, v13
	;; [unrolled: 1-line block ×3, first 2 shown]
	s_cbranch_scc1 .LBB13_34
; %bb.35:
	s_and_b32 s6, s27, 3
	s_cmp_eq_u32 s6, 0
	s_cbranch_scc0 .LBB13_39
	s_branch .LBB13_41
.LBB13_36:
                                        ; implicit-def: $vgpr1
                                        ; implicit-def: $vgpr7
	s_branch .LBB13_42
.LBB13_37:
	v_mov_b32_e32 v1, 0
	v_mov_b32_e32 v7, 0
	s_branch .LBB13_41
.LBB13_38:
	v_mov_b32_e32 v1, 0
	v_mov_b32_e32 v7, 0
	;; [unrolled: 1-line block ×3, first 2 shown]
	s_and_b32 s6, s27, 3
	s_cmp_eq_u32 s6, 0
	s_cbranch_scc1 .LBB13_41
.LBB13_39:
	s_lshl_b32 s2, s26, 3
	s_add_u32 s2, s34, s2
	s_addc_u32 s3, s35, 0
	s_add_u32 s2, s2, 0xc4
	s_addc_u32 s3, s3, 0
	s_mul_i32 s4, s26, 12
	s_add_u32 s4, s34, s4
	s_addc_u32 s5, s35, 0
.LBB13_40:                              ; =>This Inner Loop Header: Depth=1
	s_load_dwordx2 s[8:9], s[4:5], 0x4
	s_load_dword s7, s[4:5], 0xc
	s_load_dwordx2 s[10:11], s[2:3], 0x0
	s_add_u32 s4, s4, 12
	s_addc_u32 s5, s5, 0
	s_waitcnt lgkmcnt(0)
	v_mul_hi_u32 v5, s9, v2
	s_add_u32 s2, s2, 8
	s_addc_u32 s3, s3, 0
	s_add_i32 s6, s6, -1
	v_add_u32_e32 v5, v2, v5
	v_lshrrev_b32_e32 v5, s7, v5
	v_mul_lo_u32 v8, v5, s8
	s_cmp_lg_u32 s6, 0
	v_sub_u32_e32 v8, v2, v8
	v_mad_u64_u32 v[1:2], s[8:9], v8, s10, v[1:2]
	v_mad_u64_u32 v[7:8], s[8:9], v8, s11, v[7:8]
	v_mov_b32_e32 v2, v5
	s_cbranch_scc1 .LBB13_40
.LBB13_41:
	s_cbranch_execnz .LBB13_44
.LBB13_42:
	s_load_dwordx4 s[4:7], s[34:35], 0x4
	s_load_dwordx2 s[2:3], s[34:35], 0xc4
	s_cmp_lt_u32 s33, 2
	s_waitcnt lgkmcnt(0)
	v_mul_hi_u32 v1, s5, v3
	v_add_u32_e32 v1, v3, v1
	v_lshrrev_b32_e32 v2, s6, v1
	v_mul_lo_u32 v1, v2, s4
	v_sub_u32_e32 v3, v3, v1
	v_mul_lo_u32 v1, v3, s2
	v_mul_lo_u32 v7, v3, s3
	s_cbranch_scc1 .LBB13_44
; %bb.43:
	s_load_dwordx4 s[4:7], s[34:35], 0x10
	s_load_dwordx2 s[2:3], s[34:35], 0xcc
	s_waitcnt lgkmcnt(0)
	v_mul_hi_u32 v3, s5, v2
	v_add_u32_e32 v3, v2, v3
	v_lshrrev_b32_e32 v3, s6, v3
	v_mul_lo_u32 v3, v3, s4
	v_sub_u32_e32 v3, v2, v3
	v_mad_u64_u32 v[1:2], s[4:5], v3, s2, v[1:2]
	v_mad_u64_u32 v[7:8], s[2:3], v3, s3, v[7:8]
.LBB13_44:
	s_and_b64 vcc, exec, s[0:1]
	v_add_u32_e32 v5, 0x100, v6
	s_cbranch_vccnz .LBB13_50
; %bb.45:
	s_cmp_lg_u32 s33, 0
	s_waitcnt lgkmcnt(0)
	s_mov_b32 s26, 0
	s_cbranch_scc0 .LBB13_51
; %bb.46:
	s_min_u32 s27, s54, 15
	s_add_i32 s27, s27, 1
	s_cmp_eq_u32 s54, 2
	s_cbranch_scc1 .LBB13_52
; %bb.47:
	s_and_b32 s26, s27, 28
	s_add_u32 s2, s34, 0xc4
	s_addc_u32 s3, s35, 0
	v_mov_b32_e32 v8, 0
	s_mov_b32 s28, 0
	s_mov_b64 s[24:25], s[34:35]
	v_mov_b32_e32 v2, 0
	v_mov_b32_e32 v3, v5
.LBB13_48:                              ; =>This Inner Loop Header: Depth=1
	s_load_dwordx8 s[12:19], s[24:25], 0x4
	s_load_dwordx4 s[20:23], s[24:25], 0x24
	s_load_dwordx8 s[4:11], s[2:3], 0x0
	s_add_u32 s24, s24, 48
	s_addc_u32 s25, s25, 0
	s_waitcnt lgkmcnt(0)
	v_mul_hi_u32 v6, s13, v3
	s_add_i32 s28, s28, 4
	s_add_u32 s2, s2, 32
	s_addc_u32 s3, s3, 0
	v_add_u32_e32 v6, v3, v6
	v_lshrrev_b32_e32 v6, s14, v6
	v_mul_lo_u32 v9, v6, s12
	v_mul_hi_u32 v10, s16, v6
	s_cmp_lg_u32 s26, s28
	v_sub_u32_e32 v3, v3, v9
	v_add_u32_e32 v9, v6, v10
	v_mul_lo_u32 v10, v3, s4
	v_mul_lo_u32 v12, v3, s5
	v_lshrrev_b32_e32 v3, s17, v9
	v_mul_lo_u32 v9, v3, s15
	v_mul_hi_u32 v13, s19, v3
	v_sub_u32_e32 v6, v6, v9
	v_add_u32_e32 v9, v3, v13
	v_lshrrev_b32_e32 v9, s20, v9
	v_mul_hi_u32 v14, s22, v9
	v_mul_lo_u32 v15, v9, s18
	v_mul_lo_u32 v13, v6, s6
	;; [unrolled: 1-line block ×3, first 2 shown]
	v_sub_u32_e32 v15, v3, v15
	v_add_u32_e32 v3, v9, v14
	v_lshrrev_b32_e32 v3, s23, v3
	v_mul_lo_u32 v14, v3, s21
	v_mul_lo_u32 v16, v15, s8
	v_mul_lo_u32 v15, v15, s9
	v_add3_u32 v2, v10, v2, v13
	v_sub_u32_e32 v9, v9, v14
	v_mul_lo_u32 v14, v9, s10
	v_mul_lo_u32 v9, v9, s11
	v_add3_u32 v6, v12, v8, v6
	v_add3_u32 v2, v16, v2, v14
	;; [unrolled: 1-line block ×3, first 2 shown]
	s_cbranch_scc1 .LBB13_48
; %bb.49:
	s_and_b32 s6, s27, 3
	s_cmp_eq_u32 s6, 0
	s_cbranch_scc0 .LBB13_53
	s_branch .LBB13_55
.LBB13_50:
                                        ; implicit-def: $vgpr2
                                        ; implicit-def: $vgpr8
	s_branch .LBB13_56
.LBB13_51:
	v_mov_b32_e32 v2, 0
	v_mov_b32_e32 v8, 0
	s_branch .LBB13_55
.LBB13_52:
	v_mov_b32_e32 v2, 0
	v_mov_b32_e32 v8, 0
	;; [unrolled: 1-line block ×3, first 2 shown]
	s_and_b32 s6, s27, 3
	s_cmp_eq_u32 s6, 0
	s_cbranch_scc1 .LBB13_55
.LBB13_53:
	s_lshl_b32 s2, s26, 3
	s_add_u32 s2, s34, s2
	s_addc_u32 s3, s35, 0
	s_add_u32 s2, s2, 0xc4
	s_addc_u32 s3, s3, 0
	s_mul_i32 s4, s26, 12
	s_add_u32 s4, s34, s4
	s_addc_u32 s5, s35, 0
.LBB13_54:                              ; =>This Inner Loop Header: Depth=1
	s_load_dwordx2 s[8:9], s[4:5], 0x4
	s_load_dword s7, s[4:5], 0xc
	s_load_dwordx2 s[10:11], s[2:3], 0x0
	s_add_u32 s4, s4, 12
	s_addc_u32 s5, s5, 0
	s_waitcnt lgkmcnt(0)
	v_mul_hi_u32 v6, s9, v3
	s_add_u32 s2, s2, 8
	s_addc_u32 s3, s3, 0
	s_add_i32 s6, s6, -1
	v_add_u32_e32 v6, v3, v6
	v_lshrrev_b32_e32 v6, s7, v6
	v_mul_lo_u32 v9, v6, s8
	s_cmp_lg_u32 s6, 0
	v_sub_u32_e32 v9, v3, v9
	v_mad_u64_u32 v[2:3], s[8:9], v9, s10, v[2:3]
	v_mad_u64_u32 v[8:9], s[8:9], v9, s11, v[8:9]
	v_mov_b32_e32 v3, v6
	s_cbranch_scc1 .LBB13_54
.LBB13_55:
	s_cbranch_execnz .LBB13_58
.LBB13_56:
	s_load_dwordx4 s[4:7], s[34:35], 0x4
	s_load_dwordx2 s[2:3], s[34:35], 0xc4
	s_cmp_lt_u32 s33, 2
	s_waitcnt lgkmcnt(0)
	v_mul_hi_u32 v2, s5, v5
	v_add_u32_e32 v2, v5, v2
	v_lshrrev_b32_e32 v3, s6, v2
	v_mul_lo_u32 v2, v3, s4
	v_sub_u32_e32 v5, v5, v2
	v_mul_lo_u32 v2, v5, s2
	v_mul_lo_u32 v8, v5, s3
	s_cbranch_scc1 .LBB13_58
; %bb.57:
	s_load_dwordx4 s[4:7], s[34:35], 0x10
	s_load_dwordx2 s[2:3], s[34:35], 0xcc
	s_waitcnt lgkmcnt(0)
	v_mul_hi_u32 v5, s5, v3
	v_add_u32_e32 v5, v3, v5
	v_lshrrev_b32_e32 v5, s6, v5
	v_mul_lo_u32 v5, v5, s4
	v_sub_u32_e32 v5, v3, v5
	v_mad_u64_u32 v[2:3], s[4:5], v5, s2, v[2:3]
	v_mad_u64_u32 v[8:9], s[2:3], v5, s3, v[8:9]
.LBB13_58:
	s_and_b64 vcc, exec, s[0:1]
	s_cbranch_vccnz .LBB13_64
; %bb.59:
	s_cmp_lg_u32 s33, 0
	s_waitcnt lgkmcnt(0)
	s_mov_b32 s24, 0
	s_cbranch_scc0 .LBB13_65
; %bb.60:
	s_min_u32 s25, s54, 15
	s_add_i32 s25, s25, 1
	s_cmp_eq_u32 s54, 2
	s_cbranch_scc1 .LBB13_66
; %bb.61:
	s_and_b32 s24, s25, 28
	s_add_u32 s20, s34, 0xc4
	s_addc_u32 s21, s35, 0
	v_mov_b32_e32 v9, 0
	s_mov_b32 s26, 0
	s_mov_b64 s[22:23], s[34:35]
	v_mov_b32_e32 v5, 0
	v_mov_b32_e32 v3, v11
.LBB13_62:                              ; =>This Inner Loop Header: Depth=1
	s_load_dwordx8 s[8:15], s[22:23], 0x4
	s_load_dwordx4 s[16:19], s[22:23], 0x24
	s_load_dwordx8 s[0:7], s[20:21], 0x0
	s_add_u32 s22, s22, 48
	s_addc_u32 s23, s23, 0
	s_waitcnt lgkmcnt(0)
	v_mul_hi_u32 v6, s9, v3
	s_add_i32 s26, s26, 4
	s_add_u32 s20, s20, 32
	s_addc_u32 s21, s21, 0
	v_add_u32_e32 v6, v3, v6
	v_lshrrev_b32_e32 v6, s10, v6
	v_mul_lo_u32 v10, v6, s8
	v_mul_hi_u32 v12, s12, v6
	s_cmp_lg_u32 s24, s26
	v_sub_u32_e32 v3, v3, v10
	v_add_u32_e32 v10, v6, v12
	v_mul_lo_u32 v12, v3, s0
	v_mul_lo_u32 v13, v3, s1
	v_lshrrev_b32_e32 v3, s13, v10
	v_mul_lo_u32 v10, v3, s11
	v_mul_hi_u32 v14, s15, v3
	v_sub_u32_e32 v6, v6, v10
	v_add_u32_e32 v10, v3, v14
	v_lshrrev_b32_e32 v10, s16, v10
	v_mul_hi_u32 v15, s18, v10
	v_mul_lo_u32 v16, v10, s14
	v_mul_lo_u32 v14, v6, s2
	v_mul_lo_u32 v6, v6, s3
	v_sub_u32_e32 v16, v3, v16
	v_add_u32_e32 v3, v10, v15
	v_lshrrev_b32_e32 v3, s19, v3
	v_mul_lo_u32 v15, v3, s17
	v_mul_lo_u32 v17, v16, s4
	;; [unrolled: 1-line block ×3, first 2 shown]
	v_add3_u32 v5, v12, v5, v14
	v_sub_u32_e32 v10, v10, v15
	v_mul_lo_u32 v15, v10, s6
	v_mul_lo_u32 v10, v10, s7
	v_add3_u32 v6, v13, v9, v6
	v_add3_u32 v5, v17, v5, v15
	;; [unrolled: 1-line block ×3, first 2 shown]
	s_cbranch_scc1 .LBB13_62
; %bb.63:
	s_and_b32 s4, s25, 3
	s_cmp_eq_u32 s4, 0
	s_cbranch_scc0 .LBB13_67
	s_branch .LBB13_69
.LBB13_64:
                                        ; implicit-def: $vgpr5
                                        ; implicit-def: $vgpr9
	s_branch .LBB13_70
.LBB13_65:
	v_mov_b32_e32 v5, 0
	v_mov_b32_e32 v9, 0
	s_branch .LBB13_69
.LBB13_66:
	v_mov_b32_e32 v5, 0
	v_mov_b32_e32 v9, 0
	;; [unrolled: 1-line block ×3, first 2 shown]
	s_and_b32 s4, s25, 3
	s_cmp_eq_u32 s4, 0
	s_cbranch_scc1 .LBB13_69
.LBB13_67:
	s_lshl_b32 s0, s24, 3
	s_add_u32 s0, s34, s0
	s_addc_u32 s1, s35, 0
	s_add_u32 s0, s0, 0xc4
	s_addc_u32 s1, s1, 0
	s_mul_i32 s2, s24, 12
	s_add_u32 s2, s34, s2
	s_addc_u32 s3, s35, 0
.LBB13_68:                              ; =>This Inner Loop Header: Depth=1
	s_load_dwordx2 s[6:7], s[2:3], 0x4
	s_load_dword s5, s[2:3], 0xc
	s_load_dwordx2 s[8:9], s[0:1], 0x0
	s_add_u32 s2, s2, 12
	s_addc_u32 s3, s3, 0
	s_waitcnt lgkmcnt(0)
	v_mul_hi_u32 v6, s7, v3
	s_add_u32 s0, s0, 8
	s_addc_u32 s1, s1, 0
	s_add_i32 s4, s4, -1
	v_add_u32_e32 v6, v3, v6
	v_lshrrev_b32_e32 v12, s5, v6
	v_mul_lo_u32 v6, v12, s6
	s_cmp_lg_u32 s4, 0
	v_sub_u32_e32 v3, v3, v6
	v_mad_u64_u32 v[5:6], s[6:7], v3, s8, v[5:6]
	v_mad_u64_u32 v[9:10], s[6:7], v3, s9, v[9:10]
	v_mov_b32_e32 v3, v12
	s_cbranch_scc1 .LBB13_68
.LBB13_69:
	s_cbranch_execnz .LBB13_72
.LBB13_70:
	s_load_dwordx4 s[0:3], s[34:35], 0x4
	s_load_dwordx2 s[4:5], s[34:35], 0xc4
	s_cmp_lt_u32 s33, 2
	s_waitcnt lgkmcnt(0)
	v_mul_hi_u32 v3, s1, v11
	v_add_u32_e32 v3, v11, v3
	v_lshrrev_b32_e32 v3, s2, v3
	v_mul_lo_u32 v5, v3, s0
	v_sub_u32_e32 v6, v11, v5
	v_mul_lo_u32 v5, v6, s4
	v_mul_lo_u32 v9, v6, s5
	s_cbranch_scc1 .LBB13_72
; %bb.71:
	s_load_dwordx4 s[0:3], s[34:35], 0x10
	s_load_dwordx2 s[4:5], s[34:35], 0xcc
	s_waitcnt lgkmcnt(0)
	v_mul_hi_u32 v6, s1, v3
	v_add_u32_e32 v6, v3, v6
	v_lshrrev_b32_e32 v6, s2, v6
	v_mul_lo_u32 v6, v6, s0
	v_sub_u32_e32 v3, v3, v6
	v_mad_u64_u32 v[5:6], s[0:1], v3, s4, v[5:6]
	v_mad_u64_u32 v[9:10], s[0:1], v3, s5, v[9:10]
.LBB13_72:
	s_load_dwordx4 s[8:11], s[34:35], 0x148
	s_brev_b32 s0, 18
                                        ; implicit-def: $vgpr6
                                        ; implicit-def: $vgpr10
	s_waitcnt lgkmcnt(0)
	global_load_dword v3, v4, s[10:11]
	s_waitcnt vmcnt(0)
	v_and_b32_e32 v4, 0x7fffffff, v3
	v_cmp_nlt_f32_e64 s[0:1], |v3|, s0
	s_and_saveexec_b64 s[2:3], s[0:1]
	s_xor_b64 s[6:7], exec, s[2:3]
	s_cbranch_execz .LBB13_74
; %bb.73:
	v_and_b32_e32 v6, 0x7fffff, v4
	v_or_b32_e32 v6, 0x800000, v6
	s_mov_b32 s0, 0xfe5163ab
	v_mad_u64_u32 v[10:11], s[0:1], v6, s0, 0
	v_mov_b32_e32 v12, 0
	s_mov_b32 s0, 0x3c439041
	v_mad_u64_u32 v[13:14], s[0:1], v6, s0, v[11:12]
	s_mov_b32 s0, 0xdb629599
	v_not_b32_e32 v18, 63
	v_mov_b32_e32 v11, v14
	v_mad_u64_u32 v[14:15], s[0:1], v6, s0, v[11:12]
	s_mov_b32 s0, 0xf534ddc0
	v_not_b32_e32 v20, 31
	v_mov_b32_e32 v11, v15
	v_mad_u64_u32 v[15:16], s[0:1], v6, s0, v[11:12]
	v_lshrrev_b32_e32 v11, 23, v4
	v_add_u32_e32 v19, 0xffffff88, v11
	v_mov_b32_e32 v11, v16
	s_mov_b32 s0, 0xfc2757d1
	v_mad_u64_u32 v[16:17], s[0:1], v6, s0, v[11:12]
	v_cmp_lt_u32_e32 vcc, 63, v19
	v_cndmask_b32_e32 v11, 0, v18, vcc
	v_add_u32_e32 v19, v11, v19
	v_mov_b32_e32 v11, v17
	s_mov_b32 s0, 0x4e441529
	v_mad_u64_u32 v[17:18], s[0:1], v6, s0, v[11:12]
	v_cmp_lt_u32_e64 s[0:1], 31, v19
	v_cndmask_b32_e64 v11, 0, v20, s[0:1]
	v_add_u32_e32 v19, v11, v19
	v_mov_b32_e32 v11, v18
	s_mov_b32 s2, 0xa2f9836e
	v_mad_u64_u32 v[11:12], s[2:3], v6, s2, v[11:12]
	v_cmp_lt_u32_e64 s[2:3], 31, v19
	v_cndmask_b32_e64 v6, 0, v20, s[2:3]
	v_cndmask_b32_e32 v18, v17, v15, vcc
	v_cndmask_b32_e32 v11, v11, v16, vcc
	;; [unrolled: 1-line block ×3, first 2 shown]
	v_add_u32_e32 v6, v6, v19
	v_cndmask_b32_e64 v19, v11, v18, s[0:1]
	v_cndmask_b32_e64 v11, v12, v11, s[0:1]
	v_cndmask_b32_e32 v12, v16, v14, vcc
	v_cndmask_b32_e64 v16, v18, v12, s[0:1]
	v_cndmask_b32_e64 v11, v11, v19, s[2:3]
	;; [unrolled: 1-line block ×3, first 2 shown]
	v_sub_u32_e32 v18, 32, v6
	v_alignbit_b32 v19, v11, v17, v18
	v_cmp_eq_u32_e64 s[4:5], 0, v6
	v_cndmask_b32_e64 v6, v19, v11, s[4:5]
	v_cndmask_b32_e32 v11, v15, v13, vcc
	v_cndmask_b32_e64 v12, v12, v11, s[0:1]
	v_cndmask_b32_e64 v13, v16, v12, s[2:3]
	v_alignbit_b32 v15, v17, v13, v18
	v_cndmask_b32_e32 v10, v14, v10, vcc
	v_cndmask_b32_e64 v15, v15, v17, s[4:5]
	v_bfe_u32 v19, v6, 29, 1
	v_cndmask_b32_e64 v10, v11, v10, s[0:1]
	v_alignbit_b32 v16, v6, v15, 30
	v_sub_u32_e32 v20, 0, v19
	v_cndmask_b32_e64 v10, v12, v10, s[2:3]
	v_xor_b32_e32 v16, v16, v20
	v_alignbit_b32 v11, v13, v10, v18
	v_cndmask_b32_e64 v11, v11, v13, s[4:5]
	v_ffbh_u32_e32 v13, v16
	v_alignbit_b32 v12, v15, v11, 30
	v_min_u32_e32 v13, 32, v13
	v_alignbit_b32 v10, v11, v10, 30
	v_xor_b32_e32 v12, v12, v20
	v_sub_u32_e32 v14, 31, v13
	v_xor_b32_e32 v10, v10, v20
	v_alignbit_b32 v15, v16, v12, v14
	v_alignbit_b32 v10, v12, v10, v14
	;; [unrolled: 1-line block ×3, first 2 shown]
	v_ffbh_u32_e32 v12, v11
	v_min_u32_e32 v12, 32, v12
	v_lshrrev_b32_e32 v17, 29, v6
	v_not_b32_e32 v14, v12
	v_alignbit_b32 v10, v11, v10, v14
	v_lshlrev_b32_e32 v11, 31, v17
	v_or_b32_e32 v14, 0x33000000, v11
	v_add_lshl_u32 v12, v12, v13, 23
	v_lshrrev_b32_e32 v10, 9, v10
	v_sub_u32_e32 v12, v14, v12
	v_or_b32_e32 v11, 0.5, v11
	v_lshlrev_b32_e32 v13, 23, v13
	v_or_b32_e32 v10, v12, v10
	v_lshrrev_b32_e32 v12, 9, v15
	v_sub_u32_e32 v11, v11, v13
	v_or_b32_e32 v11, v12, v11
	s_mov_b32 s0, 0x3fc90fda
	v_mul_f32_e32 v12, 0x3fc90fda, v11
	v_fma_f32 v13, v11, s0, -v12
	v_fmac_f32_e32 v13, 0x33a22168, v11
	v_fmac_f32_e32 v13, 0x3fc90fda, v10
	v_lshrrev_b32_e32 v6, 30, v6
	v_add_f32_e32 v10, v12, v13
	v_add_u32_e32 v6, v19, v6
.LBB13_74:
	s_andn2_saveexec_b64 s[0:1], s[6:7]
	s_cbranch_execz .LBB13_76
; %bb.75:
	s_mov_b32 s2, 0x3f22f983
	v_mul_f32_e64 v6, |v3|, s2
	v_rndne_f32_e32 v11, v6
	s_mov_b32 s2, 0xbfc90fda
	v_cvt_i32_f32_e32 v6, v11
	v_fma_f32 v10, v11, s2, |v3|
	v_fmac_f32_e32 v10, 0xb3a22168, v11
	v_fmac_f32_e32 v10, 0xa7c234c4, v11
.LBB13_76:
	s_or_b64 exec, exec, s[0:1]
	global_load_dword v7, v7, s[10:11]
	s_brev_b32 s0, 18
                                        ; implicit-def: $vgpr12
                                        ; implicit-def: $vgpr13
	s_waitcnt vmcnt(0)
	v_and_b32_e32 v11, 0x7fffffff, v7
	v_cmp_nlt_f32_e64 s[0:1], |v7|, s0
	s_and_saveexec_b64 s[2:3], s[0:1]
	s_xor_b64 s[6:7], exec, s[2:3]
	s_cbranch_execz .LBB13_78
; %bb.77:
	v_and_b32_e32 v12, 0x7fffff, v11
	v_or_b32_e32 v21, 0x800000, v12
	s_mov_b32 s0, 0xfe5163ab
	v_mad_u64_u32 v[12:13], s[0:1], v21, s0, 0
	v_mov_b32_e32 v14, 0
	s_mov_b32 s0, 0x3c439041
	v_mad_u64_u32 v[15:16], s[0:1], v21, s0, v[13:14]
	s_mov_b32 s0, 0xdb629599
	v_not_b32_e32 v20, 63
	v_mov_b32_e32 v13, v16
	v_mad_u64_u32 v[16:17], s[0:1], v21, s0, v[13:14]
	s_mov_b32 s0, 0xf534ddc0
	v_not_b32_e32 v23, 31
	v_mov_b32_e32 v13, v17
	v_mad_u64_u32 v[17:18], s[0:1], v21, s0, v[13:14]
	v_lshrrev_b32_e32 v13, 23, v11
	v_add_u32_e32 v22, 0xffffff88, v13
	v_mov_b32_e32 v13, v18
	s_mov_b32 s0, 0xfc2757d1
	v_mad_u64_u32 v[18:19], s[0:1], v21, s0, v[13:14]
	v_cmp_lt_u32_e32 vcc, 63, v22
	v_cndmask_b32_e32 v13, 0, v20, vcc
	v_add_u32_e32 v22, v13, v22
	v_mov_b32_e32 v13, v19
	s_mov_b32 s0, 0x4e441529
	v_mad_u64_u32 v[19:20], s[0:1], v21, s0, v[13:14]
	v_cmp_lt_u32_e64 s[0:1], 31, v22
	v_cndmask_b32_e64 v13, 0, v23, s[0:1]
	v_add_u32_e32 v22, v13, v22
	v_mov_b32_e32 v13, v20
	s_mov_b32 s2, 0xa2f9836e
	v_mad_u64_u32 v[13:14], s[2:3], v21, s2, v[13:14]
	v_cmp_lt_u32_e64 s[2:3], 31, v22
	v_cndmask_b32_e64 v20, 0, v23, s[2:3]
	v_cndmask_b32_e32 v21, v19, v17, vcc
	v_cndmask_b32_e32 v13, v13, v18, vcc
	;; [unrolled: 1-line block ×3, first 2 shown]
	v_add_u32_e32 v20, v20, v22
	v_cndmask_b32_e64 v22, v13, v21, s[0:1]
	v_cndmask_b32_e64 v13, v14, v13, s[0:1]
	v_cndmask_b32_e32 v14, v18, v16, vcc
	v_cndmask_b32_e64 v18, v21, v14, s[0:1]
	v_cndmask_b32_e64 v13, v13, v22, s[2:3]
	;; [unrolled: 1-line block ×3, first 2 shown]
	v_sub_u32_e32 v21, 32, v20
	v_alignbit_b32 v22, v13, v19, v21
	v_cmp_eq_u32_e64 s[4:5], 0, v20
	v_cndmask_b32_e64 v20, v22, v13, s[4:5]
	v_cndmask_b32_e32 v13, v17, v15, vcc
	v_cndmask_b32_e64 v14, v14, v13, s[0:1]
	v_cndmask_b32_e64 v15, v18, v14, s[2:3]
	v_alignbit_b32 v17, v19, v15, v21
	v_cndmask_b32_e32 v12, v16, v12, vcc
	v_cndmask_b32_e64 v17, v17, v19, s[4:5]
	v_bfe_u32 v22, v20, 29, 1
	v_cndmask_b32_e64 v12, v13, v12, s[0:1]
	v_alignbit_b32 v18, v20, v17, 30
	v_sub_u32_e32 v23, 0, v22
	v_cndmask_b32_e64 v12, v14, v12, s[2:3]
	v_xor_b32_e32 v18, v18, v23
	v_alignbit_b32 v13, v15, v12, v21
	v_cndmask_b32_e64 v13, v13, v15, s[4:5]
	v_ffbh_u32_e32 v15, v18
	v_alignbit_b32 v14, v17, v13, 30
	v_min_u32_e32 v15, 32, v15
	v_alignbit_b32 v12, v13, v12, 30
	v_xor_b32_e32 v14, v14, v23
	v_sub_u32_e32 v16, 31, v15
	v_xor_b32_e32 v12, v12, v23
	v_alignbit_b32 v17, v18, v14, v16
	v_alignbit_b32 v12, v14, v12, v16
	;; [unrolled: 1-line block ×3, first 2 shown]
	v_ffbh_u32_e32 v14, v13
	v_min_u32_e32 v14, 32, v14
	v_lshrrev_b32_e32 v19, 29, v20
	v_not_b32_e32 v16, v14
	v_alignbit_b32 v12, v13, v12, v16
	v_lshlrev_b32_e32 v13, 31, v19
	v_or_b32_e32 v16, 0x33000000, v13
	v_add_lshl_u32 v14, v14, v15, 23
	v_lshrrev_b32_e32 v12, 9, v12
	v_sub_u32_e32 v14, v16, v14
	v_or_b32_e32 v13, 0.5, v13
	v_lshlrev_b32_e32 v15, 23, v15
	v_or_b32_e32 v12, v14, v12
	v_lshrrev_b32_e32 v14, 9, v17
	v_sub_u32_e32 v13, v13, v15
	v_or_b32_e32 v13, v14, v13
	s_mov_b32 s0, 0x3fc90fda
	v_mul_f32_e32 v14, 0x3fc90fda, v13
	v_fma_f32 v15, v13, s0, -v14
	v_fmac_f32_e32 v15, 0x33a22168, v13
	v_fmac_f32_e32 v15, 0x3fc90fda, v12
	v_lshrrev_b32_e32 v12, 30, v20
	v_add_f32_e32 v13, v14, v15
	v_add_u32_e32 v12, v22, v12
.LBB13_78:
	s_andn2_saveexec_b64 s[0:1], s[6:7]
	s_cbranch_execz .LBB13_80
; %bb.79:
	s_mov_b32 s2, 0x3f22f983
	v_mul_f32_e64 v12, |v7|, s2
	v_rndne_f32_e32 v14, v12
	s_mov_b32 s2, 0xbfc90fda
	v_cvt_i32_f32_e32 v12, v14
	v_fma_f32 v13, v14, s2, |v7|
	v_fmac_f32_e32 v13, 0xb3a22168, v14
	v_fmac_f32_e32 v13, 0xa7c234c4, v14
.LBB13_80:
	s_or_b64 exec, exec, s[0:1]
	global_load_dword v8, v8, s[10:11]
	s_brev_b32 s0, 18
                                        ; implicit-def: $vgpr16
                                        ; implicit-def: $vgpr17
	s_waitcnt vmcnt(0)
	v_and_b32_e32 v14, 0x7fffffff, v8
	v_cmp_nlt_f32_e64 s[0:1], |v8|, s0
	s_and_saveexec_b64 s[2:3], s[0:1]
	s_xor_b64 s[6:7], exec, s[2:3]
	s_cbranch_execz .LBB13_82
; %bb.81:
	v_and_b32_e32 v15, 0x7fffff, v14
	v_or_b32_e32 v24, 0x800000, v15
	s_mov_b32 s0, 0xfe5163ab
	v_mad_u64_u32 v[15:16], s[0:1], v24, s0, 0
	v_mov_b32_e32 v17, 0
	s_mov_b32 s0, 0x3c439041
	v_mad_u64_u32 v[18:19], s[0:1], v24, s0, v[16:17]
	s_mov_b32 s0, 0xdb629599
	v_not_b32_e32 v23, 63
	v_mov_b32_e32 v16, v19
	v_mad_u64_u32 v[19:20], s[0:1], v24, s0, v[16:17]
	s_mov_b32 s0, 0xf534ddc0
	v_not_b32_e32 v26, 31
	v_mov_b32_e32 v16, v20
	v_mad_u64_u32 v[20:21], s[0:1], v24, s0, v[16:17]
	v_lshrrev_b32_e32 v16, 23, v14
	v_add_u32_e32 v25, 0xffffff88, v16
	v_mov_b32_e32 v16, v21
	s_mov_b32 s0, 0xfc2757d1
	v_mad_u64_u32 v[21:22], s[0:1], v24, s0, v[16:17]
	v_cmp_lt_u32_e32 vcc, 63, v25
	v_cndmask_b32_e32 v16, 0, v23, vcc
	v_add_u32_e32 v25, v16, v25
	v_mov_b32_e32 v16, v22
	s_mov_b32 s0, 0x4e441529
	v_mad_u64_u32 v[22:23], s[0:1], v24, s0, v[16:17]
	v_cmp_lt_u32_e64 s[0:1], 31, v25
	v_cndmask_b32_e64 v16, 0, v26, s[0:1]
	v_add_u32_e32 v25, v16, v25
	v_mov_b32_e32 v16, v23
	s_mov_b32 s2, 0xa2f9836e
	v_mad_u64_u32 v[16:17], s[2:3], v24, s2, v[16:17]
	v_cmp_lt_u32_e64 s[2:3], 31, v25
	v_cndmask_b32_e64 v23, 0, v26, s[2:3]
	v_cndmask_b32_e32 v24, v22, v20, vcc
	v_cndmask_b32_e32 v16, v16, v21, vcc
	;; [unrolled: 1-line block ×3, first 2 shown]
	v_add_u32_e32 v23, v23, v25
	v_cndmask_b32_e64 v25, v16, v24, s[0:1]
	v_cndmask_b32_e64 v16, v17, v16, s[0:1]
	v_cndmask_b32_e32 v17, v21, v19, vcc
	v_cndmask_b32_e64 v21, v24, v17, s[0:1]
	v_cndmask_b32_e32 v18, v20, v18, vcc
	v_cndmask_b32_e64 v16, v16, v25, s[2:3]
	v_cndmask_b32_e64 v22, v25, v21, s[2:3]
	v_sub_u32_e32 v24, 32, v23
	v_cndmask_b32_e64 v17, v17, v18, s[0:1]
	v_alignbit_b32 v25, v16, v22, v24
	v_cmp_eq_u32_e64 s[4:5], 0, v23
	v_cndmask_b32_e64 v20, v21, v17, s[2:3]
	v_cndmask_b32_e64 v16, v25, v16, s[4:5]
	v_alignbit_b32 v21, v22, v20, v24
	v_cndmask_b32_e32 v15, v19, v15, vcc
	v_cndmask_b32_e64 v21, v21, v22, s[4:5]
	v_bfe_u32 v25, v16, 29, 1
	v_cndmask_b32_e64 v15, v18, v15, s[0:1]
	v_alignbit_b32 v22, v16, v21, 30
	v_sub_u32_e32 v26, 0, v25
	v_cndmask_b32_e64 v15, v17, v15, s[2:3]
	v_xor_b32_e32 v22, v22, v26
	v_alignbit_b32 v17, v20, v15, v24
	v_cndmask_b32_e64 v17, v17, v20, s[4:5]
	v_ffbh_u32_e32 v19, v22
	v_alignbit_b32 v18, v21, v17, 30
	v_min_u32_e32 v19, 32, v19
	v_alignbit_b32 v15, v17, v15, 30
	v_xor_b32_e32 v18, v18, v26
	v_sub_u32_e32 v20, 31, v19
	v_xor_b32_e32 v15, v15, v26
	v_alignbit_b32 v21, v22, v18, v20
	v_alignbit_b32 v15, v18, v15, v20
	;; [unrolled: 1-line block ×3, first 2 shown]
	v_ffbh_u32_e32 v18, v17
	v_min_u32_e32 v18, 32, v18
	v_lshrrev_b32_e32 v23, 29, v16
	v_not_b32_e32 v20, v18
	v_alignbit_b32 v15, v17, v15, v20
	v_lshlrev_b32_e32 v17, 31, v23
	v_or_b32_e32 v20, 0x33000000, v17
	v_add_lshl_u32 v18, v18, v19, 23
	v_lshrrev_b32_e32 v15, 9, v15
	v_sub_u32_e32 v18, v20, v18
	v_or_b32_e32 v17, 0.5, v17
	v_lshlrev_b32_e32 v19, 23, v19
	v_or_b32_e32 v15, v18, v15
	v_lshrrev_b32_e32 v18, 9, v21
	v_sub_u32_e32 v17, v17, v19
	v_or_b32_e32 v17, v18, v17
	s_mov_b32 s0, 0x3fc90fda
	v_mul_f32_e32 v18, 0x3fc90fda, v17
	v_fma_f32 v19, v17, s0, -v18
	v_fmac_f32_e32 v19, 0x33a22168, v17
	v_fmac_f32_e32 v19, 0x3fc90fda, v15
	v_lshrrev_b32_e32 v15, 30, v16
	v_add_f32_e32 v17, v18, v19
	v_add_u32_e32 v16, v25, v15
.LBB13_82:
	s_andn2_saveexec_b64 s[0:1], s[6:7]
	s_cbranch_execz .LBB13_84
; %bb.83:
	s_mov_b32 s2, 0x3f22f983
	v_mul_f32_e64 v15, |v8|, s2
	v_rndne_f32_e32 v15, v15
	s_mov_b32 s2, 0xbfc90fda
	v_cvt_i32_f32_e32 v16, v15
	v_fma_f32 v17, v15, s2, |v8|
	v_fmac_f32_e32 v17, 0xb3a22168, v15
	v_fmac_f32_e32 v17, 0xa7c234c4, v15
.LBB13_84:
	s_or_b64 exec, exec, s[0:1]
	global_load_dword v9, v9, s[10:11]
	s_brev_b32 s0, 18
                                        ; implicit-def: $vgpr18
                                        ; implicit-def: $vgpr19
	s_waitcnt vmcnt(0)
	v_and_b32_e32 v15, 0x7fffffff, v9
	v_cmp_nlt_f32_e64 s[0:1], |v9|, s0
	s_and_saveexec_b64 s[2:3], s[0:1]
	s_xor_b64 s[6:7], exec, s[2:3]
	s_cbranch_execz .LBB13_86
; %bb.85:
	v_and_b32_e32 v18, 0x7fffff, v15
	v_or_b32_e32 v27, 0x800000, v18
	s_mov_b32 s0, 0xfe5163ab
	v_mad_u64_u32 v[18:19], s[0:1], v27, s0, 0
	v_mov_b32_e32 v20, 0
	s_mov_b32 s0, 0x3c439041
	v_mad_u64_u32 v[21:22], s[0:1], v27, s0, v[19:20]
	s_mov_b32 s0, 0xdb629599
	v_not_b32_e32 v26, 63
	v_mov_b32_e32 v19, v22
	v_mad_u64_u32 v[22:23], s[0:1], v27, s0, v[19:20]
	s_mov_b32 s0, 0xf534ddc0
	v_not_b32_e32 v29, 31
	v_mov_b32_e32 v19, v23
	v_mad_u64_u32 v[23:24], s[0:1], v27, s0, v[19:20]
	v_lshrrev_b32_e32 v19, 23, v15
	v_add_u32_e32 v28, 0xffffff88, v19
	v_mov_b32_e32 v19, v24
	s_mov_b32 s0, 0xfc2757d1
	v_mad_u64_u32 v[24:25], s[0:1], v27, s0, v[19:20]
	v_cmp_lt_u32_e32 vcc, 63, v28
	v_cndmask_b32_e32 v19, 0, v26, vcc
	v_add_u32_e32 v28, v19, v28
	v_mov_b32_e32 v19, v25
	s_mov_b32 s0, 0x4e441529
	v_mad_u64_u32 v[25:26], s[0:1], v27, s0, v[19:20]
	v_cmp_lt_u32_e64 s[0:1], 31, v28
	v_cndmask_b32_e64 v19, 0, v29, s[0:1]
	v_add_u32_e32 v28, v19, v28
	v_mov_b32_e32 v19, v26
	s_mov_b32 s2, 0xa2f9836e
	v_mad_u64_u32 v[19:20], s[2:3], v27, s2, v[19:20]
	v_cmp_lt_u32_e64 s[2:3], 31, v28
	v_cndmask_b32_e32 v27, v25, v23, vcc
	v_cndmask_b32_e32 v20, v20, v25, vcc
	;; [unrolled: 1-line block ×3, first 2 shown]
	v_cndmask_b32_e64 v26, 0, v29, s[2:3]
	v_cndmask_b32_e64 v25, v19, v27, s[0:1]
	v_cndmask_b32_e64 v19, v20, v19, s[0:1]
	v_cndmask_b32_e32 v20, v24, v22, vcc
	v_add_u32_e32 v26, v26, v28
	v_cndmask_b32_e64 v24, v27, v20, s[0:1]
	v_cndmask_b32_e64 v19, v19, v25, s[2:3]
	v_cndmask_b32_e64 v25, v25, v24, s[2:3]
	v_sub_u32_e32 v27, 32, v26
	v_alignbit_b32 v28, v19, v25, v27
	v_cmp_eq_u32_e64 s[4:5], 0, v26
	v_cndmask_b32_e64 v26, v28, v19, s[4:5]
	v_cndmask_b32_e32 v19, v23, v21, vcc
	v_cndmask_b32_e64 v20, v20, v19, s[0:1]
	v_cndmask_b32_e64 v21, v24, v20, s[2:3]
	v_alignbit_b32 v23, v25, v21, v27
	v_cndmask_b32_e32 v18, v22, v18, vcc
	v_cndmask_b32_e64 v23, v23, v25, s[4:5]
	v_bfe_u32 v28, v26, 29, 1
	v_cndmask_b32_e64 v18, v19, v18, s[0:1]
	v_alignbit_b32 v24, v26, v23, 30
	v_sub_u32_e32 v29, 0, v28
	v_cndmask_b32_e64 v18, v20, v18, s[2:3]
	v_xor_b32_e32 v24, v24, v29
	v_alignbit_b32 v19, v21, v18, v27
	v_cndmask_b32_e64 v19, v19, v21, s[4:5]
	v_ffbh_u32_e32 v21, v24
	v_alignbit_b32 v20, v23, v19, 30
	v_min_u32_e32 v21, 32, v21
	v_alignbit_b32 v18, v19, v18, 30
	v_xor_b32_e32 v20, v20, v29
	v_sub_u32_e32 v22, 31, v21
	v_xor_b32_e32 v18, v18, v29
	v_alignbit_b32 v23, v24, v20, v22
	v_alignbit_b32 v18, v20, v18, v22
	;; [unrolled: 1-line block ×3, first 2 shown]
	v_ffbh_u32_e32 v20, v19
	v_min_u32_e32 v20, 32, v20
	v_lshrrev_b32_e32 v25, 29, v26
	v_not_b32_e32 v22, v20
	v_alignbit_b32 v18, v19, v18, v22
	v_lshlrev_b32_e32 v19, 31, v25
	v_or_b32_e32 v22, 0x33000000, v19
	v_add_lshl_u32 v20, v20, v21, 23
	v_lshrrev_b32_e32 v18, 9, v18
	v_sub_u32_e32 v20, v22, v20
	v_or_b32_e32 v19, 0.5, v19
	v_lshlrev_b32_e32 v21, 23, v21
	v_or_b32_e32 v18, v20, v18
	v_lshrrev_b32_e32 v20, 9, v23
	v_sub_u32_e32 v19, v19, v21
	v_or_b32_e32 v19, v20, v19
	s_mov_b32 s0, 0x3fc90fda
	v_mul_f32_e32 v20, 0x3fc90fda, v19
	v_fma_f32 v21, v19, s0, -v20
	v_fmac_f32_e32 v21, 0x33a22168, v19
	v_fmac_f32_e32 v21, 0x3fc90fda, v18
	v_lshrrev_b32_e32 v18, 30, v26
	v_add_f32_e32 v19, v20, v21
	v_add_u32_e32 v18, v28, v18
.LBB13_86:
	s_andn2_saveexec_b64 s[0:1], s[6:7]
	s_cbranch_execz .LBB13_88
; %bb.87:
	s_mov_b32 s2, 0x3f22f983
	v_mul_f32_e64 v18, |v9|, s2
	v_rndne_f32_e32 v20, v18
	s_mov_b32 s2, 0xbfc90fda
	v_cvt_i32_f32_e32 v18, v20
	v_fma_f32 v19, v20, s2, |v9|
	v_fmac_f32_e32 v19, 0xb3a22168, v20
	v_fmac_f32_e32 v19, 0xa7c234c4, v20
.LBB13_88:
	s_or_b64 exec, exec, s[0:1]
	v_mul_f32_e32 v20, v17, v17
	v_mov_b32_e32 v21, 0x3c0881c4
	v_fmac_f32_e32 v21, 0xb94c1982, v20
	v_mov_b32_e32 v22, 0xbe2aaa9d
	v_fma_f32 v21, v20, v21, v22
	v_mul_f32_e32 v21, v20, v21
	v_fmac_f32_e32 v17, v17, v21
	v_mov_b32_e32 v21, 0xbab64f3b
	v_fmac_f32_e32 v21, 0x37d75334, v20
	v_mov_b32_e32 v23, 0x3d2aabf7
	v_fma_f32 v21, v20, v21, v23
	v_mov_b32_e32 v24, 0xbf000004
	v_fma_f32 v21, v20, v21, v24
	v_fma_f32 v20, v20, v21, 1.0
	v_and_b32_e32 v21, 1, v16
	v_lshlrev_b32_e32 v16, 30, v16
	v_cmp_eq_u32_e32 vcc, 0, v21
	v_and_b32_e32 v16, 0x80000000, v16
	v_xor_b32_e32 v14, v14, v8
	v_cndmask_b32_e32 v17, v20, v17, vcc
	v_xor_b32_e32 v14, v14, v16
	s_movk_i32 s2, 0x1f8
	v_xor_b32_e32 v14, v14, v17
	v_cmp_class_f32_e64 vcc, v8, s2
	v_mul_f32_e32 v8, v13, v13
	v_mov_b32_e32 v17, 0x3c0881c4
	v_fmac_f32_e32 v17, 0xb94c1982, v8
	v_fma_f32 v17, v8, v17, v22
	v_mul_f32_e32 v17, v8, v17
	v_fmac_f32_e32 v13, v13, v17
	v_mov_b32_e32 v17, 0xbab64f3b
	v_fmac_f32_e32 v17, 0x37d75334, v8
	v_fma_f32 v17, v8, v17, v23
	v_fma_f32 v17, v8, v17, v24
	v_fma_f32 v8, v8, v17, 1.0
	v_and_b32_e32 v17, 1, v12
	v_lshlrev_b32_e32 v12, 30, v12
	v_cmp_eq_u32_e64 s[0:1], 0, v17
	v_and_b32_e32 v12, 0x80000000, v12
	v_xor_b32_e32 v11, v11, v7
	v_mov_b32_e32 v16, 0x7fc00000
	v_cndmask_b32_e64 v8, v8, v13, s[0:1]
	v_xor_b32_e32 v11, v11, v12
	v_cndmask_b32_e32 v14, v16, v14, vcc
	v_xor_b32_e32 v8, v11, v8
	v_cmp_class_f32_e64 vcc, v7, s2
	v_cndmask_b32_e32 v7, v16, v8, vcc
	v_mul_f32_e32 v8, v10, v10
	v_mov_b32_e32 v11, 0x3c0881c4
	v_fmac_f32_e32 v11, 0xb94c1982, v8
	v_fma_f32 v11, v8, v11, v22
	v_mul_f32_e32 v11, v8, v11
	v_fmac_f32_e32 v10, v10, v11
	v_mov_b32_e32 v11, 0xbab64f3b
	v_fmac_f32_e32 v11, 0x37d75334, v8
	v_fma_f32 v11, v8, v11, v23
	v_fma_f32 v11, v8, v11, v24
	v_fma_f32 v8, v8, v11, 1.0
	v_and_b32_e32 v11, 1, v6
	v_lshlrev_b32_e32 v6, 30, v6
	v_cmp_eq_u32_e32 vcc, 0, v11
	v_and_b32_e32 v6, 0x80000000, v6
	v_xor_b32_e32 v4, v4, v3
	v_cndmask_b32_e32 v8, v8, v10, vcc
	v_xor_b32_e32 v4, v4, v6
	v_xor_b32_e32 v4, v4, v8
	v_cmp_class_f32_e64 vcc, v3, s2
	v_mov_b32_e32 v20, 0x3c0881c4
	v_cndmask_b32_e32 v3, v16, v4, vcc
	v_mul_f32_e32 v4, v19, v19
	v_fmac_f32_e32 v20, 0xb94c1982, v4
	v_mov_b32_e32 v17, 0xbab64f3b
	v_fmac_f32_e32 v22, v4, v20
	v_mul_f32_e32 v6, v4, v22
	v_fmac_f32_e32 v17, 0x37d75334, v4
	v_fmac_f32_e32 v19, v19, v6
	;; [unrolled: 1-line block ×3, first 2 shown]
	v_and_b32_e32 v6, 1, v18
	v_fmac_f32_e32 v24, v4, v23
	v_cmp_eq_u32_e32 vcc, 0, v6
	v_lshlrev_b32_e32 v6, 30, v18
	v_fma_f32 v4, v4, v24, 1.0
	v_and_b32_e32 v6, 0x80000000, v6
	v_xor_b32_e32 v8, v15, v9
	v_cndmask_b32_e32 v4, v4, v19, vcc
	v_xor_b32_e32 v6, v8, v6
	v_xor_b32_e32 v4, v6, v4
	v_cmp_class_f32_e64 vcc, v9, s2
	v_cndmask_b32_e32 v4, v16, v4, vcc
	global_store_dword v0, v3, s[8:9]
	global_store_dword v1, v7, s[8:9]
	;; [unrolled: 1-line block ×4, first 2 shown]
	s_endpgm
.LBB13_89:
	v_mov_b32_e32 v0, 0
	v_mov_b32_e32 v2, 0
	s_branch .LBB13_95
.LBB13_90:
	v_mov_b32_e32 v0, 0
	v_mov_b32_e32 v2, 0
	s_branch .LBB13_115
.LBB13_91:
	s_mov_b32 s57, 0
	v_mov_b32_e32 v0, 0
	v_mov_b32_e32 v2, 0
	;; [unrolled: 1-line block ×3, first 2 shown]
.LBB13_92:
	s_and_b32 s4, s58, 3
	s_cmp_eq_u32 s4, 0
	s_cbranch_scc1 .LBB13_95
; %bb.93:
	s_lshl_b32 s0, s57, 3
	s_add_u32 s0, s34, s0
	s_addc_u32 s1, s35, 0
	s_add_u32 s0, s0, 0xc4
	s_addc_u32 s1, s1, 0
	s_mul_i32 s2, s57, 12
	s_add_u32 s2, s34, s2
	s_addc_u32 s3, s35, 0
.LBB13_94:                              ; =>This Inner Loop Header: Depth=1
	s_load_dwordx2 s[6:7], s[2:3], 0x4
	s_load_dword s5, s[2:3], 0xc
	s_load_dwordx2 s[8:9], s[0:1], 0x0
	s_add_u32 s2, s2, 12
	s_addc_u32 s3, s3, 0
	s_waitcnt lgkmcnt(0)
	v_mul_hi_u32 v3, s7, v1
	s_add_u32 s0, s0, 8
	s_addc_u32 s1, s1, 0
	s_add_i32 s4, s4, -1
	v_add_u32_e32 v3, v1, v3
	v_lshrrev_b32_e32 v4, s5, v3
	v_mul_lo_u32 v3, v4, s6
	s_cmp_lg_u32 s4, 0
	v_sub_u32_e32 v3, v1, v3
	v_mad_u64_u32 v[0:1], s[6:7], v3, s8, v[0:1]
	v_mad_u64_u32 v[2:3], s[6:7], v3, s9, v[2:3]
	v_mov_b32_e32 v1, v4
	s_cbranch_scc1 .LBB13_94
.LBB13_95:
	s_cbranch_execnz .LBB13_98
.LBB13_96:
	s_waitcnt lgkmcnt(0)
	v_mul_hi_u32 v0, s25, v6
	s_andn2_b64 vcc, exec, s[42:43]
	v_add_u32_e32 v0, v6, v0
	v_lshrrev_b32_e32 v1, s26, v0
	v_mul_lo_u32 v0, v1, s24
	v_sub_u32_e32 v2, v6, v0
	v_mul_lo_u32 v0, v2, s20
	v_mul_lo_u32 v2, v2, s21
	s_cbranch_vccnz .LBB13_98
; %bb.97:
	v_mul_hi_u32 v3, s40, v1
	v_add_u32_e32 v3, v1, v3
	v_lshrrev_b32_e32 v3, s41, v3
	v_mul_lo_u32 v3, v3, s27
	v_sub_u32_e32 v3, v1, v3
	v_mad_u64_u32 v[0:1], s[0:1], v3, s22, v[0:1]
	v_mad_u64_u32 v[2:3], s[0:1], v3, s23, v[2:3]
.LBB13_98:
	s_waitcnt lgkmcnt(0)
	global_load_dword v1, v2, s[18:19]
	s_brev_b32 s0, 18
                                        ; implicit-def: $vgpr3
                                        ; implicit-def: $vgpr4
	s_waitcnt vmcnt(0)
	v_and_b32_e32 v2, 0x7fffffff, v1
	v_cmp_nlt_f32_e64 s[0:1], |v1|, s0
	s_and_saveexec_b64 s[2:3], s[0:1]
	s_xor_b64 s[6:7], exec, s[2:3]
	s_cbranch_execz .LBB13_100
; %bb.99:
	v_and_b32_e32 v3, 0x7fffff, v2
	v_or_b32_e32 v13, 0x800000, v3
	s_mov_b32 s0, 0xfe5163ab
	v_mad_u64_u32 v[3:4], s[0:1], v13, s0, 0
	v_mov_b32_e32 v5, 0
	s_mov_b32 s0, 0x3c439041
	v_mad_u64_u32 v[7:8], s[0:1], v13, s0, v[4:5]
	s_mov_b32 s0, 0xdb629599
	v_not_b32_e32 v12, 63
	v_mov_b32_e32 v4, v8
	v_mad_u64_u32 v[8:9], s[0:1], v13, s0, v[4:5]
	s_mov_b32 s0, 0xf534ddc0
	v_not_b32_e32 v15, 31
	v_mov_b32_e32 v4, v9
	v_mad_u64_u32 v[9:10], s[0:1], v13, s0, v[4:5]
	v_lshrrev_b32_e32 v4, 23, v2
	v_add_u32_e32 v14, 0xffffff88, v4
	v_mov_b32_e32 v4, v10
	s_mov_b32 s0, 0xfc2757d1
	v_mad_u64_u32 v[10:11], s[0:1], v13, s0, v[4:5]
	v_cmp_lt_u32_e32 vcc, 63, v14
	v_cndmask_b32_e32 v4, 0, v12, vcc
	v_add_u32_e32 v14, v4, v14
	v_mov_b32_e32 v4, v11
	s_mov_b32 s0, 0x4e441529
	v_mad_u64_u32 v[11:12], s[0:1], v13, s0, v[4:5]
	v_cmp_lt_u32_e64 s[0:1], 31, v14
	v_cndmask_b32_e64 v4, 0, v15, s[0:1]
	v_add_u32_e32 v14, v4, v14
	v_mov_b32_e32 v4, v12
	s_mov_b32 s2, 0xa2f9836e
	v_mad_u64_u32 v[4:5], s[2:3], v13, s2, v[4:5]
	v_cmp_lt_u32_e64 s[2:3], 31, v14
	v_cndmask_b32_e64 v12, 0, v15, s[2:3]
	v_cndmask_b32_e32 v13, v11, v9, vcc
	v_cndmask_b32_e32 v4, v4, v10, vcc
	;; [unrolled: 1-line block ×3, first 2 shown]
	v_add_u32_e32 v12, v12, v14
	v_cndmask_b32_e64 v14, v4, v13, s[0:1]
	v_cndmask_b32_e64 v4, v5, v4, s[0:1]
	v_cndmask_b32_e32 v5, v10, v8, vcc
	v_cndmask_b32_e64 v10, v13, v5, s[0:1]
	v_cndmask_b32_e64 v4, v4, v14, s[2:3]
	;; [unrolled: 1-line block ×3, first 2 shown]
	v_sub_u32_e32 v13, 32, v12
	v_alignbit_b32 v14, v4, v11, v13
	v_cmp_eq_u32_e64 s[4:5], 0, v12
	v_cndmask_b32_e64 v12, v14, v4, s[4:5]
	v_cndmask_b32_e32 v4, v9, v7, vcc
	v_cndmask_b32_e64 v5, v5, v4, s[0:1]
	v_cndmask_b32_e64 v7, v10, v5, s[2:3]
	v_alignbit_b32 v9, v11, v7, v13
	v_cndmask_b32_e32 v3, v8, v3, vcc
	v_cndmask_b32_e64 v9, v9, v11, s[4:5]
	v_bfe_u32 v14, v12, 29, 1
	v_cndmask_b32_e64 v3, v4, v3, s[0:1]
	v_alignbit_b32 v10, v12, v9, 30
	v_sub_u32_e32 v15, 0, v14
	v_cndmask_b32_e64 v3, v5, v3, s[2:3]
	v_xor_b32_e32 v10, v10, v15
	v_alignbit_b32 v4, v7, v3, v13
	v_cndmask_b32_e64 v4, v4, v7, s[4:5]
	v_ffbh_u32_e32 v7, v10
	v_alignbit_b32 v5, v9, v4, 30
	v_min_u32_e32 v7, 32, v7
	v_alignbit_b32 v3, v4, v3, 30
	v_xor_b32_e32 v5, v5, v15
	v_sub_u32_e32 v8, 31, v7
	v_xor_b32_e32 v3, v3, v15
	v_alignbit_b32 v9, v10, v5, v8
	v_alignbit_b32 v3, v5, v3, v8
	;; [unrolled: 1-line block ×3, first 2 shown]
	v_ffbh_u32_e32 v5, v4
	v_min_u32_e32 v5, 32, v5
	v_lshrrev_b32_e32 v11, 29, v12
	v_not_b32_e32 v8, v5
	v_alignbit_b32 v3, v4, v3, v8
	v_lshlrev_b32_e32 v4, 31, v11
	v_or_b32_e32 v8, 0x33000000, v4
	v_add_lshl_u32 v5, v5, v7, 23
	v_lshrrev_b32_e32 v3, 9, v3
	v_sub_u32_e32 v5, v8, v5
	v_or_b32_e32 v4, 0.5, v4
	v_lshlrev_b32_e32 v7, 23, v7
	v_or_b32_e32 v3, v5, v3
	v_lshrrev_b32_e32 v5, 9, v9
	v_sub_u32_e32 v4, v4, v7
	v_or_b32_e32 v4, v5, v4
	s_mov_b32 s0, 0x3fc90fda
	v_mul_f32_e32 v5, 0x3fc90fda, v4
	v_fma_f32 v7, v4, s0, -v5
	v_fmac_f32_e32 v7, 0x33a22168, v4
	v_fmac_f32_e32 v7, 0x3fc90fda, v3
	v_lshrrev_b32_e32 v3, 30, v12
	v_add_f32_e32 v4, v5, v7
	v_add_u32_e32 v3, v14, v3
.LBB13_100:
	s_andn2_saveexec_b64 s[0:1], s[6:7]
	s_cbranch_execz .LBB13_102
; %bb.101:
	s_mov_b32 s2, 0x3f22f983
	v_mul_f32_e64 v3, |v1|, s2
	v_rndne_f32_e32 v5, v3
	s_mov_b32 s2, 0xbfc90fda
	v_cvt_i32_f32_e32 v3, v5
	v_fma_f32 v4, v5, s2, |v1|
	v_fmac_f32_e32 v4, 0xb3a22168, v5
	v_fmac_f32_e32 v4, 0xa7c234c4, v5
.LBB13_102:
	s_or_b64 exec, exec, s[0:1]
	v_mul_f32_e32 v5, v4, v4
	v_mov_b32_e32 v7, 0x3c0881c4
	v_fmac_f32_e32 v7, 0xb94c1982, v5
	v_mov_b32_e32 v8, 0xbe2aaa9d
	v_fmac_f32_e32 v8, v5, v7
	v_mul_f32_e32 v7, v5, v8
	v_fmac_f32_e32 v4, v4, v7
	v_mov_b32_e32 v7, 0xbab64f3b
	v_fmac_f32_e32 v7, 0x37d75334, v5
	v_mov_b32_e32 v8, 0x3d2aabf7
	;; [unrolled: 2-line block ×3, first 2 shown]
	v_fmac_f32_e32 v7, v5, v8
	v_fma_f32 v5, v5, v7, 1.0
	v_and_b32_e32 v7, 1, v3
	v_lshlrev_b32_e32 v3, 30, v3
	v_cmp_eq_u32_e32 vcc, 0, v7
	v_and_b32_e32 v3, 0x80000000, v3
	v_xor_b32_e32 v2, v2, v1
	v_cndmask_b32_e32 v4, v5, v4, vcc
	v_xor_b32_e32 v2, v2, v3
	s_movk_i32 s0, 0x1f8
	v_xor_b32_e32 v2, v2, v4
	v_mov_b32_e32 v3, 0x7fc00000
	v_cmp_class_f32_e64 vcc, v1, s0
	v_cndmask_b32_e32 v1, v3, v2, vcc
	v_add_u32_e32 v6, 0x80, v6
	global_store_dword v0, v1, s[16:17]
	s_or_b64 exec, exec, s[48:49]
	v_cmp_gt_i32_e32 vcc, s55, v6
	s_and_saveexec_b64 s[48:49], vcc
	s_cbranch_execnz .LBB13_15
.LBB13_103:
	s_or_b64 exec, exec, s[48:49]
	v_cmp_gt_i32_e32 vcc, s55, v6
	s_and_saveexec_b64 s[48:49], vcc
	s_cbranch_execz .LBB13_123
.LBB13_104:
	s_andn2_b64 vcc, exec, s[36:37]
	s_cbranch_vccnz .LBB13_109
; %bb.105:
	s_andn2_b64 vcc, exec, s[46:47]
	s_cbranch_vccnz .LBB13_110
; %bb.106:
	s_add_i32 s58, s56, 1
	s_cmp_eq_u32 s54, 2
	s_cbranch_scc1 .LBB13_126
; %bb.107:
	s_and_b32 s57, s58, 28
	v_mov_b32_e32 v2, 0
	s_mov_b32 s59, 0
	s_mov_b64 s[50:51], s[34:35]
	s_mov_b64 s[52:53], s[44:45]
	v_mov_b32_e32 v0, 0
	v_mov_b32_e32 v1, v6
.LBB13_108:                             ; =>This Inner Loop Header: Depth=1
	s_load_dwordx8 s[8:15], s[50:51], 0x4
	s_load_dwordx4 s[28:31], s[50:51], 0x24
	s_load_dwordx8 s[0:7], s[52:53], 0x0
	s_add_u32 s50, s50, 48
	s_addc_u32 s51, s51, 0
	s_waitcnt lgkmcnt(0)
	v_mul_hi_u32 v3, s9, v1
	s_add_i32 s59, s59, 4
	s_add_u32 s52, s52, 32
	s_addc_u32 s53, s53, 0
	v_add_u32_e32 v3, v1, v3
	v_lshrrev_b32_e32 v3, s10, v3
	v_mul_lo_u32 v4, v3, s8
	v_mul_hi_u32 v5, s12, v3
	s_cmp_eq_u32 s57, s59
	v_sub_u32_e32 v1, v1, v4
	v_add_u32_e32 v4, v3, v5
	v_mul_lo_u32 v5, v1, s0
	v_mul_lo_u32 v7, v1, s1
	v_lshrrev_b32_e32 v1, s13, v4
	v_mul_lo_u32 v4, v1, s11
	v_mul_hi_u32 v8, s15, v1
	v_sub_u32_e32 v3, v3, v4
	v_add_u32_e32 v4, v1, v8
	v_lshrrev_b32_e32 v4, s28, v4
	v_mul_hi_u32 v9, s30, v4
	v_mul_lo_u32 v10, v4, s14
	v_mul_lo_u32 v8, v3, s2
	;; [unrolled: 1-line block ×3, first 2 shown]
	v_sub_u32_e32 v10, v1, v10
	v_add_u32_e32 v1, v4, v9
	v_lshrrev_b32_e32 v1, s31, v1
	v_mul_lo_u32 v9, v1, s29
	v_mul_lo_u32 v11, v10, s4
	;; [unrolled: 1-line block ×3, first 2 shown]
	v_add3_u32 v0, v5, v0, v8
	v_sub_u32_e32 v4, v4, v9
	v_mul_lo_u32 v9, v4, s6
	v_mul_lo_u32 v4, v4, s7
	v_add3_u32 v2, v7, v2, v3
	v_add3_u32 v0, v11, v0, v9
	;; [unrolled: 1-line block ×3, first 2 shown]
	s_cbranch_scc0 .LBB13_108
	s_branch .LBB13_127
.LBB13_109:
                                        ; implicit-def: $vgpr0
                                        ; implicit-def: $vgpr2
	s_branch .LBB13_131
.LBB13_110:
	v_mov_b32_e32 v0, 0
	v_mov_b32_e32 v2, 0
	s_branch .LBB13_130
.LBB13_111:
	s_mov_b32 s57, 0
	v_mov_b32_e32 v0, 0
	v_mov_b32_e32 v2, 0
	;; [unrolled: 1-line block ×3, first 2 shown]
.LBB13_112:
	s_and_b32 s4, s58, 3
	s_cmp_eq_u32 s4, 0
	s_cbranch_scc1 .LBB13_115
; %bb.113:
	s_lshl_b32 s0, s57, 3
	s_add_u32 s0, s34, s0
	s_addc_u32 s1, s35, 0
	s_add_u32 s0, s0, 0xc4
	s_addc_u32 s1, s1, 0
	s_mul_i32 s2, s57, 12
	s_add_u32 s2, s34, s2
	s_addc_u32 s3, s35, 0
.LBB13_114:                             ; =>This Inner Loop Header: Depth=1
	s_load_dwordx2 s[6:7], s[2:3], 0x4
	s_load_dword s5, s[2:3], 0xc
	s_load_dwordx2 s[8:9], s[0:1], 0x0
	s_add_u32 s2, s2, 12
	s_addc_u32 s3, s3, 0
	s_waitcnt lgkmcnt(0)
	v_mul_hi_u32 v3, s7, v1
	s_add_u32 s0, s0, 8
	s_addc_u32 s1, s1, 0
	s_add_i32 s4, s4, -1
	v_add_u32_e32 v3, v1, v3
	v_lshrrev_b32_e32 v4, s5, v3
	v_mul_lo_u32 v3, v4, s6
	s_cmp_lg_u32 s4, 0
	v_sub_u32_e32 v3, v1, v3
	v_mad_u64_u32 v[0:1], s[6:7], v3, s8, v[0:1]
	v_mad_u64_u32 v[2:3], s[6:7], v3, s9, v[2:3]
	v_mov_b32_e32 v1, v4
	s_cbranch_scc1 .LBB13_114
.LBB13_115:
	s_cbranch_execnz .LBB13_118
.LBB13_116:
	s_waitcnt lgkmcnt(0)
	v_mul_hi_u32 v0, s25, v6
	s_andn2_b64 vcc, exec, s[42:43]
	v_add_u32_e32 v0, v6, v0
	v_lshrrev_b32_e32 v1, s26, v0
	v_mul_lo_u32 v0, v1, s24
	v_sub_u32_e32 v2, v6, v0
	v_mul_lo_u32 v0, v2, s20
	v_mul_lo_u32 v2, v2, s21
	s_cbranch_vccnz .LBB13_118
; %bb.117:
	v_mul_hi_u32 v3, s40, v1
	v_add_u32_e32 v3, v1, v3
	v_lshrrev_b32_e32 v3, s41, v3
	v_mul_lo_u32 v3, v3, s27
	v_sub_u32_e32 v3, v1, v3
	v_mad_u64_u32 v[0:1], s[0:1], v3, s22, v[0:1]
	v_mad_u64_u32 v[2:3], s[0:1], v3, s23, v[2:3]
.LBB13_118:
	s_waitcnt lgkmcnt(0)
	global_load_dword v1, v2, s[18:19]
	s_brev_b32 s0, 18
                                        ; implicit-def: $vgpr3
                                        ; implicit-def: $vgpr4
	s_waitcnt vmcnt(0)
	v_and_b32_e32 v2, 0x7fffffff, v1
	v_cmp_nlt_f32_e64 s[0:1], |v1|, s0
	s_and_saveexec_b64 s[2:3], s[0:1]
	s_xor_b64 s[6:7], exec, s[2:3]
	s_cbranch_execz .LBB13_120
; %bb.119:
	v_and_b32_e32 v3, 0x7fffff, v2
	v_or_b32_e32 v13, 0x800000, v3
	s_mov_b32 s0, 0xfe5163ab
	v_mad_u64_u32 v[3:4], s[0:1], v13, s0, 0
	v_mov_b32_e32 v5, 0
	s_mov_b32 s0, 0x3c439041
	v_mad_u64_u32 v[7:8], s[0:1], v13, s0, v[4:5]
	s_mov_b32 s0, 0xdb629599
	v_not_b32_e32 v12, 63
	v_mov_b32_e32 v4, v8
	v_mad_u64_u32 v[8:9], s[0:1], v13, s0, v[4:5]
	s_mov_b32 s0, 0xf534ddc0
	v_not_b32_e32 v15, 31
	v_mov_b32_e32 v4, v9
	v_mad_u64_u32 v[9:10], s[0:1], v13, s0, v[4:5]
	v_lshrrev_b32_e32 v4, 23, v2
	v_add_u32_e32 v14, 0xffffff88, v4
	v_mov_b32_e32 v4, v10
	s_mov_b32 s0, 0xfc2757d1
	v_mad_u64_u32 v[10:11], s[0:1], v13, s0, v[4:5]
	v_cmp_lt_u32_e32 vcc, 63, v14
	v_cndmask_b32_e32 v4, 0, v12, vcc
	v_add_u32_e32 v14, v4, v14
	v_mov_b32_e32 v4, v11
	s_mov_b32 s0, 0x4e441529
	v_mad_u64_u32 v[11:12], s[0:1], v13, s0, v[4:5]
	v_cmp_lt_u32_e64 s[0:1], 31, v14
	v_cndmask_b32_e64 v4, 0, v15, s[0:1]
	v_add_u32_e32 v14, v4, v14
	v_mov_b32_e32 v4, v12
	s_mov_b32 s2, 0xa2f9836e
	v_mad_u64_u32 v[4:5], s[2:3], v13, s2, v[4:5]
	v_cmp_lt_u32_e64 s[2:3], 31, v14
	v_cndmask_b32_e64 v12, 0, v15, s[2:3]
	v_cndmask_b32_e32 v13, v11, v9, vcc
	v_cndmask_b32_e32 v4, v4, v10, vcc
	;; [unrolled: 1-line block ×3, first 2 shown]
	v_add_u32_e32 v12, v12, v14
	v_cndmask_b32_e64 v14, v4, v13, s[0:1]
	v_cndmask_b32_e64 v4, v5, v4, s[0:1]
	v_cndmask_b32_e32 v5, v10, v8, vcc
	v_cndmask_b32_e64 v10, v13, v5, s[0:1]
	v_cndmask_b32_e64 v4, v4, v14, s[2:3]
	;; [unrolled: 1-line block ×3, first 2 shown]
	v_sub_u32_e32 v13, 32, v12
	v_alignbit_b32 v14, v4, v11, v13
	v_cmp_eq_u32_e64 s[4:5], 0, v12
	v_cndmask_b32_e64 v12, v14, v4, s[4:5]
	v_cndmask_b32_e32 v4, v9, v7, vcc
	v_cndmask_b32_e64 v5, v5, v4, s[0:1]
	v_cndmask_b32_e64 v7, v10, v5, s[2:3]
	v_alignbit_b32 v9, v11, v7, v13
	v_cndmask_b32_e32 v3, v8, v3, vcc
	v_cndmask_b32_e64 v9, v9, v11, s[4:5]
	v_bfe_u32 v14, v12, 29, 1
	v_cndmask_b32_e64 v3, v4, v3, s[0:1]
	v_alignbit_b32 v10, v12, v9, 30
	v_sub_u32_e32 v15, 0, v14
	v_cndmask_b32_e64 v3, v5, v3, s[2:3]
	v_xor_b32_e32 v10, v10, v15
	v_alignbit_b32 v4, v7, v3, v13
	v_cndmask_b32_e64 v4, v4, v7, s[4:5]
	v_ffbh_u32_e32 v7, v10
	v_alignbit_b32 v5, v9, v4, 30
	v_min_u32_e32 v7, 32, v7
	v_alignbit_b32 v3, v4, v3, 30
	v_xor_b32_e32 v5, v5, v15
	v_sub_u32_e32 v8, 31, v7
	v_xor_b32_e32 v3, v3, v15
	v_alignbit_b32 v9, v10, v5, v8
	v_alignbit_b32 v3, v5, v3, v8
	;; [unrolled: 1-line block ×3, first 2 shown]
	v_ffbh_u32_e32 v5, v4
	v_min_u32_e32 v5, 32, v5
	v_lshrrev_b32_e32 v11, 29, v12
	v_not_b32_e32 v8, v5
	v_alignbit_b32 v3, v4, v3, v8
	v_lshlrev_b32_e32 v4, 31, v11
	v_or_b32_e32 v8, 0x33000000, v4
	v_add_lshl_u32 v5, v5, v7, 23
	v_lshrrev_b32_e32 v3, 9, v3
	v_sub_u32_e32 v5, v8, v5
	v_or_b32_e32 v4, 0.5, v4
	v_lshlrev_b32_e32 v7, 23, v7
	v_or_b32_e32 v3, v5, v3
	v_lshrrev_b32_e32 v5, 9, v9
	v_sub_u32_e32 v4, v4, v7
	v_or_b32_e32 v4, v5, v4
	s_mov_b32 s0, 0x3fc90fda
	v_mul_f32_e32 v5, 0x3fc90fda, v4
	v_fma_f32 v7, v4, s0, -v5
	v_fmac_f32_e32 v7, 0x33a22168, v4
	v_fmac_f32_e32 v7, 0x3fc90fda, v3
	v_lshrrev_b32_e32 v3, 30, v12
	v_add_f32_e32 v4, v5, v7
	v_add_u32_e32 v3, v14, v3
.LBB13_120:
	s_andn2_saveexec_b64 s[0:1], s[6:7]
	s_cbranch_execz .LBB13_122
; %bb.121:
	s_mov_b32 s2, 0x3f22f983
	v_mul_f32_e64 v3, |v1|, s2
	v_rndne_f32_e32 v5, v3
	s_mov_b32 s2, 0xbfc90fda
	v_cvt_i32_f32_e32 v3, v5
	v_fma_f32 v4, v5, s2, |v1|
	v_fmac_f32_e32 v4, 0xb3a22168, v5
	v_fmac_f32_e32 v4, 0xa7c234c4, v5
.LBB13_122:
	s_or_b64 exec, exec, s[0:1]
	v_mul_f32_e32 v5, v4, v4
	v_mov_b32_e32 v7, 0x3c0881c4
	v_fmac_f32_e32 v7, 0xb94c1982, v5
	v_mov_b32_e32 v8, 0xbe2aaa9d
	v_fmac_f32_e32 v8, v5, v7
	v_mul_f32_e32 v7, v5, v8
	v_fmac_f32_e32 v4, v4, v7
	v_mov_b32_e32 v7, 0xbab64f3b
	v_fmac_f32_e32 v7, 0x37d75334, v5
	v_mov_b32_e32 v8, 0x3d2aabf7
	;; [unrolled: 2-line block ×3, first 2 shown]
	v_fmac_f32_e32 v7, v5, v8
	v_fma_f32 v5, v5, v7, 1.0
	v_and_b32_e32 v7, 1, v3
	v_lshlrev_b32_e32 v3, 30, v3
	v_cmp_eq_u32_e32 vcc, 0, v7
	v_and_b32_e32 v3, 0x80000000, v3
	v_xor_b32_e32 v2, v2, v1
	v_cndmask_b32_e32 v4, v5, v4, vcc
	v_xor_b32_e32 v2, v2, v3
	s_movk_i32 s0, 0x1f8
	v_xor_b32_e32 v2, v2, v4
	v_mov_b32_e32 v3, 0x7fc00000
	v_cmp_class_f32_e64 vcc, v1, s0
	v_cndmask_b32_e32 v1, v3, v2, vcc
	v_add_u32_e32 v6, 0x80, v6
	global_store_dword v0, v1, s[16:17]
	s_or_b64 exec, exec, s[48:49]
	v_cmp_gt_i32_e32 vcc, s55, v6
	s_and_saveexec_b64 s[48:49], vcc
	s_cbranch_execnz .LBB13_104
.LBB13_123:
	s_or_b64 exec, exec, s[48:49]
	v_cmp_gt_i32_e32 vcc, s55, v6
	s_and_saveexec_b64 s[48:49], vcc
	s_cbranch_execnz .LBB13_138
.LBB13_124:
	s_or_b64 exec, exec, s[48:49]
                                        ; implicit-def: $vgpr11
                                        ; implicit-def: $vgpr6
	s_andn2_saveexec_b64 s[0:1], s[38:39]
	s_cbranch_execnz .LBB13_8
.LBB13_125:
	s_endpgm
.LBB13_126:
	s_mov_b32 s57, 0
	v_mov_b32_e32 v0, 0
	v_mov_b32_e32 v2, 0
	;; [unrolled: 1-line block ×3, first 2 shown]
.LBB13_127:
	s_and_b32 s4, s58, 3
	s_cmp_eq_u32 s4, 0
	s_cbranch_scc1 .LBB13_130
; %bb.128:
	s_lshl_b32 s0, s57, 3
	s_add_u32 s0, s34, s0
	s_addc_u32 s1, s35, 0
	s_add_u32 s0, s0, 0xc4
	s_addc_u32 s1, s1, 0
	s_mul_i32 s2, s57, 12
	s_add_u32 s2, s34, s2
	s_addc_u32 s3, s35, 0
.LBB13_129:                             ; =>This Inner Loop Header: Depth=1
	s_load_dwordx2 s[6:7], s[2:3], 0x4
	s_load_dword s5, s[2:3], 0xc
	s_load_dwordx2 s[8:9], s[0:1], 0x0
	s_add_u32 s2, s2, 12
	s_addc_u32 s3, s3, 0
	s_waitcnt lgkmcnt(0)
	v_mul_hi_u32 v3, s7, v1
	s_add_u32 s0, s0, 8
	s_addc_u32 s1, s1, 0
	s_add_i32 s4, s4, -1
	v_add_u32_e32 v3, v1, v3
	v_lshrrev_b32_e32 v4, s5, v3
	v_mul_lo_u32 v3, v4, s6
	s_cmp_lg_u32 s4, 0
	v_sub_u32_e32 v3, v1, v3
	v_mad_u64_u32 v[0:1], s[6:7], v3, s8, v[0:1]
	v_mad_u64_u32 v[2:3], s[6:7], v3, s9, v[2:3]
	v_mov_b32_e32 v1, v4
	s_cbranch_scc1 .LBB13_129
.LBB13_130:
	s_cbranch_execnz .LBB13_133
.LBB13_131:
	s_waitcnt lgkmcnt(0)
	v_mul_hi_u32 v0, s25, v6
	s_andn2_b64 vcc, exec, s[42:43]
	v_add_u32_e32 v0, v6, v0
	v_lshrrev_b32_e32 v1, s26, v0
	v_mul_lo_u32 v0, v1, s24
	v_sub_u32_e32 v2, v6, v0
	v_mul_lo_u32 v0, v2, s20
	v_mul_lo_u32 v2, v2, s21
	s_cbranch_vccnz .LBB13_133
; %bb.132:
	v_mul_hi_u32 v3, s40, v1
	v_add_u32_e32 v3, v1, v3
	v_lshrrev_b32_e32 v3, s41, v3
	v_mul_lo_u32 v3, v3, s27
	v_sub_u32_e32 v3, v1, v3
	v_mad_u64_u32 v[0:1], s[0:1], v3, s22, v[0:1]
	v_mad_u64_u32 v[2:3], s[0:1], v3, s23, v[2:3]
.LBB13_133:
	s_waitcnt lgkmcnt(0)
	global_load_dword v1, v2, s[18:19]
	s_brev_b32 s0, 18
                                        ; implicit-def: $vgpr3
                                        ; implicit-def: $vgpr4
	s_waitcnt vmcnt(0)
	v_and_b32_e32 v2, 0x7fffffff, v1
	v_cmp_nlt_f32_e64 s[0:1], |v1|, s0
	s_and_saveexec_b64 s[2:3], s[0:1]
	s_xor_b64 s[6:7], exec, s[2:3]
	s_cbranch_execz .LBB13_135
; %bb.134:
	v_and_b32_e32 v3, 0x7fffff, v2
	v_or_b32_e32 v13, 0x800000, v3
	s_mov_b32 s0, 0xfe5163ab
	v_mad_u64_u32 v[3:4], s[0:1], v13, s0, 0
	v_mov_b32_e32 v5, 0
	s_mov_b32 s0, 0x3c439041
	v_mad_u64_u32 v[7:8], s[0:1], v13, s0, v[4:5]
	s_mov_b32 s0, 0xdb629599
	v_not_b32_e32 v12, 63
	v_mov_b32_e32 v4, v8
	v_mad_u64_u32 v[8:9], s[0:1], v13, s0, v[4:5]
	s_mov_b32 s0, 0xf534ddc0
	v_not_b32_e32 v15, 31
	v_mov_b32_e32 v4, v9
	v_mad_u64_u32 v[9:10], s[0:1], v13, s0, v[4:5]
	v_lshrrev_b32_e32 v4, 23, v2
	v_add_u32_e32 v14, 0xffffff88, v4
	v_mov_b32_e32 v4, v10
	s_mov_b32 s0, 0xfc2757d1
	v_mad_u64_u32 v[10:11], s[0:1], v13, s0, v[4:5]
	v_cmp_lt_u32_e32 vcc, 63, v14
	v_cndmask_b32_e32 v4, 0, v12, vcc
	v_add_u32_e32 v14, v4, v14
	v_mov_b32_e32 v4, v11
	s_mov_b32 s0, 0x4e441529
	v_mad_u64_u32 v[11:12], s[0:1], v13, s0, v[4:5]
	v_cmp_lt_u32_e64 s[0:1], 31, v14
	v_cndmask_b32_e64 v4, 0, v15, s[0:1]
	v_add_u32_e32 v14, v4, v14
	v_mov_b32_e32 v4, v12
	s_mov_b32 s2, 0xa2f9836e
	v_mad_u64_u32 v[4:5], s[2:3], v13, s2, v[4:5]
	v_cmp_lt_u32_e64 s[2:3], 31, v14
	v_cndmask_b32_e64 v12, 0, v15, s[2:3]
	v_cndmask_b32_e32 v13, v11, v9, vcc
	v_cndmask_b32_e32 v4, v4, v10, vcc
	;; [unrolled: 1-line block ×3, first 2 shown]
	v_add_u32_e32 v12, v12, v14
	v_cndmask_b32_e64 v14, v4, v13, s[0:1]
	v_cndmask_b32_e64 v4, v5, v4, s[0:1]
	v_cndmask_b32_e32 v5, v10, v8, vcc
	v_cndmask_b32_e64 v10, v13, v5, s[0:1]
	v_cndmask_b32_e64 v4, v4, v14, s[2:3]
	;; [unrolled: 1-line block ×3, first 2 shown]
	v_sub_u32_e32 v13, 32, v12
	v_alignbit_b32 v14, v4, v11, v13
	v_cmp_eq_u32_e64 s[4:5], 0, v12
	v_cndmask_b32_e64 v12, v14, v4, s[4:5]
	v_cndmask_b32_e32 v4, v9, v7, vcc
	v_cndmask_b32_e64 v5, v5, v4, s[0:1]
	v_cndmask_b32_e64 v7, v10, v5, s[2:3]
	v_alignbit_b32 v9, v11, v7, v13
	v_cndmask_b32_e32 v3, v8, v3, vcc
	v_cndmask_b32_e64 v9, v9, v11, s[4:5]
	v_bfe_u32 v14, v12, 29, 1
	v_cndmask_b32_e64 v3, v4, v3, s[0:1]
	v_alignbit_b32 v10, v12, v9, 30
	v_sub_u32_e32 v15, 0, v14
	v_cndmask_b32_e64 v3, v5, v3, s[2:3]
	v_xor_b32_e32 v10, v10, v15
	v_alignbit_b32 v4, v7, v3, v13
	v_cndmask_b32_e64 v4, v4, v7, s[4:5]
	v_ffbh_u32_e32 v7, v10
	v_alignbit_b32 v5, v9, v4, 30
	v_min_u32_e32 v7, 32, v7
	v_alignbit_b32 v3, v4, v3, 30
	v_xor_b32_e32 v5, v5, v15
	v_sub_u32_e32 v8, 31, v7
	v_xor_b32_e32 v3, v3, v15
	v_alignbit_b32 v9, v10, v5, v8
	v_alignbit_b32 v3, v5, v3, v8
	;; [unrolled: 1-line block ×3, first 2 shown]
	v_ffbh_u32_e32 v5, v4
	v_min_u32_e32 v5, 32, v5
	v_lshrrev_b32_e32 v11, 29, v12
	v_not_b32_e32 v8, v5
	v_alignbit_b32 v3, v4, v3, v8
	v_lshlrev_b32_e32 v4, 31, v11
	v_or_b32_e32 v8, 0x33000000, v4
	v_add_lshl_u32 v5, v5, v7, 23
	v_lshrrev_b32_e32 v3, 9, v3
	v_sub_u32_e32 v5, v8, v5
	v_or_b32_e32 v4, 0.5, v4
	v_lshlrev_b32_e32 v7, 23, v7
	v_or_b32_e32 v3, v5, v3
	v_lshrrev_b32_e32 v5, 9, v9
	v_sub_u32_e32 v4, v4, v7
	v_or_b32_e32 v4, v5, v4
	s_mov_b32 s0, 0x3fc90fda
	v_mul_f32_e32 v5, 0x3fc90fda, v4
	v_fma_f32 v7, v4, s0, -v5
	v_fmac_f32_e32 v7, 0x33a22168, v4
	v_fmac_f32_e32 v7, 0x3fc90fda, v3
	v_lshrrev_b32_e32 v3, 30, v12
	v_add_f32_e32 v4, v5, v7
	v_add_u32_e32 v3, v14, v3
.LBB13_135:
	s_andn2_saveexec_b64 s[0:1], s[6:7]
	s_cbranch_execz .LBB13_137
; %bb.136:
	s_mov_b32 s2, 0x3f22f983
	v_mul_f32_e64 v3, |v1|, s2
	v_rndne_f32_e32 v5, v3
	s_mov_b32 s2, 0xbfc90fda
	v_cvt_i32_f32_e32 v3, v5
	v_fma_f32 v4, v5, s2, |v1|
	v_fmac_f32_e32 v4, 0xb3a22168, v5
	v_fmac_f32_e32 v4, 0xa7c234c4, v5
.LBB13_137:
	s_or_b64 exec, exec, s[0:1]
	v_mul_f32_e32 v5, v4, v4
	v_mov_b32_e32 v7, 0x3c0881c4
	v_fmac_f32_e32 v7, 0xb94c1982, v5
	v_mov_b32_e32 v8, 0xbe2aaa9d
	v_fmac_f32_e32 v8, v5, v7
	v_mul_f32_e32 v7, v5, v8
	v_fmac_f32_e32 v4, v4, v7
	v_mov_b32_e32 v7, 0xbab64f3b
	v_fmac_f32_e32 v7, 0x37d75334, v5
	v_mov_b32_e32 v8, 0x3d2aabf7
	;; [unrolled: 2-line block ×3, first 2 shown]
	v_fmac_f32_e32 v7, v5, v8
	v_fma_f32 v5, v5, v7, 1.0
	v_and_b32_e32 v7, 1, v3
	v_lshlrev_b32_e32 v3, 30, v3
	v_cmp_eq_u32_e32 vcc, 0, v7
	v_and_b32_e32 v3, 0x80000000, v3
	v_xor_b32_e32 v2, v2, v1
	v_cndmask_b32_e32 v4, v5, v4, vcc
	v_xor_b32_e32 v2, v2, v3
	s_movk_i32 s0, 0x1f8
	v_xor_b32_e32 v2, v2, v4
	v_mov_b32_e32 v3, 0x7fc00000
	v_cmp_class_f32_e64 vcc, v1, s0
	v_cndmask_b32_e32 v1, v3, v2, vcc
	v_add_u32_e32 v6, 0x80, v6
	global_store_dword v0, v1, s[16:17]
	s_or_b64 exec, exec, s[48:49]
	v_cmp_gt_i32_e32 vcc, s55, v6
	s_and_saveexec_b64 s[48:49], vcc
	s_cbranch_execz .LBB13_124
.LBB13_138:
	s_andn2_b64 vcc, exec, s[36:37]
	s_cbranch_vccnz .LBB13_143
; %bb.139:
	s_andn2_b64 vcc, exec, s[46:47]
	s_cbranch_vccnz .LBB13_144
; %bb.140:
	s_add_i32 s56, s56, 1
	s_cmp_eq_u32 s54, 2
	s_cbranch_scc1 .LBB13_145
; %bb.141:
	s_and_b32 s50, s56, 28
	v_mov_b32_e32 v2, 0
	s_mov_b32 s51, 0
	s_mov_b64 s[46:47], s[34:35]
	v_mov_b32_e32 v0, 0
	v_mov_b32_e32 v1, v6
.LBB13_142:                             ; =>This Inner Loop Header: Depth=1
	s_load_dwordx8 s[8:15], s[46:47], 0x4
	s_load_dwordx4 s[28:31], s[46:47], 0x24
	s_load_dwordx8 s[0:7], s[44:45], 0x0
	s_add_u32 s46, s46, 48
	s_addc_u32 s47, s47, 0
	s_waitcnt lgkmcnt(0)
	v_mul_hi_u32 v3, s9, v1
	s_add_i32 s51, s51, 4
	s_add_u32 s44, s44, 32
	s_addc_u32 s45, s45, 0
	v_add_u32_e32 v3, v1, v3
	v_lshrrev_b32_e32 v3, s10, v3
	v_mul_lo_u32 v4, v3, s8
	v_mul_hi_u32 v5, s12, v3
	s_cmp_eq_u32 s50, s51
	v_sub_u32_e32 v1, v1, v4
	v_add_u32_e32 v4, v3, v5
	v_mul_lo_u32 v5, v1, s0
	v_mul_lo_u32 v7, v1, s1
	v_lshrrev_b32_e32 v1, s13, v4
	v_mul_lo_u32 v4, v1, s11
	v_mul_hi_u32 v8, s15, v1
	v_sub_u32_e32 v3, v3, v4
	v_add_u32_e32 v4, v1, v8
	v_lshrrev_b32_e32 v4, s28, v4
	v_mul_hi_u32 v9, s30, v4
	v_mul_lo_u32 v10, v4, s14
	v_mul_lo_u32 v8, v3, s2
	;; [unrolled: 1-line block ×3, first 2 shown]
	v_sub_u32_e32 v10, v1, v10
	v_add_u32_e32 v1, v4, v9
	v_lshrrev_b32_e32 v1, s31, v1
	v_mul_lo_u32 v9, v1, s29
	v_mul_lo_u32 v11, v10, s4
	;; [unrolled: 1-line block ×3, first 2 shown]
	v_add3_u32 v0, v5, v0, v8
	v_sub_u32_e32 v4, v4, v9
	v_mul_lo_u32 v9, v4, s6
	v_mul_lo_u32 v4, v4, s7
	v_add3_u32 v2, v7, v2, v3
	v_add3_u32 v0, v11, v0, v9
	;; [unrolled: 1-line block ×3, first 2 shown]
	s_cbranch_scc0 .LBB13_142
	s_branch .LBB13_146
.LBB13_143:
                                        ; implicit-def: $vgpr0
                                        ; implicit-def: $vgpr2
	s_branch .LBB13_150
.LBB13_144:
	v_mov_b32_e32 v0, 0
	v_mov_b32_e32 v2, 0
	s_branch .LBB13_149
.LBB13_145:
	s_mov_b32 s50, 0
	v_mov_b32_e32 v0, 0
	v_mov_b32_e32 v2, 0
	;; [unrolled: 1-line block ×3, first 2 shown]
.LBB13_146:
	s_and_b32 s4, s56, 3
	s_cmp_eq_u32 s4, 0
	s_cbranch_scc1 .LBB13_149
; %bb.147:
	s_lshl_b32 s0, s50, 3
	s_add_u32 s0, s34, s0
	s_addc_u32 s1, s35, 0
	s_add_u32 s0, s0, 0xc4
	s_addc_u32 s1, s1, 0
	s_mul_i32 s2, s50, 12
	s_add_u32 s2, s34, s2
	s_addc_u32 s3, s35, 0
.LBB13_148:                             ; =>This Inner Loop Header: Depth=1
	s_load_dwordx2 s[6:7], s[2:3], 0x4
	s_load_dword s5, s[2:3], 0xc
	s_load_dwordx2 s[8:9], s[0:1], 0x0
	s_add_u32 s2, s2, 12
	s_addc_u32 s3, s3, 0
	s_waitcnt lgkmcnt(0)
	v_mul_hi_u32 v3, s7, v1
	s_add_u32 s0, s0, 8
	s_addc_u32 s1, s1, 0
	s_add_i32 s4, s4, -1
	v_add_u32_e32 v3, v1, v3
	v_lshrrev_b32_e32 v4, s5, v3
	v_mul_lo_u32 v3, v4, s6
	s_cmp_lg_u32 s4, 0
	v_sub_u32_e32 v3, v1, v3
	v_mad_u64_u32 v[0:1], s[6:7], v3, s8, v[0:1]
	v_mad_u64_u32 v[2:3], s[6:7], v3, s9, v[2:3]
	v_mov_b32_e32 v1, v4
	s_cbranch_scc1 .LBB13_148
.LBB13_149:
	s_cbranch_execnz .LBB13_152
.LBB13_150:
	s_waitcnt lgkmcnt(0)
	v_mul_hi_u32 v0, s25, v6
	s_andn2_b64 vcc, exec, s[42:43]
	v_add_u32_e32 v0, v6, v0
	v_lshrrev_b32_e32 v1, s26, v0
	v_mul_lo_u32 v0, v1, s24
	v_sub_u32_e32 v2, v6, v0
	v_mul_lo_u32 v0, v2, s20
	v_mul_lo_u32 v2, v2, s21
	s_cbranch_vccnz .LBB13_152
; %bb.151:
	v_mul_hi_u32 v3, s40, v1
	v_add_u32_e32 v3, v1, v3
	v_lshrrev_b32_e32 v3, s41, v3
	v_mul_lo_u32 v3, v3, s27
	v_sub_u32_e32 v3, v1, v3
	v_mad_u64_u32 v[0:1], s[0:1], v3, s22, v[0:1]
	v_mad_u64_u32 v[2:3], s[0:1], v3, s23, v[2:3]
.LBB13_152:
	s_waitcnt lgkmcnt(0)
	global_load_dword v1, v2, s[18:19]
	s_brev_b32 s0, 18
                                        ; implicit-def: $vgpr3
                                        ; implicit-def: $vgpr4
	s_waitcnt vmcnt(0)
	v_and_b32_e32 v2, 0x7fffffff, v1
	v_cmp_nlt_f32_e64 s[0:1], |v1|, s0
	s_and_saveexec_b64 s[2:3], s[0:1]
	s_xor_b64 s[6:7], exec, s[2:3]
	s_cbranch_execz .LBB13_154
; %bb.153:
	v_and_b32_e32 v3, 0x7fffff, v2
	v_or_b32_e32 v12, 0x800000, v3
	s_mov_b32 s0, 0xfe5163ab
	v_mad_u64_u32 v[3:4], s[0:1], v12, s0, 0
	v_mov_b32_e32 v5, 0
	s_mov_b32 s0, 0x3c439041
	v_mad_u64_u32 v[6:7], s[0:1], v12, s0, v[4:5]
	s_mov_b32 s0, 0xdb629599
	v_not_b32_e32 v11, 63
	v_mov_b32_e32 v4, v7
	v_mad_u64_u32 v[7:8], s[0:1], v12, s0, v[4:5]
	s_mov_b32 s0, 0xf534ddc0
	v_not_b32_e32 v14, 31
	v_mov_b32_e32 v4, v8
	v_mad_u64_u32 v[8:9], s[0:1], v12, s0, v[4:5]
	v_lshrrev_b32_e32 v4, 23, v2
	v_add_u32_e32 v13, 0xffffff88, v4
	v_mov_b32_e32 v4, v9
	s_mov_b32 s0, 0xfc2757d1
	v_mad_u64_u32 v[9:10], s[0:1], v12, s0, v[4:5]
	v_cmp_lt_u32_e32 vcc, 63, v13
	v_cndmask_b32_e32 v4, 0, v11, vcc
	v_add_u32_e32 v13, v4, v13
	v_mov_b32_e32 v4, v10
	s_mov_b32 s0, 0x4e441529
	v_mad_u64_u32 v[10:11], s[0:1], v12, s0, v[4:5]
	v_cmp_lt_u32_e64 s[0:1], 31, v13
	v_cndmask_b32_e64 v4, 0, v14, s[0:1]
	v_add_u32_e32 v13, v4, v13
	v_mov_b32_e32 v4, v11
	s_mov_b32 s2, 0xa2f9836e
	v_mad_u64_u32 v[4:5], s[2:3], v12, s2, v[4:5]
	v_cmp_lt_u32_e64 s[2:3], 31, v13
	v_cndmask_b32_e64 v11, 0, v14, s[2:3]
	v_cndmask_b32_e32 v12, v10, v8, vcc
	v_cndmask_b32_e32 v4, v4, v9, vcc
	;; [unrolled: 1-line block ×3, first 2 shown]
	v_add_u32_e32 v11, v11, v13
	v_cndmask_b32_e64 v13, v4, v12, s[0:1]
	v_cndmask_b32_e64 v4, v5, v4, s[0:1]
	v_cndmask_b32_e32 v5, v9, v7, vcc
	v_cndmask_b32_e64 v9, v12, v5, s[0:1]
	v_cndmask_b32_e64 v4, v4, v13, s[2:3]
	;; [unrolled: 1-line block ×3, first 2 shown]
	v_sub_u32_e32 v12, 32, v11
	v_alignbit_b32 v13, v4, v10, v12
	v_cmp_eq_u32_e64 s[4:5], 0, v11
	v_cndmask_b32_e64 v11, v13, v4, s[4:5]
	v_cndmask_b32_e32 v4, v8, v6, vcc
	v_cndmask_b32_e64 v5, v5, v4, s[0:1]
	v_cndmask_b32_e64 v6, v9, v5, s[2:3]
	v_alignbit_b32 v8, v10, v6, v12
	v_cndmask_b32_e32 v3, v7, v3, vcc
	v_cndmask_b32_e64 v8, v8, v10, s[4:5]
	v_bfe_u32 v13, v11, 29, 1
	v_cndmask_b32_e64 v3, v4, v3, s[0:1]
	v_alignbit_b32 v9, v11, v8, 30
	v_sub_u32_e32 v14, 0, v13
	v_cndmask_b32_e64 v3, v5, v3, s[2:3]
	v_xor_b32_e32 v9, v9, v14
	v_alignbit_b32 v4, v6, v3, v12
	v_cndmask_b32_e64 v4, v4, v6, s[4:5]
	v_ffbh_u32_e32 v6, v9
	v_alignbit_b32 v5, v8, v4, 30
	v_min_u32_e32 v6, 32, v6
	v_alignbit_b32 v3, v4, v3, 30
	v_xor_b32_e32 v5, v5, v14
	v_sub_u32_e32 v7, 31, v6
	v_xor_b32_e32 v3, v3, v14
	v_alignbit_b32 v8, v9, v5, v7
	v_alignbit_b32 v3, v5, v3, v7
	;; [unrolled: 1-line block ×3, first 2 shown]
	v_ffbh_u32_e32 v5, v4
	v_min_u32_e32 v5, 32, v5
	v_lshrrev_b32_e32 v10, 29, v11
	v_not_b32_e32 v7, v5
	v_alignbit_b32 v3, v4, v3, v7
	v_lshlrev_b32_e32 v4, 31, v10
	v_or_b32_e32 v7, 0x33000000, v4
	v_add_lshl_u32 v5, v5, v6, 23
	v_lshrrev_b32_e32 v3, 9, v3
	v_sub_u32_e32 v5, v7, v5
	v_or_b32_e32 v4, 0.5, v4
	v_lshlrev_b32_e32 v6, 23, v6
	v_or_b32_e32 v3, v5, v3
	v_lshrrev_b32_e32 v5, 9, v8
	v_sub_u32_e32 v4, v4, v6
	v_or_b32_e32 v4, v5, v4
	s_mov_b32 s0, 0x3fc90fda
	v_mul_f32_e32 v5, 0x3fc90fda, v4
	v_fma_f32 v6, v4, s0, -v5
	v_fmac_f32_e32 v6, 0x33a22168, v4
	v_fmac_f32_e32 v6, 0x3fc90fda, v3
	v_lshrrev_b32_e32 v3, 30, v11
	v_add_f32_e32 v4, v5, v6
	v_add_u32_e32 v3, v13, v3
.LBB13_154:
	s_andn2_saveexec_b64 s[0:1], s[6:7]
	s_cbranch_execz .LBB13_156
; %bb.155:
	s_mov_b32 s2, 0x3f22f983
	v_mul_f32_e64 v3, |v1|, s2
	v_rndne_f32_e32 v5, v3
	s_mov_b32 s2, 0xbfc90fda
	v_cvt_i32_f32_e32 v3, v5
	v_fma_f32 v4, v5, s2, |v1|
	v_fmac_f32_e32 v4, 0xb3a22168, v5
	v_fmac_f32_e32 v4, 0xa7c234c4, v5
.LBB13_156:
	s_or_b64 exec, exec, s[0:1]
	v_mul_f32_e32 v5, v4, v4
	v_mov_b32_e32 v6, 0x3c0881c4
	v_fmac_f32_e32 v6, 0xb94c1982, v5
	v_mov_b32_e32 v7, 0xbe2aaa9d
	v_fmac_f32_e32 v7, v5, v6
	v_mul_f32_e32 v6, v5, v7
	v_fmac_f32_e32 v4, v4, v6
	v_mov_b32_e32 v6, 0xbab64f3b
	v_fmac_f32_e32 v6, 0x37d75334, v5
	v_mov_b32_e32 v7, 0x3d2aabf7
	;; [unrolled: 2-line block ×3, first 2 shown]
	v_fmac_f32_e32 v6, v5, v7
	v_fma_f32 v5, v5, v6, 1.0
	v_and_b32_e32 v6, 1, v3
	v_lshlrev_b32_e32 v3, 30, v3
	v_cmp_eq_u32_e32 vcc, 0, v6
	v_and_b32_e32 v3, 0x80000000, v3
	v_xor_b32_e32 v2, v2, v1
	v_cndmask_b32_e32 v4, v5, v4, vcc
	v_xor_b32_e32 v2, v2, v3
	s_movk_i32 s0, 0x1f8
	v_xor_b32_e32 v2, v2, v4
	v_mov_b32_e32 v3, 0x7fc00000
	v_cmp_class_f32_e64 vcc, v1, s0
	v_cndmask_b32_e32 v1, v3, v2, vcc
	global_store_dword v0, v1, s[16:17]
	s_or_b64 exec, exec, s[48:49]
                                        ; implicit-def: $vgpr11
                                        ; implicit-def: $vgpr6
	s_andn2_saveexec_b64 s[0:1], s[38:39]
	s_cbranch_execz .LBB13_125
	s_branch .LBB13_8
	.section	.rodata,"a",@progbits
	.p2align	6, 0x0
	.amdhsa_kernel _ZN2at6native32elementwise_kernel_manual_unrollILi128ELi4EZNS0_22gpu_kernel_impl_nocastIZZZNS0_15sin_kernel_cudaERNS_18TensorIteratorBaseEENKUlvE0_clEvENKUlvE0_clEvEUlfE_EEvS4_RKT_EUlibE_EEviT1_
		.amdhsa_group_segment_fixed_size 0
		.amdhsa_private_segment_fixed_size 0
		.amdhsa_kernarg_size 360
		.amdhsa_user_sgpr_count 6
		.amdhsa_user_sgpr_private_segment_buffer 1
		.amdhsa_user_sgpr_dispatch_ptr 0
		.amdhsa_user_sgpr_queue_ptr 0
		.amdhsa_user_sgpr_kernarg_segment_ptr 1
		.amdhsa_user_sgpr_dispatch_id 0
		.amdhsa_user_sgpr_flat_scratch_init 0
		.amdhsa_user_sgpr_private_segment_size 0
		.amdhsa_uses_dynamic_stack 0
		.amdhsa_system_sgpr_private_segment_wavefront_offset 0
		.amdhsa_system_sgpr_workgroup_id_x 1
		.amdhsa_system_sgpr_workgroup_id_y 0
		.amdhsa_system_sgpr_workgroup_id_z 0
		.amdhsa_system_sgpr_workgroup_info 0
		.amdhsa_system_vgpr_workitem_id 0
		.amdhsa_next_free_vgpr 30
		.amdhsa_next_free_sgpr 60
		.amdhsa_reserve_vcc 1
		.amdhsa_reserve_flat_scratch 0
		.amdhsa_float_round_mode_32 0
		.amdhsa_float_round_mode_16_64 0
		.amdhsa_float_denorm_mode_32 3
		.amdhsa_float_denorm_mode_16_64 3
		.amdhsa_dx10_clamp 1
		.amdhsa_ieee_mode 1
		.amdhsa_fp16_overflow 0
		.amdhsa_exception_fp_ieee_invalid_op 0
		.amdhsa_exception_fp_denorm_src 0
		.amdhsa_exception_fp_ieee_div_zero 0
		.amdhsa_exception_fp_ieee_overflow 0
		.amdhsa_exception_fp_ieee_underflow 0
		.amdhsa_exception_fp_ieee_inexact 0
		.amdhsa_exception_int_div_zero 0
	.end_amdhsa_kernel
	.section	.text._ZN2at6native32elementwise_kernel_manual_unrollILi128ELi4EZNS0_22gpu_kernel_impl_nocastIZZZNS0_15sin_kernel_cudaERNS_18TensorIteratorBaseEENKUlvE0_clEvENKUlvE0_clEvEUlfE_EEvS4_RKT_EUlibE_EEviT1_,"axG",@progbits,_ZN2at6native32elementwise_kernel_manual_unrollILi128ELi4EZNS0_22gpu_kernel_impl_nocastIZZZNS0_15sin_kernel_cudaERNS_18TensorIteratorBaseEENKUlvE0_clEvENKUlvE0_clEvEUlfE_EEvS4_RKT_EUlibE_EEviT1_,comdat
.Lfunc_end13:
	.size	_ZN2at6native32elementwise_kernel_manual_unrollILi128ELi4EZNS0_22gpu_kernel_impl_nocastIZZZNS0_15sin_kernel_cudaERNS_18TensorIteratorBaseEENKUlvE0_clEvENKUlvE0_clEvEUlfE_EEvS4_RKT_EUlibE_EEviT1_, .Lfunc_end13-_ZN2at6native32elementwise_kernel_manual_unrollILi128ELi4EZNS0_22gpu_kernel_impl_nocastIZZZNS0_15sin_kernel_cudaERNS_18TensorIteratorBaseEENKUlvE0_clEvENKUlvE0_clEvEUlfE_EEvS4_RKT_EUlibE_EEviT1_
                                        ; -- End function
	.set _ZN2at6native32elementwise_kernel_manual_unrollILi128ELi4EZNS0_22gpu_kernel_impl_nocastIZZZNS0_15sin_kernel_cudaERNS_18TensorIteratorBaseEENKUlvE0_clEvENKUlvE0_clEvEUlfE_EEvS4_RKT_EUlibE_EEviT1_.num_vgpr, 30
	.set _ZN2at6native32elementwise_kernel_manual_unrollILi128ELi4EZNS0_22gpu_kernel_impl_nocastIZZZNS0_15sin_kernel_cudaERNS_18TensorIteratorBaseEENKUlvE0_clEvENKUlvE0_clEvEUlfE_EEvS4_RKT_EUlibE_EEviT1_.num_agpr, 0
	.set _ZN2at6native32elementwise_kernel_manual_unrollILi128ELi4EZNS0_22gpu_kernel_impl_nocastIZZZNS0_15sin_kernel_cudaERNS_18TensorIteratorBaseEENKUlvE0_clEvENKUlvE0_clEvEUlfE_EEvS4_RKT_EUlibE_EEviT1_.numbered_sgpr, 60
	.set _ZN2at6native32elementwise_kernel_manual_unrollILi128ELi4EZNS0_22gpu_kernel_impl_nocastIZZZNS0_15sin_kernel_cudaERNS_18TensorIteratorBaseEENKUlvE0_clEvENKUlvE0_clEvEUlfE_EEvS4_RKT_EUlibE_EEviT1_.num_named_barrier, 0
	.set _ZN2at6native32elementwise_kernel_manual_unrollILi128ELi4EZNS0_22gpu_kernel_impl_nocastIZZZNS0_15sin_kernel_cudaERNS_18TensorIteratorBaseEENKUlvE0_clEvENKUlvE0_clEvEUlfE_EEvS4_RKT_EUlibE_EEviT1_.private_seg_size, 0
	.set _ZN2at6native32elementwise_kernel_manual_unrollILi128ELi4EZNS0_22gpu_kernel_impl_nocastIZZZNS0_15sin_kernel_cudaERNS_18TensorIteratorBaseEENKUlvE0_clEvENKUlvE0_clEvEUlfE_EEvS4_RKT_EUlibE_EEviT1_.uses_vcc, 1
	.set _ZN2at6native32elementwise_kernel_manual_unrollILi128ELi4EZNS0_22gpu_kernel_impl_nocastIZZZNS0_15sin_kernel_cudaERNS_18TensorIteratorBaseEENKUlvE0_clEvENKUlvE0_clEvEUlfE_EEvS4_RKT_EUlibE_EEviT1_.uses_flat_scratch, 0
	.set _ZN2at6native32elementwise_kernel_manual_unrollILi128ELi4EZNS0_22gpu_kernel_impl_nocastIZZZNS0_15sin_kernel_cudaERNS_18TensorIteratorBaseEENKUlvE0_clEvENKUlvE0_clEvEUlfE_EEvS4_RKT_EUlibE_EEviT1_.has_dyn_sized_stack, 0
	.set _ZN2at6native32elementwise_kernel_manual_unrollILi128ELi4EZNS0_22gpu_kernel_impl_nocastIZZZNS0_15sin_kernel_cudaERNS_18TensorIteratorBaseEENKUlvE0_clEvENKUlvE0_clEvEUlfE_EEvS4_RKT_EUlibE_EEviT1_.has_recursion, 0
	.set _ZN2at6native32elementwise_kernel_manual_unrollILi128ELi4EZNS0_22gpu_kernel_impl_nocastIZZZNS0_15sin_kernel_cudaERNS_18TensorIteratorBaseEENKUlvE0_clEvENKUlvE0_clEvEUlfE_EEvS4_RKT_EUlibE_EEviT1_.has_indirect_call, 0
	.section	.AMDGPU.csdata,"",@progbits
; Kernel info:
; codeLenInByte = 12336
; TotalNumSgprs: 64
; NumVgprs: 30
; ScratchSize: 0
; MemoryBound: 0
; FloatMode: 240
; IeeeMode: 1
; LDSByteSize: 0 bytes/workgroup (compile time only)
; SGPRBlocks: 7
; VGPRBlocks: 7
; NumSGPRsForWavesPerEU: 64
; NumVGPRsForWavesPerEU: 30
; Occupancy: 8
; WaveLimiterHint : 1
; COMPUTE_PGM_RSRC2:SCRATCH_EN: 0
; COMPUTE_PGM_RSRC2:USER_SGPR: 6
; COMPUTE_PGM_RSRC2:TRAP_HANDLER: 0
; COMPUTE_PGM_RSRC2:TGID_X_EN: 1
; COMPUTE_PGM_RSRC2:TGID_Y_EN: 0
; COMPUTE_PGM_RSRC2:TGID_Z_EN: 0
; COMPUTE_PGM_RSRC2:TIDIG_COMP_CNT: 0
	.section	.text._ZN2at6native32elementwise_kernel_manual_unrollILi128ELi4EZNS0_15gpu_kernel_implIZZZNS0_15sin_kernel_cudaERNS_18TensorIteratorBaseEENKUlvE0_clEvENKUlvE0_clEvEUlfE_EEvS4_RKT_EUlibE_EEviT1_,"axG",@progbits,_ZN2at6native32elementwise_kernel_manual_unrollILi128ELi4EZNS0_15gpu_kernel_implIZZZNS0_15sin_kernel_cudaERNS_18TensorIteratorBaseEENKUlvE0_clEvENKUlvE0_clEvEUlfE_EEvS4_RKT_EUlibE_EEviT1_,comdat
	.globl	_ZN2at6native32elementwise_kernel_manual_unrollILi128ELi4EZNS0_15gpu_kernel_implIZZZNS0_15sin_kernel_cudaERNS_18TensorIteratorBaseEENKUlvE0_clEvENKUlvE0_clEvEUlfE_EEvS4_RKT_EUlibE_EEviT1_ ; -- Begin function _ZN2at6native32elementwise_kernel_manual_unrollILi128ELi4EZNS0_15gpu_kernel_implIZZZNS0_15sin_kernel_cudaERNS_18TensorIteratorBaseEENKUlvE0_clEvENKUlvE0_clEvEUlfE_EEvS4_RKT_EUlibE_EEviT1_
	.p2align	8
	.type	_ZN2at6native32elementwise_kernel_manual_unrollILi128ELi4EZNS0_15gpu_kernel_implIZZZNS0_15sin_kernel_cudaERNS_18TensorIteratorBaseEENKUlvE0_clEvENKUlvE0_clEvEUlfE_EEvS4_RKT_EUlibE_EEviT1_,@function
_ZN2at6native32elementwise_kernel_manual_unrollILi128ELi4EZNS0_15gpu_kernel_implIZZZNS0_15sin_kernel_cudaERNS_18TensorIteratorBaseEENKUlvE0_clEvENKUlvE0_clEvEUlfE_EEvS4_RKT_EUlibE_EEviT1_: ; @_ZN2at6native32elementwise_kernel_manual_unrollILi128ELi4EZNS0_15gpu_kernel_implIZZZNS0_15sin_kernel_cudaERNS_18TensorIteratorBaseEENKUlvE0_clEvENKUlvE0_clEvEUlfE_EEvS4_RKT_EUlibE_EEviT1_
; %bb.0:
	v_mov_b32_e32 v1, 0
	global_load_ushort v1, v1, s[4:5] offset:33
	s_load_dwordx4 s[8:11], s[4:5], 0x8
	s_load_dwordx2 s[12:13], s[4:5], 0x18
	s_load_dword s38, s[4:5], 0x0
	v_lshl_or_b32 v4, s6, 9, v0
	v_or_b32_e32 v0, 0x180, v4
	s_mov_b64 s[14:15], 0
	s_mov_b64 s[16:17], 0
	s_waitcnt lgkmcnt(0)
	v_cmp_le_i32_e32 vcc, s38, v0
	s_waitcnt vmcnt(0)
	v_readfirstlane_b32 s33, v1
	s_and_b32 s0, 0xffff, s33
	s_lshr_b32 s42, s0, 8
	s_and_saveexec_b64 s[0:1], vcc
	s_xor_b64 s[6:7], exec, s[0:1]
	s_cbranch_execz .LBB14_1042
; %bb.1:
	v_cmp_gt_i32_e32 vcc, s38, v4
	s_mov_b64 s[2:3], -1
	s_mov_b64 s[24:25], 0
	s_mov_b64 s[18:19], 0
	s_and_saveexec_b64 s[20:21], vcc
	s_cbranch_execz .LBB14_255
; %bb.2:
	v_mul_lo_u32 v0, v4, s13
	v_mov_b32_e32 v1, s11
	s_and_b32 s16, 0xffff, s42
	s_cmp_lt_i32 s16, 11
	v_ashrrev_i32_e32 v2, 31, v0
	v_add_co_u32_e32 v0, vcc, s10, v0
	v_addc_co_u32_e32 v1, vcc, v1, v2, vcc
	s_cbranch_scc1 .LBB14_9
; %bb.3:
	s_cmp_gt_i32 s16, 25
	s_cbranch_scc0 .LBB14_22
; %bb.4:
	s_cmp_gt_i32 s16, 28
	s_cbranch_scc0 .LBB14_26
; %bb.5:
	s_cmp_gt_i32 s16, 43
	s_cbranch_scc0 .LBB14_28
; %bb.6:
	s_cmp_gt_i32 s16, 45
	s_cbranch_scc0 .LBB14_32
; %bb.7:
	s_cmp_eq_u32 s16, 46
	s_mov_b64 s[2:3], 0
	s_cbranch_scc0 .LBB14_31
; %bb.8:
	global_load_dword v2, v[0:1], off
	s_mov_b64 s[0:1], -1
	s_waitcnt vmcnt(0)
	v_lshlrev_b32_e32 v2, 16, v2
	s_branch .LBB14_33
.LBB14_9:
                                        ; implicit-def: $vgpr2
	s_mov_b64 s[0:1], 0
	s_and_b64 vcc, exec, s[2:3]
	s_cbranch_vccnz .LBB14_206
.LBB14_10:
	s_andn2_b64 vcc, exec, s[0:1]
	s_cbranch_vccnz .LBB14_253
.LBB14_11:
	s_brev_b32 s0, 18
	s_waitcnt vmcnt(0)
	v_and_b32_e32 v0, 0x7fffffff, v2
	v_cmp_nlt_f32_e64 s[0:1], |v2|, s0
                                        ; implicit-def: $vgpr1
                                        ; implicit-def: $vgpr3
	s_and_saveexec_b64 s[2:3], s[0:1]
	s_xor_b64 s[16:17], exec, s[2:3]
	s_cbranch_execz .LBB14_13
; %bb.12:
	v_and_b32_e32 v1, 0x7fffff, v0
	v_or_b32_e32 v1, 0x800000, v1
	s_mov_b32 s0, 0xfe5163ab
	v_mad_u64_u32 v[5:6], s[0:1], v1, s0, 0
	v_mov_b32_e32 v7, 0
	s_mov_b32 s0, 0x3c439041
	v_mad_u64_u32 v[8:9], s[0:1], v1, s0, v[6:7]
	s_mov_b32 s0, 0xdb629599
	v_lshrrev_b32_e32 v3, 23, v0
	v_mov_b32_e32 v6, v9
	v_mad_u64_u32 v[9:10], s[0:1], v1, s0, v[6:7]
	s_mov_b32 s0, 0xf534ddc0
	v_add_u32_e32 v3, 0xffffff88, v3
	v_mov_b32_e32 v6, v10
	v_mad_u64_u32 v[10:11], s[0:1], v1, s0, v[6:7]
	s_mov_b32 s0, 0xfc2757d1
	v_not_b32_e32 v13, 63
	v_mov_b32_e32 v6, v11
	v_mad_u64_u32 v[11:12], s[0:1], v1, s0, v[6:7]
	v_cmp_lt_u32_e32 vcc, 63, v3
	v_cndmask_b32_e32 v6, 0, v13, vcc
	v_add_u32_e32 v3, v6, v3
	v_mov_b32_e32 v6, v12
	s_mov_b32 s0, 0x4e441529
	v_mad_u64_u32 v[12:13], s[0:1], v1, s0, v[6:7]
	v_not_b32_e32 v14, 31
	v_cmp_lt_u32_e64 s[0:1], 31, v3
	v_cndmask_b32_e64 v6, 0, v14, s[0:1]
	v_add_u32_e32 v3, v6, v3
	v_mov_b32_e32 v6, v13
	s_mov_b32 s2, 0xa2f9836e
	v_mad_u64_u32 v[6:7], s[2:3], v1, s2, v[6:7]
	v_cmp_lt_u32_e64 s[2:3], 31, v3
	v_cndmask_b32_e64 v1, 0, v14, s[2:3]
	v_add_u32_e32 v1, v1, v3
	v_cndmask_b32_e32 v3, v12, v10, vcc
	v_cndmask_b32_e32 v6, v6, v11, vcc
	;; [unrolled: 1-line block ×3, first 2 shown]
	v_cndmask_b32_e64 v13, v6, v3, s[0:1]
	v_cndmask_b32_e64 v6, v7, v6, s[0:1]
	v_cndmask_b32_e32 v7, v11, v9, vcc
	v_cndmask_b32_e64 v3, v3, v7, s[0:1]
	v_cndmask_b32_e64 v6, v6, v13, s[2:3]
	;; [unrolled: 1-line block ×3, first 2 shown]
	v_sub_u32_e32 v12, 32, v1
	v_alignbit_b32 v13, v6, v11, v12
	v_cmp_eq_u32_e64 s[4:5], 0, v1
	v_cndmask_b32_e64 v1, v13, v6, s[4:5]
	v_cndmask_b32_e32 v6, v10, v8, vcc
	v_cndmask_b32_e64 v7, v7, v6, s[0:1]
	v_cndmask_b32_e64 v3, v3, v7, s[2:3]
	v_alignbit_b32 v8, v11, v3, v12
	v_cndmask_b32_e32 v5, v9, v5, vcc
	v_cndmask_b32_e64 v8, v8, v11, s[4:5]
	v_bfe_u32 v13, v1, 29, 1
	v_cndmask_b32_e64 v5, v6, v5, s[0:1]
	v_alignbit_b32 v10, v1, v8, 30
	v_sub_u32_e32 v14, 0, v13
	v_cndmask_b32_e64 v5, v7, v5, s[2:3]
	v_xor_b32_e32 v10, v10, v14
	v_alignbit_b32 v6, v3, v5, v12
	v_cndmask_b32_e64 v3, v6, v3, s[4:5]
	v_ffbh_u32_e32 v7, v10
	v_alignbit_b32 v6, v8, v3, 30
	v_min_u32_e32 v7, 32, v7
	v_alignbit_b32 v3, v3, v5, 30
	v_xor_b32_e32 v6, v6, v14
	v_sub_u32_e32 v8, 31, v7
	v_xor_b32_e32 v3, v3, v14
	v_alignbit_b32 v9, v10, v6, v8
	v_alignbit_b32 v3, v6, v3, v8
	;; [unrolled: 1-line block ×3, first 2 shown]
	v_ffbh_u32_e32 v6, v5
	v_min_u32_e32 v6, 32, v6
	v_lshrrev_b32_e32 v11, 29, v1
	v_not_b32_e32 v8, v6
	v_alignbit_b32 v3, v5, v3, v8
	v_lshlrev_b32_e32 v5, 31, v11
	v_or_b32_e32 v8, 0x33000000, v5
	v_add_lshl_u32 v6, v6, v7, 23
	v_lshrrev_b32_e32 v3, 9, v3
	v_sub_u32_e32 v6, v8, v6
	v_or_b32_e32 v5, 0.5, v5
	v_lshlrev_b32_e32 v7, 23, v7
	v_or_b32_e32 v3, v6, v3
	v_lshrrev_b32_e32 v6, 9, v9
	v_sub_u32_e32 v5, v5, v7
	v_or_b32_e32 v5, v6, v5
	s_mov_b32 s0, 0x3fc90fda
	v_mul_f32_e32 v6, 0x3fc90fda, v5
	v_fma_f32 v7, v5, s0, -v6
	v_fmac_f32_e32 v7, 0x33a22168, v5
	v_fmac_f32_e32 v7, 0x3fc90fda, v3
	v_lshrrev_b32_e32 v1, 30, v1
	v_add_f32_e32 v3, v6, v7
	v_add_u32_e32 v1, v13, v1
.LBB14_13:
	s_andn2_saveexec_b64 s[0:1], s[16:17]
	s_cbranch_execz .LBB14_15
; %bb.14:
	s_mov_b32 s2, 0x3f22f983
	v_mul_f32_e64 v1, |v2|, s2
	v_rndne_f32_e32 v5, v1
	s_mov_b32 s2, 0xbfc90fda
	v_cvt_i32_f32_e32 v1, v5
	v_fma_f32 v3, v5, s2, |v2|
	v_fmac_f32_e32 v3, 0xb3a22168, v5
	v_fmac_f32_e32 v3, 0xa7c234c4, v5
.LBB14_15:
	s_or_b64 exec, exec, s[0:1]
	v_mul_f32_e32 v5, v3, v3
	v_mov_b32_e32 v6, 0x3c0881c4
	v_fmac_f32_e32 v6, 0xb94c1982, v5
	v_mov_b32_e32 v7, 0xbe2aaa9d
	v_fmac_f32_e32 v7, v5, v6
	v_mul_f32_e32 v6, v5, v7
	v_fmac_f32_e32 v3, v3, v6
	v_mov_b32_e32 v6, 0xbab64f3b
	v_fmac_f32_e32 v6, 0x37d75334, v5
	v_mov_b32_e32 v7, 0x3d2aabf7
	;; [unrolled: 2-line block ×3, first 2 shown]
	v_fmac_f32_e32 v6, v5, v7
	v_fma_f32 v5, v5, v6, 1.0
	v_and_b32_e32 v6, 1, v1
	v_lshlrev_b32_e32 v1, 30, v1
	v_and_b32_e32 v1, 0x80000000, v1
	v_xor_b32_e32 v0, v0, v2
	v_xor_b32_e32 v0, v0, v1
	v_mul_lo_u32 v1, v4, s12
	v_cmp_eq_u32_e32 vcc, 0, v6
	v_cndmask_b32_e32 v3, v5, v3, vcc
	s_movk_i32 s0, 0x1f8
	v_xor_b32_e32 v0, v0, v3
	v_mov_b32_e32 v3, 0x7fc00000
	v_cmp_class_f32_e64 vcc, v2, s0
	v_cndmask_b32_e32 v2, v3, v0, vcc
	v_ashrrev_i32_e32 v3, 31, v1
	v_mov_b32_e32 v5, s9
	s_and_b32 s22, s33, 0xff
	v_add_co_u32_e32 v0, vcc, s8, v1
	s_cmp_lt_i32 s22, 11
	v_addc_co_u32_e32 v1, vcc, v5, v3, vcc
	s_cbranch_scc1 .LBB14_23
; %bb.16:
	s_and_b32 s23, 0xffff, s22
	s_cmp_gt_i32 s23, 25
	s_cbranch_scc0 .LBB14_27
; %bb.17:
	s_cmp_gt_i32 s23, 28
	s_cbranch_scc0 .LBB14_29
; %bb.18:
	;; [unrolled: 3-line block ×4, first 2 shown]
	s_mov_b64 s[4:5], 0
	s_mov_b64 s[0:1], -1
	s_cmp_eq_u32 s23, 46
	s_mov_b64 s[2:3], 0
	s_cbranch_scc0 .LBB14_37
; %bb.21:
	v_bfe_u32 v3, v2, 16, 1
	s_movk_i32 s0, 0x7fff
	v_add3_u32 v3, v2, v3, s0
	v_cmp_o_f32_e32 vcc, v2, v2
	v_mov_b32_e32 v5, 0x7fc0
	v_cndmask_b32_sdwa v3, v5, v3, vcc dst_sel:DWORD dst_unused:UNUSED_PAD src0_sel:DWORD src1_sel:WORD_1
	global_store_dword v[0:1], v3, off
	s_mov_b64 s[2:3], -1
	s_mov_b64 s[0:1], 0
	s_branch .LBB14_37
.LBB14_22:
	s_mov_b64 s[0:1], 0
                                        ; implicit-def: $vgpr2
	s_and_b64 vcc, exec, s[2:3]
	s_cbranch_vccnz .LBB14_171
	s_branch .LBB14_205
.LBB14_23:
	s_mov_b64 s[0:1], 0
	s_mov_b64 s[2:3], 0
	s_cbranch_execnz .LBB14_106
.LBB14_24:
	s_andn2_b64 vcc, exec, s[2:3]
	s_cbranch_vccnz .LBB14_144
.LBB14_25:
	v_add_u32_e32 v4, 0x80, v4
	s_mov_b64 s[2:3], -1
	s_branch .LBB14_254
.LBB14_26:
	s_mov_b64 s[0:1], 0
                                        ; implicit-def: $vgpr2
	s_branch .LBB14_152
.LBB14_27:
	s_mov_b64 s[4:5], -1
	s_mov_b64 s[0:1], 0
	s_mov_b64 s[2:3], 0
	s_branch .LBB14_64
.LBB14_28:
	s_mov_b64 s[0:1], 0
                                        ; implicit-def: $vgpr2
	s_branch .LBB14_147
.LBB14_29:
	s_mov_b64 s[4:5], -1
	s_mov_b64 s[0:1], 0
	s_mov_b64 s[2:3], 0
	s_branch .LBB14_47
.LBB14_30:
	s_mov_b64 s[4:5], -1
	s_mov_b64 s[0:1], 0
	s_mov_b64 s[2:3], 0
	s_branch .LBB14_43
.LBB14_31:
	s_mov_b64 s[18:19], -1
.LBB14_32:
	s_mov_b64 s[0:1], 0
                                        ; implicit-def: $vgpr2
.LBB14_33:
	s_and_b64 vcc, exec, s[2:3]
	s_cbranch_vccz .LBB14_146
; %bb.34:
	s_cmp_eq_u32 s16, 44
	s_cbranch_scc0 .LBB14_145
; %bb.35:
	global_load_ubyte v2, v[0:1], off
	s_movk_i32 s2, 0xff
	v_mov_b32_e32 v3, 0x7f800001
	v_mov_b32_e32 v5, 0x400000
	s_mov_b64 s[0:1], -1
	s_mov_b64 s[18:19], 0
	s_waitcnt vmcnt(0)
	v_lshlrev_b32_e32 v6, 23, v2
	v_cmp_ne_u32_e32 vcc, s2, v2
	v_cndmask_b32_e32 v3, v3, v6, vcc
	v_cmp_ne_u32_e32 vcc, 0, v2
	v_cndmask_b32_e32 v2, v5, v3, vcc
	s_branch .LBB14_146
.LBB14_36:
	s_mov_b64 s[4:5], -1
	s_mov_b64 s[0:1], 0
	s_mov_b64 s[2:3], 0
.LBB14_37:
	s_and_b64 vcc, exec, s[4:5]
	s_cbranch_vccz .LBB14_42
; %bb.38:
	s_cmp_eq_u32 s23, 44
	s_mov_b64 s[0:1], -1
	s_cbranch_scc0 .LBB14_42
; %bb.39:
	v_bfe_u32 v3, v2, 23, 8
	s_movk_i32 s0, 0xff
	v_cmp_ne_u32_e32 vcc, s0, v3
	v_mov_b32_e32 v5, 0xff
	s_and_saveexec_b64 s[2:3], vcc
; %bb.40:
	s_mov_b32 s0, 0x3fffff
	v_and_b32_e32 v6, 0x400000, v2
	v_and_or_b32 v3, v2, s0, v3
	v_cmp_ne_u32_e32 vcc, 0, v6
	v_cmp_ne_u32_e64 s[0:1], 0, v3
	s_and_b64 s[0:1], vcc, s[0:1]
	v_lshrrev_b32_e32 v5, 23, v2
	v_cndmask_b32_e64 v3, 0, 1, s[0:1]
	v_add_u32_e32 v5, v5, v3
; %bb.41:
	s_or_b64 exec, exec, s[2:3]
	s_mov_b64 s[2:3], -1
	s_mov_b64 s[0:1], 0
	global_store_byte v[0:1], v5, off
.LBB14_42:
	s_mov_b64 s[4:5], 0
.LBB14_43:
	s_and_b64 vcc, exec, s[4:5]
	s_cbranch_vccz .LBB14_46
; %bb.44:
	s_cmp_eq_u32 s23, 29
	s_mov_b64 s[0:1], -1
	s_cbranch_scc0 .LBB14_46
; %bb.45:
	v_trunc_f32_e32 v3, v2
	v_mul_f32_e32 v5, 0x2f800000, v3
	v_floor_f32_e32 v5, v5
	v_fmac_f32_e32 v3, 0xcf800000, v5
	v_cvt_u32_f32_e32 v6, v5
	v_cvt_u32_f32_e32 v5, v3
	s_mov_b64 s[2:3], -1
	s_mov_b64 s[0:1], 0
	s_mov_b64 s[4:5], 0
	global_store_dwordx2 v[0:1], v[5:6], off
	s_branch .LBB14_47
.LBB14_46:
	s_mov_b64 s[4:5], 0
.LBB14_47:
	s_and_b64 vcc, exec, s[4:5]
	s_cbranch_vccz .LBB14_63
; %bb.48:
	s_cmp_lt_i32 s23, 27
	s_mov_b64 s[2:3], -1
	s_cbranch_scc1 .LBB14_54
; %bb.49:
	v_cvt_u32_f32_e32 v3, v2
	s_cmp_gt_i32 s23, 27
	s_cbranch_scc0 .LBB14_51
; %bb.50:
	s_mov_b64 s[2:3], 0
	global_store_dword v[0:1], v3, off
.LBB14_51:
	s_andn2_b64 vcc, exec, s[2:3]
	s_cbranch_vccnz .LBB14_53
; %bb.52:
	global_store_short v[0:1], v3, off
.LBB14_53:
	s_mov_b64 s[2:3], 0
.LBB14_54:
	s_andn2_b64 vcc, exec, s[2:3]
	s_cbranch_vccnz .LBB14_62
; %bb.55:
	v_and_b32_e32 v3, 0x7fffffff, v2
	s_mov_b32 s2, 0x43800000
	v_cmp_gt_u32_e32 vcc, s2, v3
	v_mov_b32_e32 v5, 0x80
	s_and_saveexec_b64 s[2:3], vcc
	s_cbranch_execz .LBB14_61
; %bb.56:
	s_mov_b32 s4, 0x3bffffff
	v_cmp_lt_u32_e32 vcc, s4, v3
	s_mov_b64 s[4:5], 0
                                        ; implicit-def: $vgpr3
	s_and_saveexec_b64 s[16:17], vcc
	s_xor_b64 s[16:17], exec, s[16:17]
	s_cbranch_execz .LBB14_286
; %bb.57:
	v_bfe_u32 v3, v2, 20, 1
	s_mov_b32 s26, 0x487ffff
	v_add3_u32 v3, v2, v3, s26
	s_mov_b64 s[4:5], exec
	v_lshrrev_b32_e32 v3, 20, v3
	s_andn2_saveexec_b64 s[16:17], s[16:17]
	s_cbranch_execnz .LBB14_287
.LBB14_58:
	s_or_b64 exec, exec, s[16:17]
	v_mov_b32_e32 v5, 0
	s_and_saveexec_b64 s[16:17], s[4:5]
.LBB14_59:
	v_lshrrev_b32_e32 v5, 24, v2
	s_movk_i32 s4, 0x80
	v_and_or_b32 v5, v5, s4, v3
.LBB14_60:
	s_or_b64 exec, exec, s[16:17]
.LBB14_61:
	s_or_b64 exec, exec, s[2:3]
	global_store_byte v[0:1], v5, off
.LBB14_62:
	s_mov_b64 s[2:3], -1
.LBB14_63:
	s_mov_b64 s[4:5], 0
.LBB14_64:
	s_and_b64 vcc, exec, s[4:5]
	s_cbranch_vccz .LBB14_105
; %bb.65:
	s_cmp_gt_i32 s23, 22
	s_mov_b64 s[4:5], -1
	s_cbranch_scc0 .LBB14_97
; %bb.66:
	s_cmp_lt_i32 s23, 24
	s_mov_b64 s[2:3], -1
	s_cbranch_scc1 .LBB14_86
; %bb.67:
	s_cmp_gt_i32 s23, 24
	s_cbranch_scc0 .LBB14_75
; %bb.68:
	v_and_b32_e32 v3, 0x7fffffff, v2
	s_mov_b32 s2, 0x47800000
	v_cmp_gt_u32_e32 vcc, s2, v3
	v_mov_b32_e32 v5, 0x80
	s_and_saveexec_b64 s[2:3], vcc
	s_cbranch_execz .LBB14_74
; %bb.69:
	s_mov_b32 s4, 0x37ffffff
	v_cmp_lt_u32_e32 vcc, s4, v3
	s_mov_b64 s[4:5], 0
                                        ; implicit-def: $vgpr3
	s_and_saveexec_b64 s[16:17], vcc
	s_xor_b64 s[16:17], exec, s[16:17]
	s_cbranch_execz .LBB14_290
; %bb.70:
	v_bfe_u32 v3, v2, 21, 1
	s_mov_b32 s26, 0x88fffff
	v_add3_u32 v3, v2, v3, s26
	s_mov_b64 s[4:5], exec
	v_lshrrev_b32_e32 v3, 21, v3
	s_andn2_saveexec_b64 s[16:17], s[16:17]
	s_cbranch_execnz .LBB14_291
.LBB14_71:
	s_or_b64 exec, exec, s[16:17]
	v_mov_b32_e32 v5, 0
	s_and_saveexec_b64 s[16:17], s[4:5]
.LBB14_72:
	v_lshrrev_b32_e32 v5, 24, v2
	s_movk_i32 s4, 0x80
	v_and_or_b32 v5, v5, s4, v3
.LBB14_73:
	s_or_b64 exec, exec, s[16:17]
.LBB14_74:
	s_or_b64 exec, exec, s[2:3]
	s_mov_b64 s[2:3], 0
	global_store_byte v[0:1], v5, off
.LBB14_75:
	s_and_b64 vcc, exec, s[2:3]
	s_cbranch_vccz .LBB14_85
; %bb.76:
	v_and_b32_e32 v5, 0x7fffffff, v2
	s_mov_b32 s2, 0x43f00000
	v_cmp_gt_u32_e32 vcc, s2, v5
                                        ; implicit-def: $vgpr3
	s_and_saveexec_b64 s[2:3], vcc
	s_xor_b64 s[2:3], exec, s[2:3]
	s_cbranch_execz .LBB14_82
; %bb.77:
	s_mov_b32 s4, 0x3c7fffff
	v_cmp_lt_u32_e32 vcc, s4, v5
                                        ; implicit-def: $vgpr3
	s_and_saveexec_b64 s[4:5], vcc
	s_xor_b64 s[4:5], exec, s[4:5]
; %bb.78:
	v_bfe_u32 v3, v2, 20, 1
	s_mov_b32 s16, 0x407ffff
	v_add3_u32 v3, v2, v3, s16
	v_lshrrev_b32_e32 v5, 20, v3
	v_and_b32_e32 v3, 0xff00000, v3
	s_mov_b32 s16, 0x7f00000
	v_mov_b32_e32 v6, 0x7e
	v_cmp_ne_u32_e32 vcc, s16, v3
	v_cndmask_b32_e32 v3, v6, v5, vcc
; %bb.79:
	s_andn2_saveexec_b64 s[4:5], s[4:5]
; %bb.80:
	s_mov_b32 s16, 0x46800000
	v_add_f32_e64 v3, |v2|, s16
; %bb.81:
	s_or_b64 exec, exec, s[4:5]
                                        ; implicit-def: $vgpr5
.LBB14_82:
	s_andn2_saveexec_b64 s[2:3], s[2:3]
; %bb.83:
	s_mov_b32 s4, 0x7f800000
	v_mov_b32_e32 v3, 0x7e
	v_mov_b32_e32 v6, 0x7f
	v_cmp_lt_u32_e32 vcc, s4, v5
	v_cndmask_b32_e32 v3, v3, v6, vcc
; %bb.84:
	s_or_b64 exec, exec, s[2:3]
	v_lshrrev_b32_e32 v5, 24, v2
	s_movk_i32 s2, 0x80
	v_and_or_b32 v3, v5, s2, v3
	global_store_byte v[0:1], v3, off
.LBB14_85:
	s_mov_b64 s[2:3], 0
.LBB14_86:
	s_andn2_b64 vcc, exec, s[2:3]
	s_cbranch_vccnz .LBB14_96
; %bb.87:
	v_and_b32_e32 v5, 0x7fffffff, v2
	s_mov_b32 s2, 0x47800000
	v_cmp_gt_u32_e32 vcc, s2, v5
                                        ; implicit-def: $vgpr3
	s_and_saveexec_b64 s[2:3], vcc
	s_xor_b64 s[2:3], exec, s[2:3]
	s_cbranch_execz .LBB14_93
; %bb.88:
	s_mov_b32 s4, 0x387fffff
	v_cmp_lt_u32_e32 vcc, s4, v5
                                        ; implicit-def: $vgpr3
	s_and_saveexec_b64 s[4:5], vcc
	s_xor_b64 s[4:5], exec, s[4:5]
; %bb.89:
	v_bfe_u32 v3, v2, 21, 1
	s_mov_b32 s16, 0x80fffff
	v_add3_u32 v3, v2, v3, s16
	v_lshrrev_b32_e32 v3, 21, v3
; %bb.90:
	s_andn2_saveexec_b64 s[4:5], s[4:5]
; %bb.91:
	s_mov_b32 s16, 0x43000000
	v_add_f32_e64 v3, |v2|, s16
; %bb.92:
	s_or_b64 exec, exec, s[4:5]
                                        ; implicit-def: $vgpr5
.LBB14_93:
	s_andn2_saveexec_b64 s[2:3], s[2:3]
; %bb.94:
	s_mov_b32 s4, 0x7f800000
	v_mov_b32_e32 v3, 0x7c
	v_mov_b32_e32 v6, 0x7f
	v_cmp_lt_u32_e32 vcc, s4, v5
	v_cndmask_b32_e32 v3, v3, v6, vcc
; %bb.95:
	s_or_b64 exec, exec, s[2:3]
	v_lshrrev_b32_e32 v5, 24, v2
	s_movk_i32 s2, 0x80
	v_and_or_b32 v3, v5, s2, v3
	global_store_byte v[0:1], v3, off
.LBB14_96:
	s_mov_b64 s[4:5], 0
	s_mov_b64 s[2:3], -1
.LBB14_97:
	s_andn2_b64 vcc, exec, s[4:5]
	s_cbranch_vccnz .LBB14_105
; %bb.98:
	s_cmp_gt_i32 s23, 14
	s_mov_b64 s[4:5], -1
	s_cbranch_scc0 .LBB14_102
; %bb.99:
	s_cmp_eq_u32 s23, 15
	s_mov_b64 s[0:1], -1
	s_cbranch_scc0 .LBB14_101
; %bb.100:
	v_bfe_u32 v3, v2, 16, 1
	s_movk_i32 s0, 0x7fff
	v_add3_u32 v3, v2, v3, s0
	v_cmp_o_f32_e32 vcc, v2, v2
	v_mov_b32_e32 v5, 0x7fc0
	v_cndmask_b32_sdwa v3, v5, v3, vcc dst_sel:DWORD dst_unused:UNUSED_PAD src0_sel:DWORD src1_sel:WORD_1
	global_store_short v[0:1], v3, off
	s_mov_b64 s[2:3], -1
	s_mov_b64 s[0:1], 0
.LBB14_101:
	s_mov_b64 s[4:5], 0
.LBB14_102:
	s_and_b64 vcc, exec, s[4:5]
	s_cbranch_vccz .LBB14_105
; %bb.103:
	s_cmp_eq_u32 s23, 11
	s_mov_b64 s[0:1], -1
	s_cbranch_scc0 .LBB14_105
; %bb.104:
	v_cmp_neq_f32_e32 vcc, 0, v2
	v_cndmask_b32_e64 v3, 0, 1, vcc
	s_mov_b64 s[2:3], -1
	s_mov_b64 s[0:1], 0
	global_store_byte v[0:1], v3, off
.LBB14_105:
	s_branch .LBB14_24
.LBB14_106:
	s_and_b32 s4, 0xffff, s22
	s_cmp_lt_i32 s4, 5
	s_mov_b64 s[2:3], -1
	s_cbranch_scc1 .LBB14_127
; %bb.107:
	s_cmp_lt_i32 s4, 8
	s_cbranch_scc1 .LBB14_117
; %bb.108:
	s_cmp_lt_i32 s4, 9
	s_cbranch_scc1 .LBB14_114
; %bb.109:
	s_cmp_gt_i32 s4, 9
	s_cbranch_scc0 .LBB14_111
; %bb.110:
	v_cvt_f64_f32_e32 v[5:6], v2
	v_mov_b32_e32 v7, 0
	v_mov_b32_e32 v8, v7
	s_mov_b64 s[2:3], 0
	global_store_dwordx4 v[0:1], v[5:8], off
.LBB14_111:
	s_andn2_b64 vcc, exec, s[2:3]
	s_cbranch_vccnz .LBB14_113
; %bb.112:
	v_mov_b32_e32 v3, 0
	global_store_dwordx2 v[0:1], v[2:3], off
.LBB14_113:
	s_mov_b64 s[2:3], 0
.LBB14_114:
	s_andn2_b64 vcc, exec, s[2:3]
	s_cbranch_vccnz .LBB14_116
; %bb.115:
	v_cvt_f16_f32_e32 v3, v2
	global_store_dword v[0:1], v3, off
.LBB14_116:
	s_mov_b64 s[2:3], 0
.LBB14_117:
	s_andn2_b64 vcc, exec, s[2:3]
	s_cbranch_vccnz .LBB14_126
; %bb.118:
	s_cmp_lt_i32 s4, 6
	s_mov_b64 s[2:3], -1
	s_cbranch_scc1 .LBB14_124
; %bb.119:
	s_cmp_gt_i32 s4, 6
	s_cbranch_scc0 .LBB14_121
; %bb.120:
	v_cvt_f64_f32_e32 v[5:6], v2
	s_mov_b64 s[2:3], 0
	global_store_dwordx2 v[0:1], v[5:6], off
.LBB14_121:
	s_andn2_b64 vcc, exec, s[2:3]
	s_cbranch_vccnz .LBB14_123
; %bb.122:
	global_store_dword v[0:1], v2, off
.LBB14_123:
	s_mov_b64 s[2:3], 0
.LBB14_124:
	s_andn2_b64 vcc, exec, s[2:3]
	s_cbranch_vccnz .LBB14_126
; %bb.125:
	v_cvt_f16_f32_e32 v3, v2
	global_store_short v[0:1], v3, off
.LBB14_126:
	s_mov_b64 s[2:3], 0
.LBB14_127:
	s_andn2_b64 vcc, exec, s[2:3]
	s_cbranch_vccnz .LBB14_143
; %bb.128:
	s_cmp_lt_i32 s4, 2
	s_mov_b64 s[2:3], -1
	s_cbranch_scc1 .LBB14_138
; %bb.129:
	s_cmp_lt_i32 s4, 3
	s_cbranch_scc1 .LBB14_135
; %bb.130:
	s_cmp_gt_i32 s4, 3
	s_cbranch_scc0 .LBB14_132
; %bb.131:
	v_trunc_f32_e32 v3, v2
	s_mov_b32 s2, 0x2f800000
	v_mul_f32_e64 v5, |v3|, s2
	v_floor_f32_e32 v5, v5
	s_mov_b32 s2, 0xcf800000
	v_cvt_u32_f32_e32 v6, v5
	v_fma_f32 v5, v5, s2, |v3|
	v_cvt_u32_f32_e32 v5, v5
	v_ashrrev_i32_e32 v3, 31, v3
	v_xor_b32_e32 v6, v6, v3
	s_mov_b64 s[2:3], 0
	v_xor_b32_e32 v5, v5, v3
	v_sub_co_u32_e32 v5, vcc, v5, v3
	v_subb_co_u32_e32 v6, vcc, v6, v3, vcc
	global_store_dwordx2 v[0:1], v[5:6], off
.LBB14_132:
	s_andn2_b64 vcc, exec, s[2:3]
	s_cbranch_vccnz .LBB14_134
; %bb.133:
	v_cvt_i32_f32_e32 v3, v2
	global_store_dword v[0:1], v3, off
.LBB14_134:
	s_mov_b64 s[2:3], 0
.LBB14_135:
	s_andn2_b64 vcc, exec, s[2:3]
	s_cbranch_vccnz .LBB14_137
; %bb.136:
	v_cvt_i32_f32_e32 v3, v2
	global_store_short v[0:1], v3, off
.LBB14_137:
	s_mov_b64 s[2:3], 0
.LBB14_138:
	s_andn2_b64 vcc, exec, s[2:3]
	s_cbranch_vccnz .LBB14_143
; %bb.139:
	s_cmp_gt_i32 s4, 0
	s_mov_b64 s[2:3], -1
	s_cbranch_scc0 .LBB14_141
; %bb.140:
	v_cvt_i32_f32_e32 v3, v2
	s_mov_b64 s[2:3], 0
	global_store_byte v[0:1], v3, off
.LBB14_141:
	s_andn2_b64 vcc, exec, s[2:3]
	s_cbranch_vccnz .LBB14_143
; %bb.142:
	v_trunc_f32_e32 v2, v2
	s_mov_b32 s2, 0x2f800000
	v_mul_f32_e64 v3, |v2|, s2
	v_floor_f32_e32 v3, v3
	s_mov_b32 s2, 0xcf800000
	v_fma_f32 v3, v3, s2, |v2|
	v_cvt_u32_f32_e32 v3, v3
	v_ashrrev_i32_e32 v2, 31, v2
	v_xor_b32_e32 v3, v3, v2
	v_sub_u32_e32 v2, v3, v2
	global_store_byte v[0:1], v2, off
.LBB14_143:
	s_branch .LBB14_25
.LBB14_144:
	s_mov_b64 s[2:3], 0
                                        ; implicit-def: $vgpr4
	s_branch .LBB14_254
.LBB14_145:
	s_mov_b64 s[18:19], -1
                                        ; implicit-def: $vgpr2
.LBB14_146:
	s_mov_b64 s[2:3], 0
.LBB14_147:
	s_and_b64 vcc, exec, s[2:3]
	s_cbranch_vccz .LBB14_151
; %bb.148:
	s_cmp_eq_u32 s16, 29
	s_cbranch_scc0 .LBB14_150
; %bb.149:
	global_load_dwordx2 v[2:3], v[0:1], off
	s_mov_b64 s[0:1], -1
	s_mov_b64 s[18:19], 0
	s_mov_b64 s[2:3], 0
	s_waitcnt vmcnt(0)
	v_ffbh_u32_e32 v5, v3
	v_min_u32_e32 v5, 32, v5
	v_lshlrev_b64 v[2:3], v5, v[2:3]
	v_min_u32_e32 v2, 1, v2
	v_or_b32_e32 v2, v3, v2
	v_cvt_f32_u32_e32 v2, v2
	v_sub_u32_e32 v3, 32, v5
	v_ldexp_f32 v2, v2, v3
	s_branch .LBB14_152
.LBB14_150:
	s_mov_b64 s[18:19], -1
                                        ; implicit-def: $vgpr2
.LBB14_151:
	s_mov_b64 s[2:3], 0
.LBB14_152:
	s_and_b64 vcc, exec, s[2:3]
	s_cbranch_vccz .LBB14_170
; %bb.153:
	s_cmp_lt_i32 s16, 27
	s_cbranch_scc1 .LBB14_156
; %bb.154:
	s_cmp_gt_i32 s16, 27
	s_cbranch_scc0 .LBB14_157
; %bb.155:
	global_load_dword v2, v[0:1], off
	s_mov_b64 s[0:1], 0
	s_waitcnt vmcnt(0)
	v_cvt_f32_u32_e32 v2, v2
	s_branch .LBB14_158
.LBB14_156:
	s_mov_b64 s[0:1], -1
                                        ; implicit-def: $vgpr2
	s_branch .LBB14_161
.LBB14_157:
	s_mov_b64 s[0:1], -1
                                        ; implicit-def: $vgpr2
.LBB14_158:
	s_andn2_b64 vcc, exec, s[0:1]
	s_cbranch_vccnz .LBB14_160
; %bb.159:
	global_load_ushort v2, v[0:1], off
	s_waitcnt vmcnt(0)
	v_cvt_f32_u32_e32 v2, v2
.LBB14_160:
	s_mov_b64 s[0:1], 0
.LBB14_161:
	s_andn2_b64 vcc, exec, s[0:1]
	s_cbranch_vccnz .LBB14_169
; %bb.162:
	global_load_ubyte v3, v[0:1], off
	s_movk_i32 s0, 0x7f
	s_waitcnt vmcnt(0)
	v_cmp_lt_i16_e32 vcc, s0, v3
	s_mov_b64 s[0:1], 0
	s_and_saveexec_b64 s[2:3], vcc
	s_xor_b64 s[2:3], exec, s[2:3]
	s_cbranch_execz .LBB14_182
; %bb.163:
	s_movk_i32 s0, 0x80
	v_cmp_eq_u16_e32 vcc, s0, v3
	s_mov_b64 s[0:1], -1
	s_and_saveexec_b64 s[4:5], vcc
; %bb.164:
	s_xor_b64 s[0:1], exec, -1
; %bb.165:
	s_or_b64 exec, exec, s[4:5]
	s_and_b64 s[0:1], s[0:1], exec
	s_or_saveexec_b64 s[2:3], s[2:3]
	v_mov_b32_e32 v2, 0x7f800001
	s_xor_b64 exec, exec, s[2:3]
	s_cbranch_execnz .LBB14_183
.LBB14_166:
	s_or_b64 exec, exec, s[2:3]
	s_and_saveexec_b64 s[2:3], s[0:1]
	s_cbranch_execz .LBB14_168
.LBB14_167:
	v_lshlrev_b32_e32 v2, 24, v3
	v_and_b32_e32 v3, 0xffff, v3
	v_and_b32_e32 v5, 7, v3
	v_ffbh_u32_e32 v7, v5
	v_min_u32_e32 v7, 32, v7
	v_subrev_u32_e32 v8, 28, v7
	v_bfe_u32 v6, v3, 3, 4
	v_lshlrev_b32_e32 v3, v8, v3
	v_sub_u32_e32 v7, 29, v7
	v_and_b32_e32 v3, 7, v3
	v_cmp_eq_u32_e32 vcc, 0, v6
	v_cndmask_b32_e32 v6, v6, v7, vcc
	v_cndmask_b32_e32 v3, v5, v3, vcc
	v_mov_b32_e32 v5, 0x3b800000
	v_lshlrev_b32_e32 v3, 20, v3
	v_and_b32_e32 v2, 0x80000000, v2
	v_lshl_add_u32 v5, v6, 23, v5
	v_or3_b32 v2, v2, v5, v3
.LBB14_168:
	s_or_b64 exec, exec, s[2:3]
.LBB14_169:
	s_mov_b64 s[0:1], -1
.LBB14_170:
	s_branch .LBB14_205
.LBB14_171:
	s_cmp_gt_i32 s16, 22
	s_cbranch_scc0 .LBB14_181
; %bb.172:
	s_cmp_lt_i32 s16, 24
	s_cbranch_scc1 .LBB14_184
; %bb.173:
	s_cmp_gt_i32 s16, 24
	s_cbranch_scc0 .LBB14_185
; %bb.174:
	global_load_ubyte v3, v[0:1], off
	s_movk_i32 s0, 0x7f
	s_waitcnt vmcnt(0)
	v_cmp_lt_i16_e32 vcc, s0, v3
	s_mov_b64 s[0:1], 0
	s_and_saveexec_b64 s[2:3], vcc
	s_xor_b64 s[2:3], exec, s[2:3]
	s_cbranch_execz .LBB14_197
; %bb.175:
	s_movk_i32 s0, 0x80
	v_cmp_eq_u16_e32 vcc, s0, v3
	s_mov_b64 s[0:1], -1
	s_and_saveexec_b64 s[4:5], vcc
; %bb.176:
	s_xor_b64 s[0:1], exec, -1
; %bb.177:
	s_or_b64 exec, exec, s[4:5]
	s_and_b64 s[0:1], s[0:1], exec
	s_or_saveexec_b64 s[2:3], s[2:3]
	v_mov_b32_e32 v2, 0x7f800001
	s_xor_b64 exec, exec, s[2:3]
	s_cbranch_execnz .LBB14_198
.LBB14_178:
	s_or_b64 exec, exec, s[2:3]
	s_and_saveexec_b64 s[2:3], s[0:1]
	s_cbranch_execz .LBB14_180
.LBB14_179:
	v_lshlrev_b32_e32 v2, 24, v3
	v_and_b32_e32 v3, 0xffff, v3
	v_and_b32_e32 v5, 3, v3
	v_ffbh_u32_e32 v7, v5
	v_min_u32_e32 v7, 32, v7
	v_subrev_u32_e32 v8, 29, v7
	v_bfe_u32 v6, v3, 2, 5
	v_lshlrev_b32_e32 v3, v8, v3
	v_sub_u32_e32 v7, 30, v7
	v_and_b32_e32 v3, 3, v3
	v_cmp_eq_u32_e32 vcc, 0, v6
	v_cndmask_b32_e32 v6, v6, v7, vcc
	v_cndmask_b32_e32 v3, v5, v3, vcc
	v_mov_b32_e32 v5, 0x37800000
	v_lshlrev_b32_e32 v3, 21, v3
	v_and_b32_e32 v2, 0x80000000, v2
	v_lshl_add_u32 v5, v6, 23, v5
	v_or3_b32 v2, v2, v5, v3
.LBB14_180:
	s_or_b64 exec, exec, s[2:3]
	s_mov_b64 s[0:1], 0
	s_branch .LBB14_186
.LBB14_181:
	s_mov_b64 s[2:3], -1
                                        ; implicit-def: $vgpr2
	s_branch .LBB14_192
.LBB14_182:
	s_or_saveexec_b64 s[2:3], s[2:3]
	v_mov_b32_e32 v2, 0x7f800001
	s_xor_b64 exec, exec, s[2:3]
	s_cbranch_execz .LBB14_166
.LBB14_183:
	v_cmp_ne_u16_e32 vcc, 0, v3
	s_andn2_b64 s[0:1], s[0:1], exec
	s_and_b64 s[4:5], vcc, exec
	v_mov_b32_e32 v2, 0
	s_or_b64 s[0:1], s[0:1], s[4:5]
	s_or_b64 exec, exec, s[2:3]
	s_and_saveexec_b64 s[2:3], s[0:1]
	s_cbranch_execnz .LBB14_167
	s_branch .LBB14_168
.LBB14_184:
	s_mov_b64 s[0:1], -1
                                        ; implicit-def: $vgpr2
	s_branch .LBB14_189
.LBB14_185:
	s_mov_b64 s[0:1], -1
                                        ; implicit-def: $vgpr2
.LBB14_186:
	s_and_b64 vcc, exec, s[0:1]
	s_cbranch_vccz .LBB14_188
; %bb.187:
	global_load_ubyte v2, v[0:1], off
	s_mov_b32 s0, 0x7f800000
	s_waitcnt vmcnt(0)
	v_lshlrev_b32_e32 v2, 24, v2
	v_and_b32_e32 v3, 0x7f000000, v2
	v_ffbh_u32_e32 v5, v3
	v_min_u32_e32 v5, 32, v5
	v_sub_u32_e64 v5, v5, 4 clamp
	v_lshlrev_b32_e32 v7, v5, v3
	v_lshlrev_b32_e32 v5, 23, v5
	v_lshrrev_b32_e32 v7, 4, v7
	v_add_u32_e32 v6, 0x1000000, v3
	v_sub_u32_e32 v5, v7, v5
	v_ashrrev_i32_e32 v6, 8, v6
	v_add_u32_e32 v5, 0x3c000000, v5
	v_and_or_b32 v5, v6, s0, v5
	v_cmp_ne_u32_e32 vcc, 0, v3
	v_cndmask_b32_e32 v3, 0, v5, vcc
	s_brev_b32 s0, 1
	v_and_or_b32 v2, v2, s0, v3
.LBB14_188:
	s_mov_b64 s[0:1], 0
.LBB14_189:
	s_andn2_b64 vcc, exec, s[0:1]
	s_cbranch_vccnz .LBB14_191
; %bb.190:
	global_load_ubyte v2, v[0:1], off
	s_movk_i32 s0, 0x7f00
	s_brev_b32 s1, 16
	s_waitcnt vmcnt(0)
	v_lshlrev_b16_e32 v3, 8, v2
	v_lshlrev_b32_e32 v2, 25, v2
	v_lshrrev_b32_e32 v5, 4, v2
	v_and_or_b32 v6, v3, s0, 0.5
	v_or_b32_e32 v5, 0x70000000, v5
	v_add_f32_e32 v6, -0.5, v6
	v_mul_f32_e32 v5, 0x7800000, v5
	v_cmp_gt_u32_e32 vcc, s1, v2
	v_bfe_i32 v3, v3, 0, 16
	v_cndmask_b32_e32 v2, v5, v6, vcc
	s_brev_b32 s0, 1
	v_and_or_b32 v2, v3, s0, v2
.LBB14_191:
	s_mov_b64 s[2:3], 0
	s_mov_b64 s[0:1], -1
.LBB14_192:
	s_andn2_b64 vcc, exec, s[2:3]
	s_cbranch_vccnz .LBB14_205
; %bb.193:
	s_cmp_gt_i32 s16, 14
	s_cbranch_scc0 .LBB14_196
; %bb.194:
	s_cmp_eq_u32 s16, 15
	s_cbranch_scc0 .LBB14_199
; %bb.195:
	global_load_ushort v2, v[0:1], off
	s_mov_b64 s[0:1], -1
	s_mov_b64 s[18:19], 0
	s_waitcnt vmcnt(0)
	v_lshlrev_b32_e32 v2, 16, v2
	s_branch .LBB14_200
.LBB14_196:
	s_mov_b64 s[2:3], -1
                                        ; implicit-def: $vgpr2
	s_branch .LBB14_201
.LBB14_197:
	s_or_saveexec_b64 s[2:3], s[2:3]
	v_mov_b32_e32 v2, 0x7f800001
	s_xor_b64 exec, exec, s[2:3]
	s_cbranch_execz .LBB14_178
.LBB14_198:
	v_cmp_ne_u16_e32 vcc, 0, v3
	s_andn2_b64 s[0:1], s[0:1], exec
	s_and_b64 s[4:5], vcc, exec
	v_mov_b32_e32 v2, 0
	s_or_b64 s[0:1], s[0:1], s[4:5]
	s_or_b64 exec, exec, s[2:3]
	s_and_saveexec_b64 s[2:3], s[0:1]
	s_cbranch_execnz .LBB14_179
	s_branch .LBB14_180
.LBB14_199:
	s_mov_b64 s[18:19], -1
                                        ; implicit-def: $vgpr2
.LBB14_200:
	s_mov_b64 s[2:3], 0
.LBB14_201:
	s_and_b64 vcc, exec, s[2:3]
	s_cbranch_vccz .LBB14_205
; %bb.202:
	s_cmp_eq_u32 s16, 11
	s_cbranch_scc0 .LBB14_204
; %bb.203:
	global_load_ubyte v2, v[0:1], off
	s_mov_b64 s[0:1], -1
	s_mov_b64 s[18:19], 0
	s_waitcnt vmcnt(0)
	v_cmp_ne_u16_e32 vcc, 0, v2
	v_cndmask_b32_e64 v2, 0, 1.0, vcc
	s_branch .LBB14_205
.LBB14_204:
	s_mov_b64 s[18:19], -1
                                        ; implicit-def: $vgpr2
.LBB14_205:
	s_branch .LBB14_10
.LBB14_206:
	s_cmp_lt_i32 s16, 5
	s_cbranch_scc1 .LBB14_211
; %bb.207:
	s_cmp_lt_i32 s16, 8
	s_cbranch_scc1 .LBB14_212
; %bb.208:
	;; [unrolled: 3-line block ×3, first 2 shown]
	s_cmp_gt_i32 s16, 9
	s_cbranch_scc0 .LBB14_214
; %bb.210:
	global_load_dwordx2 v[2:3], v[0:1], off
	s_mov_b64 s[0:1], 0
	s_waitcnt vmcnt(0)
	v_cvt_f32_f64_e32 v2, v[2:3]
	s_branch .LBB14_215
.LBB14_211:
                                        ; implicit-def: $vgpr2
	s_branch .LBB14_233
.LBB14_212:
	s_mov_b64 s[0:1], -1
                                        ; implicit-def: $vgpr2
	s_branch .LBB14_221
.LBB14_213:
	s_mov_b64 s[0:1], -1
                                        ; implicit-def: $vgpr2
	s_branch .LBB14_218
.LBB14_214:
	s_mov_b64 s[0:1], -1
                                        ; implicit-def: $vgpr2
.LBB14_215:
	s_andn2_b64 vcc, exec, s[0:1]
	s_cbranch_vccnz .LBB14_217
; %bb.216:
	global_load_dword v2, v[0:1], off
.LBB14_217:
	s_mov_b64 s[0:1], 0
.LBB14_218:
	s_andn2_b64 vcc, exec, s[0:1]
	s_cbranch_vccnz .LBB14_220
; %bb.219:
	global_load_dword v2, v[0:1], off
	s_waitcnt vmcnt(0)
	v_cvt_f32_f16_e32 v2, v2
.LBB14_220:
	s_mov_b64 s[0:1], 0
.LBB14_221:
	s_andn2_b64 vcc, exec, s[0:1]
	s_cbranch_vccnz .LBB14_232
; %bb.222:
	s_cmp_lt_i32 s16, 6
	s_cbranch_scc1 .LBB14_225
; %bb.223:
	s_cmp_gt_i32 s16, 6
	s_cbranch_scc0 .LBB14_226
; %bb.224:
	global_load_dwordx2 v[2:3], v[0:1], off
	s_mov_b64 s[0:1], 0
	s_waitcnt vmcnt(0)
	v_cvt_f32_f64_e32 v2, v[2:3]
	s_branch .LBB14_227
.LBB14_225:
	s_mov_b64 s[0:1], -1
                                        ; implicit-def: $vgpr2
	s_branch .LBB14_230
.LBB14_226:
	s_mov_b64 s[0:1], -1
                                        ; implicit-def: $vgpr2
.LBB14_227:
	s_andn2_b64 vcc, exec, s[0:1]
	s_cbranch_vccnz .LBB14_229
; %bb.228:
	global_load_dword v2, v[0:1], off
.LBB14_229:
	s_mov_b64 s[0:1], 0
.LBB14_230:
	s_andn2_b64 vcc, exec, s[0:1]
	s_cbranch_vccnz .LBB14_232
; %bb.231:
	global_load_ushort v2, v[0:1], off
	s_waitcnt vmcnt(0)
	v_cvt_f32_f16_e32 v2, v2
.LBB14_232:
	s_cbranch_execnz .LBB14_252
.LBB14_233:
	s_cmp_lt_i32 s16, 2
	s_cbranch_scc1 .LBB14_237
; %bb.234:
	s_cmp_lt_i32 s16, 3
	s_cbranch_scc1 .LBB14_238
; %bb.235:
	s_cmp_gt_i32 s16, 3
	s_cbranch_scc0 .LBB14_239
; %bb.236:
	global_load_dwordx2 v[2:3], v[0:1], off
	s_mov_b64 s[0:1], 0
	s_waitcnt vmcnt(0)
	v_xor_b32_e32 v6, v2, v3
	v_ffbh_i32_e32 v5, v3
	v_ashrrev_i32_e32 v6, 31, v6
	v_add_u32_e32 v5, -1, v5
	v_add_u32_e32 v6, 32, v6
	v_min_u32_e32 v5, v5, v6
	v_lshlrev_b64 v[2:3], v5, v[2:3]
	v_min_u32_e32 v2, 1, v2
	v_or_b32_e32 v2, v3, v2
	v_cvt_f32_i32_e32 v2, v2
	v_sub_u32_e32 v3, 32, v5
	v_ldexp_f32 v2, v2, v3
	s_branch .LBB14_240
.LBB14_237:
	s_mov_b64 s[0:1], -1
                                        ; implicit-def: $vgpr2
	s_branch .LBB14_246
.LBB14_238:
	s_mov_b64 s[0:1], -1
                                        ; implicit-def: $vgpr2
	s_branch .LBB14_243
.LBB14_239:
	s_mov_b64 s[0:1], -1
                                        ; implicit-def: $vgpr2
.LBB14_240:
	s_andn2_b64 vcc, exec, s[0:1]
	s_cbranch_vccnz .LBB14_242
; %bb.241:
	global_load_dword v2, v[0:1], off
	s_waitcnt vmcnt(0)
	v_cvt_f32_i32_e32 v2, v2
.LBB14_242:
	s_mov_b64 s[0:1], 0
.LBB14_243:
	s_andn2_b64 vcc, exec, s[0:1]
	s_cbranch_vccnz .LBB14_245
; %bb.244:
	global_load_sshort v2, v[0:1], off
	s_waitcnt vmcnt(0)
	v_cvt_f32_i32_e32 v2, v2
.LBB14_245:
	s_mov_b64 s[0:1], 0
.LBB14_246:
	s_andn2_b64 vcc, exec, s[0:1]
	s_cbranch_vccnz .LBB14_252
; %bb.247:
	s_cmp_gt_i32 s16, 0
	s_cbranch_scc0 .LBB14_249
; %bb.248:
	global_load_sbyte v2, v[0:1], off
	s_mov_b64 s[0:1], 0
	s_waitcnt vmcnt(0)
	v_cvt_f32_i32_e32 v2, v2
	s_branch .LBB14_250
.LBB14_249:
	s_mov_b64 s[0:1], -1
                                        ; implicit-def: $vgpr2
.LBB14_250:
	s_andn2_b64 vcc, exec, s[0:1]
	s_cbranch_vccnz .LBB14_252
; %bb.251:
	global_load_ubyte v0, v[0:1], off
	s_waitcnt vmcnt(0)
	v_cvt_f32_ubyte0_e32 v2, v0
.LBB14_252:
	s_branch .LBB14_11
.LBB14_253:
	s_mov_b64 s[0:1], 0
                                        ; implicit-def: $vgpr4
	s_mov_b64 s[2:3], 0
.LBB14_254:
	s_and_b64 s[16:17], s[0:1], exec
	s_and_b64 s[18:19], s[18:19], exec
	s_orn2_b64 s[2:3], s[2:3], exec
.LBB14_255:
	s_or_b64 exec, exec, s[20:21]
	s_mov_b64 s[4:5], 0
	s_mov_b64 s[0:1], 0
                                        ; implicit-def: $vgpr0_vgpr1
                                        ; implicit-def: $vgpr3
	s_and_saveexec_b64 s[20:21], s[2:3]
	s_cbranch_execz .LBB14_264
; %bb.256:
	v_cmp_gt_i32_e32 vcc, s38, v4
	s_mov_b64 s[0:1], -1
	s_mov_b64 s[22:23], s[18:19]
	s_mov_b64 s[24:25], s[16:17]
	s_and_saveexec_b64 s[26:27], vcc
	s_cbranch_execz .LBB14_520
; %bb.257:
	v_mul_lo_u32 v0, v4, s13
	v_mov_b32_e32 v1, s11
	s_and_b32 s24, 0xffff, s42
	s_cmp_lt_i32 s24, 11
	s_waitcnt vmcnt(0)
	v_ashrrev_i32_e32 v2, 31, v0
	v_add_co_u32_e32 v0, vcc, s10, v0
	v_addc_co_u32_e32 v1, vcc, v1, v2, vcc
	s_cbranch_scc1 .LBB14_267
; %bb.258:
	s_cmp_gt_i32 s24, 25
	s_cbranch_scc0 .LBB14_280
; %bb.259:
	s_cmp_gt_i32 s24, 28
	s_cbranch_scc0 .LBB14_282
	;; [unrolled: 3-line block ×4, first 2 shown]
; %bb.262:
	s_cmp_eq_u32 s24, 46
	s_mov_b64 s[2:3], 0
	s_cbranch_scc0 .LBB14_292
; %bb.263:
	global_load_dword v2, v[0:1], off
	s_mov_b64 s[22:23], 0
	s_waitcnt vmcnt(0)
	v_lshlrev_b32_e32 v2, 16, v2
	s_branch .LBB14_293
.LBB14_264:
	s_or_b64 exec, exec, s[20:21]
	s_mov_b64 s[20:21], 0
	s_and_saveexec_b64 s[2:3], s[18:19]
	s_cbranch_execnz .LBB14_870
.LBB14_265:
	s_or_b64 exec, exec, s[2:3]
	s_and_saveexec_b64 s[2:3], s[24:25]
	s_xor_b64 s[2:3], exec, s[2:3]
	s_cbranch_execz .LBB14_871
.LBB14_266:
	global_load_ubyte v2, v[0:1], off
	s_or_b64 s[0:1], s[0:1], exec
	s_waitcnt vmcnt(0)
	v_cmp_ne_u16_e32 vcc, 0, v2
	v_cndmask_b32_e64 v3, 0, 1.0, vcc
	s_or_b64 exec, exec, s[2:3]
	s_and_saveexec_b64 s[2:3], s[4:5]
	s_cbranch_execz .LBB14_917
	s_branch .LBB14_872
.LBB14_267:
	s_mov_b64 s[0:1], 0
                                        ; implicit-def: $vgpr2
	s_mov_b64 s[22:23], s[18:19]
	s_cbranch_execnz .LBB14_470
.LBB14_268:
	s_andn2_b64 vcc, exec, s[0:1]
	s_cbranch_vccnz .LBB14_518
.LBB14_269:
	s_brev_b32 s0, 18
	s_waitcnt vmcnt(0)
	v_and_b32_e32 v0, 0x7fffffff, v2
	v_cmp_nlt_f32_e64 s[0:1], |v2|, s0
                                        ; implicit-def: $vgpr1
                                        ; implicit-def: $vgpr3
	s_and_saveexec_b64 s[2:3], s[0:1]
	s_xor_b64 s[24:25], exec, s[2:3]
	s_cbranch_execz .LBB14_271
; %bb.270:
	v_and_b32_e32 v1, 0x7fffff, v0
	v_or_b32_e32 v1, 0x800000, v1
	s_mov_b32 s0, 0xfe5163ab
	v_mad_u64_u32 v[5:6], s[0:1], v1, s0, 0
	v_mov_b32_e32 v7, 0
	s_mov_b32 s0, 0x3c439041
	v_mad_u64_u32 v[8:9], s[0:1], v1, s0, v[6:7]
	s_mov_b32 s0, 0xdb629599
	v_lshrrev_b32_e32 v3, 23, v0
	v_mov_b32_e32 v6, v9
	v_mad_u64_u32 v[9:10], s[0:1], v1, s0, v[6:7]
	s_mov_b32 s0, 0xf534ddc0
	v_add_u32_e32 v3, 0xffffff88, v3
	v_mov_b32_e32 v6, v10
	v_mad_u64_u32 v[10:11], s[0:1], v1, s0, v[6:7]
	s_mov_b32 s0, 0xfc2757d1
	v_not_b32_e32 v13, 63
	v_mov_b32_e32 v6, v11
	v_mad_u64_u32 v[11:12], s[0:1], v1, s0, v[6:7]
	v_cmp_lt_u32_e32 vcc, 63, v3
	v_cndmask_b32_e32 v6, 0, v13, vcc
	v_add_u32_e32 v3, v6, v3
	v_mov_b32_e32 v6, v12
	s_mov_b32 s0, 0x4e441529
	v_mad_u64_u32 v[12:13], s[0:1], v1, s0, v[6:7]
	v_not_b32_e32 v14, 31
	v_cmp_lt_u32_e64 s[0:1], 31, v3
	v_cndmask_b32_e64 v6, 0, v14, s[0:1]
	v_add_u32_e32 v3, v6, v3
	v_mov_b32_e32 v6, v13
	s_mov_b32 s2, 0xa2f9836e
	v_mad_u64_u32 v[6:7], s[2:3], v1, s2, v[6:7]
	v_cmp_lt_u32_e64 s[2:3], 31, v3
	v_cndmask_b32_e64 v1, 0, v14, s[2:3]
	v_add_u32_e32 v1, v1, v3
	v_cndmask_b32_e32 v3, v12, v10, vcc
	v_cndmask_b32_e32 v6, v6, v11, vcc
	v_cndmask_b32_e32 v7, v7, v12, vcc
	v_cndmask_b32_e64 v13, v6, v3, s[0:1]
	v_cndmask_b32_e64 v6, v7, v6, s[0:1]
	v_cndmask_b32_e32 v7, v11, v9, vcc
	v_cndmask_b32_e64 v3, v3, v7, s[0:1]
	v_cndmask_b32_e64 v6, v6, v13, s[2:3]
	;; [unrolled: 1-line block ×3, first 2 shown]
	v_sub_u32_e32 v12, 32, v1
	v_alignbit_b32 v13, v6, v11, v12
	v_cmp_eq_u32_e64 s[4:5], 0, v1
	v_cndmask_b32_e64 v1, v13, v6, s[4:5]
	v_cndmask_b32_e32 v6, v10, v8, vcc
	v_cndmask_b32_e64 v7, v7, v6, s[0:1]
	v_cndmask_b32_e64 v3, v3, v7, s[2:3]
	v_alignbit_b32 v8, v11, v3, v12
	v_cndmask_b32_e32 v5, v9, v5, vcc
	v_cndmask_b32_e64 v8, v8, v11, s[4:5]
	v_bfe_u32 v13, v1, 29, 1
	v_cndmask_b32_e64 v5, v6, v5, s[0:1]
	v_alignbit_b32 v10, v1, v8, 30
	v_sub_u32_e32 v14, 0, v13
	v_cndmask_b32_e64 v5, v7, v5, s[2:3]
	v_xor_b32_e32 v10, v10, v14
	v_alignbit_b32 v6, v3, v5, v12
	v_cndmask_b32_e64 v3, v6, v3, s[4:5]
	v_ffbh_u32_e32 v7, v10
	v_alignbit_b32 v6, v8, v3, 30
	v_min_u32_e32 v7, 32, v7
	v_alignbit_b32 v3, v3, v5, 30
	v_xor_b32_e32 v6, v6, v14
	v_sub_u32_e32 v8, 31, v7
	v_xor_b32_e32 v3, v3, v14
	v_alignbit_b32 v9, v10, v6, v8
	v_alignbit_b32 v3, v6, v3, v8
	;; [unrolled: 1-line block ×3, first 2 shown]
	v_ffbh_u32_e32 v6, v5
	v_min_u32_e32 v6, 32, v6
	v_lshrrev_b32_e32 v11, 29, v1
	v_not_b32_e32 v8, v6
	v_alignbit_b32 v3, v5, v3, v8
	v_lshlrev_b32_e32 v5, 31, v11
	v_or_b32_e32 v8, 0x33000000, v5
	v_add_lshl_u32 v6, v6, v7, 23
	v_lshrrev_b32_e32 v3, 9, v3
	v_sub_u32_e32 v6, v8, v6
	v_or_b32_e32 v5, 0.5, v5
	v_lshlrev_b32_e32 v7, 23, v7
	v_or_b32_e32 v3, v6, v3
	v_lshrrev_b32_e32 v6, 9, v9
	v_sub_u32_e32 v5, v5, v7
	v_or_b32_e32 v5, v6, v5
	s_mov_b32 s0, 0x3fc90fda
	v_mul_f32_e32 v6, 0x3fc90fda, v5
	v_fma_f32 v7, v5, s0, -v6
	v_fmac_f32_e32 v7, 0x33a22168, v5
	v_fmac_f32_e32 v7, 0x3fc90fda, v3
	v_lshrrev_b32_e32 v1, 30, v1
	v_add_f32_e32 v3, v6, v7
	v_add_u32_e32 v1, v13, v1
.LBB14_271:
	s_andn2_saveexec_b64 s[0:1], s[24:25]
	s_cbranch_execz .LBB14_273
; %bb.272:
	s_mov_b32 s2, 0x3f22f983
	v_mul_f32_e64 v1, |v2|, s2
	v_rndne_f32_e32 v5, v1
	s_mov_b32 s2, 0xbfc90fda
	v_cvt_i32_f32_e32 v1, v5
	v_fma_f32 v3, v5, s2, |v2|
	v_fmac_f32_e32 v3, 0xb3a22168, v5
	v_fmac_f32_e32 v3, 0xa7c234c4, v5
.LBB14_273:
	s_or_b64 exec, exec, s[0:1]
	v_mul_f32_e32 v5, v3, v3
	v_mov_b32_e32 v6, 0x3c0881c4
	v_fmac_f32_e32 v6, 0xb94c1982, v5
	v_mov_b32_e32 v7, 0xbe2aaa9d
	v_fmac_f32_e32 v7, v5, v6
	v_mul_f32_e32 v6, v5, v7
	v_fmac_f32_e32 v3, v3, v6
	v_mov_b32_e32 v6, 0xbab64f3b
	v_fmac_f32_e32 v6, 0x37d75334, v5
	v_mov_b32_e32 v7, 0x3d2aabf7
	;; [unrolled: 2-line block ×3, first 2 shown]
	v_fmac_f32_e32 v6, v5, v7
	v_fma_f32 v5, v5, v6, 1.0
	v_and_b32_e32 v6, 1, v1
	v_lshlrev_b32_e32 v1, 30, v1
	v_and_b32_e32 v1, 0x80000000, v1
	v_xor_b32_e32 v0, v0, v2
	v_xor_b32_e32 v0, v0, v1
	v_mul_lo_u32 v1, v4, s12
	v_cmp_eq_u32_e32 vcc, 0, v6
	v_cndmask_b32_e32 v3, v5, v3, vcc
	s_movk_i32 s0, 0x1f8
	v_xor_b32_e32 v0, v0, v3
	v_mov_b32_e32 v3, 0x7fc00000
	v_cmp_class_f32_e64 vcc, v2, s0
	v_cndmask_b32_e32 v2, v3, v0, vcc
	v_ashrrev_i32_e32 v3, 31, v1
	v_mov_b32_e32 v5, s9
	s_and_b32 s28, s33, 0xff
	v_add_co_u32_e32 v0, vcc, s8, v1
	s_cmp_lt_i32 s28, 11
	v_addc_co_u32_e32 v1, vcc, v5, v3, vcc
	s_cbranch_scc1 .LBB14_281
; %bb.274:
	s_and_b32 s29, 0xffff, s28
	s_cmp_gt_i32 s29, 25
	s_cbranch_scc0 .LBB14_283
; %bb.275:
	s_cmp_gt_i32 s29, 28
	s_cbranch_scc0 .LBB14_285
; %bb.276:
	;; [unrolled: 3-line block ×4, first 2 shown]
	s_mov_b64 s[4:5], 0
	s_mov_b64 s[0:1], -1
	s_cmp_eq_u32 s29, 46
	s_mov_b64 s[2:3], 0
	s_cbranch_scc0 .LBB14_297
; %bb.279:
	v_bfe_u32 v3, v2, 16, 1
	s_movk_i32 s0, 0x7fff
	v_add3_u32 v3, v2, v3, s0
	v_cmp_o_f32_e32 vcc, v2, v2
	v_mov_b32_e32 v5, 0x7fc0
	v_cndmask_b32_sdwa v3, v5, v3, vcc dst_sel:DWORD dst_unused:UNUSED_PAD src0_sel:DWORD src1_sel:WORD_1
	global_store_dword v[0:1], v3, off
	s_mov_b64 s[2:3], -1
	s_mov_b64 s[0:1], 0
	s_branch .LBB14_297
.LBB14_280:
	s_mov_b64 s[2:3], -1
	s_mov_b64 s[0:1], 0
	s_mov_b64 s[22:23], s[18:19]
                                        ; implicit-def: $vgpr2
	s_branch .LBB14_434
.LBB14_281:
	s_mov_b64 s[4:5], -1
	s_mov_b64 s[2:3], 0
	s_mov_b64 s[0:1], s[16:17]
	s_branch .LBB14_366
.LBB14_282:
	s_mov_b64 s[2:3], -1
	s_mov_b64 s[0:1], 0
	s_mov_b64 s[22:23], s[18:19]
                                        ; implicit-def: $vgpr2
	s_branch .LBB14_415
.LBB14_283:
	s_mov_b64 s[4:5], -1
	s_mov_b64 s[2:3], 0
	s_mov_b64 s[0:1], s[16:17]
	s_branch .LBB14_324
.LBB14_284:
	s_mov_b64 s[2:3], -1
	s_mov_b64 s[0:1], 0
	s_mov_b64 s[22:23], s[18:19]
                                        ; implicit-def: $vgpr2
	s_branch .LBB14_410
.LBB14_285:
	s_mov_b64 s[4:5], -1
	s_mov_b64 s[2:3], 0
	s_mov_b64 s[0:1], s[16:17]
	s_branch .LBB14_307
.LBB14_286:
	s_andn2_saveexec_b64 s[16:17], s[16:17]
	s_cbranch_execz .LBB14_58
.LBB14_287:
	s_mov_b32 s26, 0x46000000
	v_add_f32_e64 v3, |v2|, s26
	v_and_b32_e32 v3, 0xff, v3
	v_cmp_ne_u32_e32 vcc, 0, v3
	s_andn2_b64 s[4:5], s[4:5], exec
	s_and_b64 s[26:27], vcc, exec
	s_or_b64 s[4:5], s[4:5], s[26:27]
	s_or_b64 exec, exec, s[16:17]
	v_mov_b32_e32 v5, 0
	s_and_saveexec_b64 s[16:17], s[4:5]
	s_cbranch_execnz .LBB14_59
	s_branch .LBB14_60
.LBB14_288:
	s_mov_b64 s[2:3], -1
	s_mov_b64 s[0:1], 0
	s_mov_b64 s[22:23], s[18:19]
                                        ; implicit-def: $vgpr2
	s_branch .LBB14_293
.LBB14_289:
	s_mov_b64 s[4:5], -1
	s_mov_b64 s[2:3], 0
	s_mov_b64 s[0:1], s[16:17]
	s_branch .LBB14_303
.LBB14_290:
	s_andn2_saveexec_b64 s[16:17], s[16:17]
	s_cbranch_execz .LBB14_71
.LBB14_291:
	s_mov_b32 s26, 0x42800000
	v_add_f32_e64 v3, |v2|, s26
	v_and_b32_e32 v3, 0xff, v3
	v_cmp_ne_u32_e32 vcc, 0, v3
	s_andn2_b64 s[4:5], s[4:5], exec
	s_and_b64 s[26:27], vcc, exec
	s_or_b64 s[4:5], s[4:5], s[26:27]
	s_or_b64 exec, exec, s[16:17]
	v_mov_b32_e32 v5, 0
	s_and_saveexec_b64 s[16:17], s[4:5]
	s_cbranch_execnz .LBB14_72
	s_branch .LBB14_73
.LBB14_292:
	s_mov_b64 s[22:23], -1
                                        ; implicit-def: $vgpr2
	s_mov_b64 s[0:1], 0
.LBB14_293:
	s_and_b64 vcc, exec, s[2:3]
	s_cbranch_vccz .LBB14_409
; %bb.294:
	s_cmp_eq_u32 s24, 44
	s_cbranch_scc0 .LBB14_408
; %bb.295:
	global_load_ubyte v2, v[0:1], off
	s_movk_i32 s2, 0xff
	v_mov_b32_e32 v3, 0x7f800001
	v_mov_b32_e32 v5, 0x400000
	s_mov_b64 s[0:1], -1
	s_mov_b64 s[22:23], 0
	s_waitcnt vmcnt(0)
	v_lshlrev_b32_e32 v6, 23, v2
	v_cmp_ne_u32_e32 vcc, s2, v2
	v_cndmask_b32_e32 v3, v3, v6, vcc
	v_cmp_ne_u32_e32 vcc, 0, v2
	v_cndmask_b32_e32 v2, v5, v3, vcc
	s_branch .LBB14_409
.LBB14_296:
	s_mov_b64 s[4:5], -1
	s_mov_b64 s[2:3], 0
	s_mov_b64 s[0:1], s[16:17]
.LBB14_297:
	s_and_b64 vcc, exec, s[4:5]
	s_cbranch_vccz .LBB14_302
; %bb.298:
	s_cmp_eq_u32 s29, 44
	s_mov_b64 s[0:1], -1
	s_cbranch_scc0 .LBB14_302
; %bb.299:
	v_bfe_u32 v3, v2, 23, 8
	s_movk_i32 s0, 0xff
	v_cmp_ne_u32_e32 vcc, s0, v3
	v_mov_b32_e32 v5, 0xff
	s_and_saveexec_b64 s[2:3], vcc
; %bb.300:
	s_mov_b32 s0, 0x3fffff
	v_and_b32_e32 v6, 0x400000, v2
	v_and_or_b32 v3, v2, s0, v3
	v_cmp_ne_u32_e32 vcc, 0, v6
	v_cmp_ne_u32_e64 s[0:1], 0, v3
	s_and_b64 s[0:1], vcc, s[0:1]
	v_lshrrev_b32_e32 v5, 23, v2
	v_cndmask_b32_e64 v3, 0, 1, s[0:1]
	v_add_u32_e32 v5, v5, v3
; %bb.301:
	s_or_b64 exec, exec, s[2:3]
	s_mov_b64 s[2:3], -1
	s_mov_b64 s[0:1], 0
	global_store_byte v[0:1], v5, off
.LBB14_302:
	s_mov_b64 s[4:5], 0
.LBB14_303:
	s_and_b64 vcc, exec, s[4:5]
	s_cbranch_vccz .LBB14_306
; %bb.304:
	s_cmp_eq_u32 s29, 29
	s_mov_b64 s[0:1], -1
	s_cbranch_scc0 .LBB14_306
; %bb.305:
	v_trunc_f32_e32 v3, v2
	v_mul_f32_e32 v5, 0x2f800000, v3
	v_floor_f32_e32 v5, v5
	v_fmac_f32_e32 v3, 0xcf800000, v5
	v_cvt_u32_f32_e32 v6, v5
	v_cvt_u32_f32_e32 v5, v3
	s_mov_b64 s[2:3], -1
	s_mov_b64 s[0:1], 0
	s_mov_b64 s[4:5], 0
	global_store_dwordx2 v[0:1], v[5:6], off
	s_branch .LBB14_307
.LBB14_306:
	s_mov_b64 s[4:5], 0
.LBB14_307:
	s_and_b64 vcc, exec, s[4:5]
	s_cbranch_vccz .LBB14_323
; %bb.308:
	s_cmp_lt_i32 s29, 27
	s_mov_b64 s[2:3], -1
	s_cbranch_scc1 .LBB14_314
; %bb.309:
	v_cvt_u32_f32_e32 v3, v2
	s_cmp_gt_i32 s29, 27
	s_cbranch_scc0 .LBB14_311
; %bb.310:
	s_mov_b64 s[2:3], 0
	global_store_dword v[0:1], v3, off
.LBB14_311:
	s_andn2_b64 vcc, exec, s[2:3]
	s_cbranch_vccnz .LBB14_313
; %bb.312:
	global_store_short v[0:1], v3, off
.LBB14_313:
	s_mov_b64 s[2:3], 0
.LBB14_314:
	s_andn2_b64 vcc, exec, s[2:3]
	s_cbranch_vccnz .LBB14_322
; %bb.315:
	v_and_b32_e32 v3, 0x7fffffff, v2
	s_mov_b32 s2, 0x43800000
	v_cmp_gt_u32_e32 vcc, s2, v3
	v_mov_b32_e32 v5, 0x80
	s_and_saveexec_b64 s[2:3], vcc
	s_cbranch_execz .LBB14_321
; %bb.316:
	s_mov_b32 s4, 0x3bffffff
	v_cmp_lt_u32_e32 vcc, s4, v3
	s_mov_b64 s[4:5], 0
                                        ; implicit-def: $vgpr3
	s_and_saveexec_b64 s[24:25], vcc
	s_xor_b64 s[24:25], exec, s[24:25]
	s_cbranch_execz .LBB14_533
; %bb.317:
	v_bfe_u32 v3, v2, 20, 1
	s_mov_b32 s30, 0x487ffff
	v_add3_u32 v3, v2, v3, s30
	s_mov_b64 s[4:5], exec
	v_lshrrev_b32_e32 v3, 20, v3
	s_andn2_saveexec_b64 s[24:25], s[24:25]
	s_cbranch_execnz .LBB14_534
.LBB14_318:
	s_or_b64 exec, exec, s[24:25]
	v_mov_b32_e32 v5, 0
	s_and_saveexec_b64 s[24:25], s[4:5]
.LBB14_319:
	v_lshrrev_b32_e32 v5, 24, v2
	s_movk_i32 s4, 0x80
	v_and_or_b32 v5, v5, s4, v3
.LBB14_320:
	s_or_b64 exec, exec, s[24:25]
.LBB14_321:
	s_or_b64 exec, exec, s[2:3]
	global_store_byte v[0:1], v5, off
.LBB14_322:
	s_mov_b64 s[2:3], -1
.LBB14_323:
	s_mov_b64 s[4:5], 0
.LBB14_324:
	s_and_b64 vcc, exec, s[4:5]
	s_cbranch_vccz .LBB14_365
; %bb.325:
	s_cmp_gt_i32 s29, 22
	s_mov_b64 s[4:5], -1
	s_cbranch_scc0 .LBB14_357
; %bb.326:
	s_cmp_lt_i32 s29, 24
	s_mov_b64 s[2:3], -1
	s_cbranch_scc1 .LBB14_346
; %bb.327:
	s_cmp_gt_i32 s29, 24
	s_cbranch_scc0 .LBB14_335
; %bb.328:
	v_and_b32_e32 v3, 0x7fffffff, v2
	s_mov_b32 s2, 0x47800000
	v_cmp_gt_u32_e32 vcc, s2, v3
	v_mov_b32_e32 v5, 0x80
	s_and_saveexec_b64 s[2:3], vcc
	s_cbranch_execz .LBB14_334
; %bb.329:
	s_mov_b32 s4, 0x37ffffff
	v_cmp_lt_u32_e32 vcc, s4, v3
	s_mov_b64 s[4:5], 0
                                        ; implicit-def: $vgpr3
	s_and_saveexec_b64 s[24:25], vcc
	s_xor_b64 s[24:25], exec, s[24:25]
	s_cbranch_execz .LBB14_536
; %bb.330:
	v_bfe_u32 v3, v2, 21, 1
	s_mov_b32 s30, 0x88fffff
	v_add3_u32 v3, v2, v3, s30
	s_mov_b64 s[4:5], exec
	v_lshrrev_b32_e32 v3, 21, v3
	s_andn2_saveexec_b64 s[24:25], s[24:25]
	s_cbranch_execnz .LBB14_537
.LBB14_331:
	s_or_b64 exec, exec, s[24:25]
	v_mov_b32_e32 v5, 0
	s_and_saveexec_b64 s[24:25], s[4:5]
.LBB14_332:
	v_lshrrev_b32_e32 v5, 24, v2
	s_movk_i32 s4, 0x80
	v_and_or_b32 v5, v5, s4, v3
.LBB14_333:
	s_or_b64 exec, exec, s[24:25]
.LBB14_334:
	s_or_b64 exec, exec, s[2:3]
	s_mov_b64 s[2:3], 0
	global_store_byte v[0:1], v5, off
.LBB14_335:
	s_and_b64 vcc, exec, s[2:3]
	s_cbranch_vccz .LBB14_345
; %bb.336:
	v_and_b32_e32 v5, 0x7fffffff, v2
	s_mov_b32 s2, 0x43f00000
	v_cmp_gt_u32_e32 vcc, s2, v5
                                        ; implicit-def: $vgpr3
	s_and_saveexec_b64 s[2:3], vcc
	s_xor_b64 s[2:3], exec, s[2:3]
	s_cbranch_execz .LBB14_342
; %bb.337:
	s_mov_b32 s4, 0x3c7fffff
	v_cmp_lt_u32_e32 vcc, s4, v5
                                        ; implicit-def: $vgpr3
	s_and_saveexec_b64 s[4:5], vcc
	s_xor_b64 s[4:5], exec, s[4:5]
; %bb.338:
	v_bfe_u32 v3, v2, 20, 1
	s_mov_b32 s24, 0x407ffff
	v_add3_u32 v3, v2, v3, s24
	v_lshrrev_b32_e32 v5, 20, v3
	v_and_b32_e32 v3, 0xff00000, v3
	s_mov_b32 s24, 0x7f00000
	v_mov_b32_e32 v6, 0x7e
	v_cmp_ne_u32_e32 vcc, s24, v3
	v_cndmask_b32_e32 v3, v6, v5, vcc
; %bb.339:
	s_andn2_saveexec_b64 s[4:5], s[4:5]
; %bb.340:
	s_mov_b32 s24, 0x46800000
	v_add_f32_e64 v3, |v2|, s24
; %bb.341:
	s_or_b64 exec, exec, s[4:5]
                                        ; implicit-def: $vgpr5
.LBB14_342:
	s_andn2_saveexec_b64 s[2:3], s[2:3]
; %bb.343:
	s_mov_b32 s4, 0x7f800000
	v_mov_b32_e32 v3, 0x7e
	v_mov_b32_e32 v6, 0x7f
	v_cmp_lt_u32_e32 vcc, s4, v5
	v_cndmask_b32_e32 v3, v3, v6, vcc
; %bb.344:
	s_or_b64 exec, exec, s[2:3]
	v_lshrrev_b32_e32 v5, 24, v2
	s_movk_i32 s2, 0x80
	v_and_or_b32 v3, v5, s2, v3
	global_store_byte v[0:1], v3, off
.LBB14_345:
	s_mov_b64 s[2:3], 0
.LBB14_346:
	s_andn2_b64 vcc, exec, s[2:3]
	s_cbranch_vccnz .LBB14_356
; %bb.347:
	v_and_b32_e32 v5, 0x7fffffff, v2
	s_mov_b32 s2, 0x47800000
	v_cmp_gt_u32_e32 vcc, s2, v5
                                        ; implicit-def: $vgpr3
	s_and_saveexec_b64 s[2:3], vcc
	s_xor_b64 s[2:3], exec, s[2:3]
	s_cbranch_execz .LBB14_353
; %bb.348:
	s_mov_b32 s4, 0x387fffff
	v_cmp_lt_u32_e32 vcc, s4, v5
                                        ; implicit-def: $vgpr3
	s_and_saveexec_b64 s[4:5], vcc
	s_xor_b64 s[4:5], exec, s[4:5]
; %bb.349:
	v_bfe_u32 v3, v2, 21, 1
	s_mov_b32 s24, 0x80fffff
	v_add3_u32 v3, v2, v3, s24
	v_lshrrev_b32_e32 v3, 21, v3
; %bb.350:
	s_andn2_saveexec_b64 s[4:5], s[4:5]
; %bb.351:
	s_mov_b32 s24, 0x43000000
	v_add_f32_e64 v3, |v2|, s24
; %bb.352:
	s_or_b64 exec, exec, s[4:5]
                                        ; implicit-def: $vgpr5
.LBB14_353:
	s_andn2_saveexec_b64 s[2:3], s[2:3]
; %bb.354:
	s_mov_b32 s4, 0x7f800000
	v_mov_b32_e32 v3, 0x7c
	v_mov_b32_e32 v6, 0x7f
	v_cmp_lt_u32_e32 vcc, s4, v5
	v_cndmask_b32_e32 v3, v3, v6, vcc
; %bb.355:
	s_or_b64 exec, exec, s[2:3]
	v_lshrrev_b32_e32 v5, 24, v2
	s_movk_i32 s2, 0x80
	v_and_or_b32 v3, v5, s2, v3
	global_store_byte v[0:1], v3, off
.LBB14_356:
	s_mov_b64 s[4:5], 0
	s_mov_b64 s[2:3], -1
.LBB14_357:
	s_andn2_b64 vcc, exec, s[4:5]
	s_cbranch_vccnz .LBB14_365
; %bb.358:
	s_cmp_gt_i32 s29, 14
	s_mov_b64 s[4:5], -1
	s_cbranch_scc0 .LBB14_362
; %bb.359:
	s_cmp_eq_u32 s29, 15
	s_mov_b64 s[0:1], -1
	s_cbranch_scc0 .LBB14_361
; %bb.360:
	v_bfe_u32 v3, v2, 16, 1
	s_movk_i32 s0, 0x7fff
	v_add3_u32 v3, v2, v3, s0
	v_cmp_o_f32_e32 vcc, v2, v2
	v_mov_b32_e32 v5, 0x7fc0
	v_cndmask_b32_sdwa v3, v5, v3, vcc dst_sel:DWORD dst_unused:UNUSED_PAD src0_sel:DWORD src1_sel:WORD_1
	global_store_short v[0:1], v3, off
	s_mov_b64 s[2:3], -1
	s_mov_b64 s[0:1], 0
.LBB14_361:
	s_mov_b64 s[4:5], 0
.LBB14_362:
	s_and_b64 vcc, exec, s[4:5]
	s_cbranch_vccz .LBB14_365
; %bb.363:
	s_cmp_eq_u32 s29, 11
	s_mov_b64 s[0:1], -1
	s_cbranch_scc0 .LBB14_365
; %bb.364:
	v_cmp_neq_f32_e32 vcc, 0, v2
	v_cndmask_b32_e64 v3, 0, 1, vcc
	s_mov_b64 s[2:3], -1
	s_mov_b64 s[0:1], 0
	global_store_byte v[0:1], v3, off
.LBB14_365:
	s_mov_b64 s[4:5], 0
.LBB14_366:
	s_and_b64 vcc, exec, s[4:5]
	s_cbranch_vccz .LBB14_405
; %bb.367:
	s_and_b32 s4, 0xffff, s28
	s_cmp_lt_i32 s4, 5
	s_mov_b64 s[2:3], -1
	s_cbranch_scc1 .LBB14_388
; %bb.368:
	s_cmp_lt_i32 s4, 8
	s_cbranch_scc1 .LBB14_378
; %bb.369:
	s_cmp_lt_i32 s4, 9
	s_cbranch_scc1 .LBB14_375
; %bb.370:
	s_cmp_gt_i32 s4, 9
	s_cbranch_scc0 .LBB14_372
; %bb.371:
	v_cvt_f64_f32_e32 v[5:6], v2
	v_mov_b32_e32 v7, 0
	v_mov_b32_e32 v8, v7
	s_mov_b64 s[2:3], 0
	global_store_dwordx4 v[0:1], v[5:8], off
.LBB14_372:
	s_andn2_b64 vcc, exec, s[2:3]
	s_cbranch_vccnz .LBB14_374
; %bb.373:
	v_mov_b32_e32 v3, 0
	global_store_dwordx2 v[0:1], v[2:3], off
.LBB14_374:
	s_mov_b64 s[2:3], 0
.LBB14_375:
	s_andn2_b64 vcc, exec, s[2:3]
	s_cbranch_vccnz .LBB14_377
; %bb.376:
	v_cvt_f16_f32_e32 v3, v2
	global_store_dword v[0:1], v3, off
.LBB14_377:
	s_mov_b64 s[2:3], 0
.LBB14_378:
	s_andn2_b64 vcc, exec, s[2:3]
	s_cbranch_vccnz .LBB14_387
; %bb.379:
	s_cmp_lt_i32 s4, 6
	s_mov_b64 s[2:3], -1
	s_cbranch_scc1 .LBB14_385
; %bb.380:
	s_cmp_gt_i32 s4, 6
	s_cbranch_scc0 .LBB14_382
; %bb.381:
	v_cvt_f64_f32_e32 v[5:6], v2
	s_mov_b64 s[2:3], 0
	global_store_dwordx2 v[0:1], v[5:6], off
.LBB14_382:
	s_andn2_b64 vcc, exec, s[2:3]
	s_cbranch_vccnz .LBB14_384
; %bb.383:
	global_store_dword v[0:1], v2, off
.LBB14_384:
	s_mov_b64 s[2:3], 0
.LBB14_385:
	s_andn2_b64 vcc, exec, s[2:3]
	s_cbranch_vccnz .LBB14_387
; %bb.386:
	v_cvt_f16_f32_e32 v3, v2
	global_store_short v[0:1], v3, off
.LBB14_387:
	s_mov_b64 s[2:3], 0
.LBB14_388:
	s_andn2_b64 vcc, exec, s[2:3]
	s_cbranch_vccnz .LBB14_404
; %bb.389:
	s_cmp_lt_i32 s4, 2
	s_mov_b64 s[2:3], -1
	s_cbranch_scc1 .LBB14_399
; %bb.390:
	s_cmp_lt_i32 s4, 3
	s_cbranch_scc1 .LBB14_396
; %bb.391:
	s_cmp_gt_i32 s4, 3
	s_cbranch_scc0 .LBB14_393
; %bb.392:
	v_trunc_f32_e32 v3, v2
	s_mov_b32 s2, 0x2f800000
	v_mul_f32_e64 v5, |v3|, s2
	v_floor_f32_e32 v5, v5
	s_mov_b32 s2, 0xcf800000
	v_cvt_u32_f32_e32 v6, v5
	v_fma_f32 v5, v5, s2, |v3|
	v_cvt_u32_f32_e32 v5, v5
	v_ashrrev_i32_e32 v3, 31, v3
	v_xor_b32_e32 v6, v6, v3
	s_mov_b64 s[2:3], 0
	v_xor_b32_e32 v5, v5, v3
	v_sub_co_u32_e32 v5, vcc, v5, v3
	v_subb_co_u32_e32 v6, vcc, v6, v3, vcc
	global_store_dwordx2 v[0:1], v[5:6], off
.LBB14_393:
	s_andn2_b64 vcc, exec, s[2:3]
	s_cbranch_vccnz .LBB14_395
; %bb.394:
	v_cvt_i32_f32_e32 v3, v2
	global_store_dword v[0:1], v3, off
.LBB14_395:
	s_mov_b64 s[2:3], 0
.LBB14_396:
	s_andn2_b64 vcc, exec, s[2:3]
	s_cbranch_vccnz .LBB14_398
; %bb.397:
	v_cvt_i32_f32_e32 v3, v2
	global_store_short v[0:1], v3, off
.LBB14_398:
	s_mov_b64 s[2:3], 0
.LBB14_399:
	s_andn2_b64 vcc, exec, s[2:3]
	s_cbranch_vccnz .LBB14_404
; %bb.400:
	s_cmp_gt_i32 s4, 0
	s_mov_b64 s[2:3], -1
	s_cbranch_scc0 .LBB14_402
; %bb.401:
	v_cvt_i32_f32_e32 v3, v2
	s_mov_b64 s[2:3], 0
	global_store_byte v[0:1], v3, off
.LBB14_402:
	s_andn2_b64 vcc, exec, s[2:3]
	s_cbranch_vccnz .LBB14_404
; %bb.403:
	v_trunc_f32_e32 v2, v2
	s_mov_b32 s2, 0x2f800000
	v_mul_f32_e64 v3, |v2|, s2
	v_floor_f32_e32 v3, v3
	s_mov_b32 s2, 0xcf800000
	v_fma_f32 v3, v3, s2, |v2|
	v_cvt_u32_f32_e32 v3, v3
	v_ashrrev_i32_e32 v2, 31, v2
	v_xor_b32_e32 v3, v3, v2
	v_sub_u32_e32 v2, v3, v2
	global_store_byte v[0:1], v2, off
.LBB14_404:
	s_mov_b64 s[2:3], -1
.LBB14_405:
	s_andn2_b64 vcc, exec, s[2:3]
	s_cbranch_vccnz .LBB14_407
; %bb.406:
	v_add_u32_e32 v4, 0x80, v4
	s_mov_b64 s[2:3], -1
	s_branch .LBB14_519
.LBB14_407:
	s_mov_b64 s[2:3], 0
                                        ; implicit-def: $vgpr4
	s_branch .LBB14_519
.LBB14_408:
	s_mov_b64 s[22:23], -1
                                        ; implicit-def: $vgpr2
.LBB14_409:
	s_mov_b64 s[2:3], 0
.LBB14_410:
	s_and_b64 vcc, exec, s[2:3]
	s_cbranch_vccz .LBB14_414
; %bb.411:
	s_cmp_eq_u32 s24, 29
	s_cbranch_scc0 .LBB14_413
; %bb.412:
	global_load_dwordx2 v[2:3], v[0:1], off
	s_mov_b64 s[0:1], -1
	s_mov_b64 s[22:23], 0
	s_mov_b64 s[2:3], 0
	s_waitcnt vmcnt(0)
	v_ffbh_u32_e32 v5, v3
	v_min_u32_e32 v5, 32, v5
	v_lshlrev_b64 v[2:3], v5, v[2:3]
	v_min_u32_e32 v2, 1, v2
	v_or_b32_e32 v2, v3, v2
	v_cvt_f32_u32_e32 v2, v2
	v_sub_u32_e32 v3, 32, v5
	v_ldexp_f32 v2, v2, v3
	s_branch .LBB14_415
.LBB14_413:
	s_mov_b64 s[22:23], -1
                                        ; implicit-def: $vgpr2
.LBB14_414:
	s_mov_b64 s[2:3], 0
.LBB14_415:
	s_and_b64 vcc, exec, s[2:3]
	s_cbranch_vccz .LBB14_433
; %bb.416:
	s_cmp_lt_i32 s24, 27
	s_cbranch_scc1 .LBB14_419
; %bb.417:
	s_cmp_gt_i32 s24, 27
	s_cbranch_scc0 .LBB14_420
; %bb.418:
	global_load_dword v2, v[0:1], off
	s_mov_b64 s[0:1], 0
	s_waitcnt vmcnt(0)
	v_cvt_f32_u32_e32 v2, v2
	s_branch .LBB14_421
.LBB14_419:
	s_mov_b64 s[0:1], -1
                                        ; implicit-def: $vgpr2
	s_branch .LBB14_424
.LBB14_420:
	s_mov_b64 s[0:1], -1
                                        ; implicit-def: $vgpr2
.LBB14_421:
	s_andn2_b64 vcc, exec, s[0:1]
	s_cbranch_vccnz .LBB14_423
; %bb.422:
	global_load_ushort v2, v[0:1], off
	s_waitcnt vmcnt(0)
	v_cvt_f32_u32_e32 v2, v2
.LBB14_423:
	s_mov_b64 s[0:1], 0
.LBB14_424:
	s_andn2_b64 vcc, exec, s[0:1]
	s_cbranch_vccnz .LBB14_432
; %bb.425:
	global_load_ubyte v3, v[0:1], off
	s_movk_i32 s0, 0x7f
	s_waitcnt vmcnt(0)
	v_cmp_lt_i16_e32 vcc, s0, v3
	s_mov_b64 s[0:1], 0
	s_and_saveexec_b64 s[2:3], vcc
	s_xor_b64 s[2:3], exec, s[2:3]
	s_cbranch_execz .LBB14_446
; %bb.426:
	s_movk_i32 s0, 0x80
	v_cmp_eq_u16_e32 vcc, s0, v3
	s_mov_b64 s[0:1], -1
	s_and_saveexec_b64 s[4:5], vcc
; %bb.427:
	s_xor_b64 s[0:1], exec, -1
; %bb.428:
	s_or_b64 exec, exec, s[4:5]
	s_and_b64 s[0:1], s[0:1], exec
	s_or_saveexec_b64 s[2:3], s[2:3]
	v_mov_b32_e32 v2, 0x7f800001
	s_xor_b64 exec, exec, s[2:3]
	s_cbranch_execnz .LBB14_447
.LBB14_429:
	s_or_b64 exec, exec, s[2:3]
	s_and_saveexec_b64 s[2:3], s[0:1]
	s_cbranch_execz .LBB14_431
.LBB14_430:
	v_lshlrev_b32_e32 v2, 24, v3
	v_and_b32_e32 v3, 0xffff, v3
	v_and_b32_e32 v5, 7, v3
	v_ffbh_u32_e32 v7, v5
	v_min_u32_e32 v7, 32, v7
	v_subrev_u32_e32 v8, 28, v7
	v_bfe_u32 v6, v3, 3, 4
	v_lshlrev_b32_e32 v3, v8, v3
	v_sub_u32_e32 v7, 29, v7
	v_and_b32_e32 v3, 7, v3
	v_cmp_eq_u32_e32 vcc, 0, v6
	v_cndmask_b32_e32 v6, v6, v7, vcc
	v_cndmask_b32_e32 v3, v5, v3, vcc
	v_mov_b32_e32 v5, 0x3b800000
	v_lshlrev_b32_e32 v3, 20, v3
	v_and_b32_e32 v2, 0x80000000, v2
	v_lshl_add_u32 v5, v6, 23, v5
	v_or3_b32 v2, v2, v5, v3
.LBB14_431:
	s_or_b64 exec, exec, s[2:3]
.LBB14_432:
	s_mov_b64 s[0:1], -1
.LBB14_433:
	s_mov_b64 s[2:3], 0
.LBB14_434:
	s_and_b64 vcc, exec, s[2:3]
	s_cbranch_vccz .LBB14_469
; %bb.435:
	s_cmp_gt_i32 s24, 22
	s_cbranch_scc0 .LBB14_445
; %bb.436:
	s_cmp_lt_i32 s24, 24
	s_cbranch_scc1 .LBB14_448
; %bb.437:
	s_cmp_gt_i32 s24, 24
	s_cbranch_scc0 .LBB14_449
; %bb.438:
	global_load_ubyte v3, v[0:1], off
	s_movk_i32 s0, 0x7f
	s_waitcnt vmcnt(0)
	v_cmp_lt_i16_e32 vcc, s0, v3
	s_mov_b64 s[0:1], 0
	s_and_saveexec_b64 s[2:3], vcc
	s_xor_b64 s[2:3], exec, s[2:3]
	s_cbranch_execz .LBB14_461
; %bb.439:
	s_movk_i32 s0, 0x80
	v_cmp_eq_u16_e32 vcc, s0, v3
	s_mov_b64 s[0:1], -1
	s_and_saveexec_b64 s[4:5], vcc
; %bb.440:
	s_xor_b64 s[0:1], exec, -1
; %bb.441:
	s_or_b64 exec, exec, s[4:5]
	s_and_b64 s[0:1], s[0:1], exec
	s_or_saveexec_b64 s[2:3], s[2:3]
	v_mov_b32_e32 v2, 0x7f800001
	s_xor_b64 exec, exec, s[2:3]
	s_cbranch_execnz .LBB14_462
.LBB14_442:
	s_or_b64 exec, exec, s[2:3]
	s_and_saveexec_b64 s[2:3], s[0:1]
	s_cbranch_execz .LBB14_444
.LBB14_443:
	v_lshlrev_b32_e32 v2, 24, v3
	v_and_b32_e32 v3, 0xffff, v3
	v_and_b32_e32 v5, 3, v3
	v_ffbh_u32_e32 v7, v5
	v_min_u32_e32 v7, 32, v7
	v_subrev_u32_e32 v8, 29, v7
	v_bfe_u32 v6, v3, 2, 5
	v_lshlrev_b32_e32 v3, v8, v3
	v_sub_u32_e32 v7, 30, v7
	v_and_b32_e32 v3, 3, v3
	v_cmp_eq_u32_e32 vcc, 0, v6
	v_cndmask_b32_e32 v6, v6, v7, vcc
	v_cndmask_b32_e32 v3, v5, v3, vcc
	v_mov_b32_e32 v5, 0x37800000
	v_lshlrev_b32_e32 v3, 21, v3
	v_and_b32_e32 v2, 0x80000000, v2
	v_lshl_add_u32 v5, v6, 23, v5
	v_or3_b32 v2, v2, v5, v3
.LBB14_444:
	s_or_b64 exec, exec, s[2:3]
	s_mov_b64 s[0:1], 0
	s_branch .LBB14_450
.LBB14_445:
	s_mov_b64 s[2:3], -1
                                        ; implicit-def: $vgpr2
	s_branch .LBB14_456
.LBB14_446:
	s_or_saveexec_b64 s[2:3], s[2:3]
	v_mov_b32_e32 v2, 0x7f800001
	s_xor_b64 exec, exec, s[2:3]
	s_cbranch_execz .LBB14_429
.LBB14_447:
	v_cmp_ne_u16_e32 vcc, 0, v3
	s_andn2_b64 s[0:1], s[0:1], exec
	s_and_b64 s[4:5], vcc, exec
	v_mov_b32_e32 v2, 0
	s_or_b64 s[0:1], s[0:1], s[4:5]
	s_or_b64 exec, exec, s[2:3]
	s_and_saveexec_b64 s[2:3], s[0:1]
	s_cbranch_execnz .LBB14_430
	s_branch .LBB14_431
.LBB14_448:
	s_mov_b64 s[0:1], -1
                                        ; implicit-def: $vgpr2
	s_branch .LBB14_453
.LBB14_449:
	s_mov_b64 s[0:1], -1
                                        ; implicit-def: $vgpr2
.LBB14_450:
	s_and_b64 vcc, exec, s[0:1]
	s_cbranch_vccz .LBB14_452
; %bb.451:
	global_load_ubyte v2, v[0:1], off
	s_mov_b32 s0, 0x7f800000
	s_waitcnt vmcnt(0)
	v_lshlrev_b32_e32 v2, 24, v2
	v_and_b32_e32 v3, 0x7f000000, v2
	v_ffbh_u32_e32 v5, v3
	v_min_u32_e32 v5, 32, v5
	v_sub_u32_e64 v5, v5, 4 clamp
	v_lshlrev_b32_e32 v7, v5, v3
	v_lshlrev_b32_e32 v5, 23, v5
	v_lshrrev_b32_e32 v7, 4, v7
	v_add_u32_e32 v6, 0x1000000, v3
	v_sub_u32_e32 v5, v7, v5
	v_ashrrev_i32_e32 v6, 8, v6
	v_add_u32_e32 v5, 0x3c000000, v5
	v_and_or_b32 v5, v6, s0, v5
	v_cmp_ne_u32_e32 vcc, 0, v3
	v_cndmask_b32_e32 v3, 0, v5, vcc
	s_brev_b32 s0, 1
	v_and_or_b32 v2, v2, s0, v3
.LBB14_452:
	s_mov_b64 s[0:1], 0
.LBB14_453:
	s_andn2_b64 vcc, exec, s[0:1]
	s_cbranch_vccnz .LBB14_455
; %bb.454:
	global_load_ubyte v2, v[0:1], off
	s_movk_i32 s0, 0x7f00
	s_brev_b32 s1, 16
	s_waitcnt vmcnt(0)
	v_lshlrev_b16_e32 v3, 8, v2
	v_lshlrev_b32_e32 v2, 25, v2
	v_lshrrev_b32_e32 v5, 4, v2
	v_and_or_b32 v6, v3, s0, 0.5
	v_or_b32_e32 v5, 0x70000000, v5
	v_add_f32_e32 v6, -0.5, v6
	v_mul_f32_e32 v5, 0x7800000, v5
	v_cmp_gt_u32_e32 vcc, s1, v2
	v_bfe_i32 v3, v3, 0, 16
	v_cndmask_b32_e32 v2, v5, v6, vcc
	s_brev_b32 s0, 1
	v_and_or_b32 v2, v3, s0, v2
.LBB14_455:
	s_mov_b64 s[2:3], 0
	s_mov_b64 s[0:1], -1
.LBB14_456:
	s_andn2_b64 vcc, exec, s[2:3]
	s_cbranch_vccnz .LBB14_469
; %bb.457:
	s_cmp_gt_i32 s24, 14
	s_cbranch_scc0 .LBB14_460
; %bb.458:
	s_cmp_eq_u32 s24, 15
	s_cbranch_scc0 .LBB14_463
; %bb.459:
	global_load_ushort v2, v[0:1], off
	s_mov_b64 s[0:1], -1
	s_mov_b64 s[22:23], 0
	s_waitcnt vmcnt(0)
	v_lshlrev_b32_e32 v2, 16, v2
	s_branch .LBB14_464
.LBB14_460:
	s_mov_b64 s[2:3], -1
                                        ; implicit-def: $vgpr2
	s_branch .LBB14_465
.LBB14_461:
	s_or_saveexec_b64 s[2:3], s[2:3]
	v_mov_b32_e32 v2, 0x7f800001
	s_xor_b64 exec, exec, s[2:3]
	s_cbranch_execz .LBB14_442
.LBB14_462:
	v_cmp_ne_u16_e32 vcc, 0, v3
	s_andn2_b64 s[0:1], s[0:1], exec
	s_and_b64 s[4:5], vcc, exec
	v_mov_b32_e32 v2, 0
	s_or_b64 s[0:1], s[0:1], s[4:5]
	s_or_b64 exec, exec, s[2:3]
	s_and_saveexec_b64 s[2:3], s[0:1]
	s_cbranch_execnz .LBB14_443
	s_branch .LBB14_444
.LBB14_463:
	s_mov_b64 s[22:23], -1
                                        ; implicit-def: $vgpr2
.LBB14_464:
	s_mov_b64 s[2:3], 0
.LBB14_465:
	s_and_b64 vcc, exec, s[2:3]
	s_cbranch_vccz .LBB14_469
; %bb.466:
	s_cmp_eq_u32 s24, 11
	s_cbranch_scc0 .LBB14_468
; %bb.467:
	global_load_ubyte v2, v[0:1], off
	s_mov_b64 s[0:1], -1
	s_mov_b64 s[22:23], 0
	s_waitcnt vmcnt(0)
	v_cmp_ne_u16_e32 vcc, 0, v2
	v_cndmask_b32_e64 v2, 0, 1.0, vcc
	s_branch .LBB14_469
.LBB14_468:
	s_mov_b64 s[22:23], -1
                                        ; implicit-def: $vgpr2
.LBB14_469:
	s_branch .LBB14_268
.LBB14_470:
	s_cmp_lt_i32 s24, 5
	s_cbranch_scc1 .LBB14_475
; %bb.471:
	s_cmp_lt_i32 s24, 8
	s_cbranch_scc1 .LBB14_476
; %bb.472:
	;; [unrolled: 3-line block ×3, first 2 shown]
	s_cmp_gt_i32 s24, 9
	s_cbranch_scc0 .LBB14_478
; %bb.474:
	global_load_dwordx2 v[2:3], v[0:1], off
	s_mov_b64 s[0:1], 0
	s_waitcnt vmcnt(0)
	v_cvt_f32_f64_e32 v2, v[2:3]
	s_branch .LBB14_479
.LBB14_475:
	s_mov_b64 s[0:1], -1
                                        ; implicit-def: $vgpr2
	s_branch .LBB14_497
.LBB14_476:
	s_mov_b64 s[0:1], -1
                                        ; implicit-def: $vgpr2
	s_branch .LBB14_485
.LBB14_477:
	s_mov_b64 s[0:1], -1
                                        ; implicit-def: $vgpr2
	s_branch .LBB14_482
.LBB14_478:
	s_mov_b64 s[0:1], -1
                                        ; implicit-def: $vgpr2
.LBB14_479:
	s_andn2_b64 vcc, exec, s[0:1]
	s_cbranch_vccnz .LBB14_481
; %bb.480:
	global_load_dword v2, v[0:1], off
.LBB14_481:
	s_mov_b64 s[0:1], 0
.LBB14_482:
	s_andn2_b64 vcc, exec, s[0:1]
	s_cbranch_vccnz .LBB14_484
; %bb.483:
	global_load_dword v2, v[0:1], off
	s_waitcnt vmcnt(0)
	v_cvt_f32_f16_e32 v2, v2
.LBB14_484:
	s_mov_b64 s[0:1], 0
.LBB14_485:
	s_andn2_b64 vcc, exec, s[0:1]
	s_cbranch_vccnz .LBB14_496
; %bb.486:
	s_cmp_lt_i32 s24, 6
	s_cbranch_scc1 .LBB14_489
; %bb.487:
	s_cmp_gt_i32 s24, 6
	s_cbranch_scc0 .LBB14_490
; %bb.488:
	global_load_dwordx2 v[2:3], v[0:1], off
	s_mov_b64 s[0:1], 0
	s_waitcnt vmcnt(0)
	v_cvt_f32_f64_e32 v2, v[2:3]
	s_branch .LBB14_491
.LBB14_489:
	s_mov_b64 s[0:1], -1
                                        ; implicit-def: $vgpr2
	s_branch .LBB14_494
.LBB14_490:
	s_mov_b64 s[0:1], -1
                                        ; implicit-def: $vgpr2
.LBB14_491:
	s_andn2_b64 vcc, exec, s[0:1]
	s_cbranch_vccnz .LBB14_493
; %bb.492:
	global_load_dword v2, v[0:1], off
.LBB14_493:
	s_mov_b64 s[0:1], 0
.LBB14_494:
	s_andn2_b64 vcc, exec, s[0:1]
	s_cbranch_vccnz .LBB14_496
; %bb.495:
	global_load_ushort v2, v[0:1], off
	s_waitcnt vmcnt(0)
	v_cvt_f32_f16_e32 v2, v2
.LBB14_496:
	s_mov_b64 s[0:1], 0
.LBB14_497:
	s_andn2_b64 vcc, exec, s[0:1]
	s_cbranch_vccnz .LBB14_517
; %bb.498:
	s_cmp_lt_i32 s24, 2
	s_cbranch_scc1 .LBB14_502
; %bb.499:
	s_cmp_lt_i32 s24, 3
	s_cbranch_scc1 .LBB14_503
; %bb.500:
	s_cmp_gt_i32 s24, 3
	s_cbranch_scc0 .LBB14_504
; %bb.501:
	global_load_dwordx2 v[2:3], v[0:1], off
	s_mov_b64 s[0:1], 0
	s_waitcnt vmcnt(0)
	v_xor_b32_e32 v6, v2, v3
	v_ffbh_i32_e32 v5, v3
	v_ashrrev_i32_e32 v6, 31, v6
	v_add_u32_e32 v5, -1, v5
	v_add_u32_e32 v6, 32, v6
	v_min_u32_e32 v5, v5, v6
	v_lshlrev_b64 v[2:3], v5, v[2:3]
	v_min_u32_e32 v2, 1, v2
	v_or_b32_e32 v2, v3, v2
	v_cvt_f32_i32_e32 v2, v2
	v_sub_u32_e32 v3, 32, v5
	v_ldexp_f32 v2, v2, v3
	s_branch .LBB14_505
.LBB14_502:
	s_mov_b64 s[0:1], -1
                                        ; implicit-def: $vgpr2
	s_branch .LBB14_511
.LBB14_503:
	s_mov_b64 s[0:1], -1
                                        ; implicit-def: $vgpr2
	s_branch .LBB14_508
.LBB14_504:
	s_mov_b64 s[0:1], -1
                                        ; implicit-def: $vgpr2
.LBB14_505:
	s_andn2_b64 vcc, exec, s[0:1]
	s_cbranch_vccnz .LBB14_507
; %bb.506:
	global_load_dword v2, v[0:1], off
	s_waitcnt vmcnt(0)
	v_cvt_f32_i32_e32 v2, v2
.LBB14_507:
	s_mov_b64 s[0:1], 0
.LBB14_508:
	s_andn2_b64 vcc, exec, s[0:1]
	s_cbranch_vccnz .LBB14_510
; %bb.509:
	global_load_sshort v2, v[0:1], off
	s_waitcnt vmcnt(0)
	v_cvt_f32_i32_e32 v2, v2
.LBB14_510:
	s_mov_b64 s[0:1], 0
.LBB14_511:
	s_andn2_b64 vcc, exec, s[0:1]
	s_cbranch_vccnz .LBB14_517
; %bb.512:
	s_cmp_gt_i32 s24, 0
	s_cbranch_scc0 .LBB14_514
; %bb.513:
	global_load_sbyte v2, v[0:1], off
	s_mov_b64 s[0:1], 0
	s_waitcnt vmcnt(0)
	v_cvt_f32_i32_e32 v2, v2
	s_branch .LBB14_515
.LBB14_514:
	s_mov_b64 s[0:1], -1
                                        ; implicit-def: $vgpr2
.LBB14_515:
	s_andn2_b64 vcc, exec, s[0:1]
	s_cbranch_vccnz .LBB14_517
; %bb.516:
	global_load_ubyte v0, v[0:1], off
	s_waitcnt vmcnt(0)
	v_cvt_f32_ubyte0_e32 v2, v0
.LBB14_517:
	s_branch .LBB14_269
.LBB14_518:
	s_mov_b64 s[2:3], 0
                                        ; implicit-def: $vgpr4
	s_mov_b64 s[0:1], s[16:17]
.LBB14_519:
	s_andn2_b64 s[4:5], s[16:17], exec
	s_and_b64 s[0:1], s[0:1], exec
	s_or_b64 s[24:25], s[4:5], s[0:1]
	s_andn2_b64 s[0:1], s[18:19], exec
	s_and_b64 s[4:5], s[22:23], exec
	s_or_b64 s[22:23], s[0:1], s[4:5]
	s_orn2_b64 s[0:1], s[2:3], exec
.LBB14_520:
	s_or_b64 exec, exec, s[26:27]
	s_mov_b64 s[2:3], 0
	s_mov_b64 s[4:5], 0
	;; [unrolled: 1-line block ×3, first 2 shown]
                                        ; implicit-def: $vgpr0_vgpr1
                                        ; implicit-def: $vgpr3
	s_and_saveexec_b64 s[26:27], s[0:1]
	s_cbranch_execz .LBB14_869
; %bb.521:
	v_cmp_gt_i32_e32 vcc, s38, v4
	s_mov_b64 s[34:35], -1
	s_mov_b64 s[0:1], s[22:23]
	s_mov_b64 s[2:3], s[24:25]
	s_and_saveexec_b64 s[28:29], vcc
	s_cbranch_execz .LBB14_783
; %bb.522:
	v_mul_lo_u32 v0, v4, s13
	v_mov_b32_e32 v1, s11
	s_and_b32 s34, 0xffff, s42
	s_cmp_lt_i32 s34, 11
	s_waitcnt vmcnt(0)
	v_ashrrev_i32_e32 v2, 31, v0
	v_add_co_u32_e32 v0, vcc, s10, v0
	v_addc_co_u32_e32 v1, vcc, v1, v2, vcc
	s_cbranch_scc1 .LBB14_529
; %bb.523:
	s_cmp_gt_i32 s34, 25
	s_cbranch_scc0 .LBB14_530
; %bb.524:
	s_cmp_gt_i32 s34, 28
	s_cbranch_scc0 .LBB14_531
	;; [unrolled: 3-line block ×4, first 2 shown]
; %bb.527:
	s_cmp_eq_u32 s34, 46
	s_mov_b64 s[2:3], 0
	s_cbranch_scc0 .LBB14_538
; %bb.528:
	global_load_dword v2, v[0:1], off
	s_mov_b64 s[0:1], -1
	s_mov_b64 s[30:31], 0
	s_waitcnt vmcnt(0)
	v_lshlrev_b32_e32 v2, 16, v2
	s_branch .LBB14_539
.LBB14_529:
	s_mov_b64 s[2:3], -1
	s_mov_b64 s[0:1], 0
                                        ; implicit-def: $vgpr2
	s_mov_b64 s[30:31], s[22:23]
	s_branch .LBB14_604
.LBB14_530:
	s_mov_b64 s[2:3], -1
	s_mov_b64 s[0:1], 0
	s_mov_b64 s[30:31], s[22:23]
                                        ; implicit-def: $vgpr2
	s_branch .LBB14_568
.LBB14_531:
	s_mov_b64 s[2:3], -1
	s_mov_b64 s[0:1], 0
	s_mov_b64 s[30:31], s[22:23]
                                        ; implicit-def: $vgpr2
	s_branch .LBB14_549
.LBB14_532:
	s_mov_b64 s[2:3], -1
	s_mov_b64 s[0:1], 0
	s_mov_b64 s[30:31], s[22:23]
                                        ; implicit-def: $vgpr2
	s_branch .LBB14_544
.LBB14_533:
	s_andn2_saveexec_b64 s[24:25], s[24:25]
	s_cbranch_execz .LBB14_318
.LBB14_534:
	s_mov_b32 s30, 0x46000000
	v_add_f32_e64 v3, |v2|, s30
	v_and_b32_e32 v3, 0xff, v3
	v_cmp_ne_u32_e32 vcc, 0, v3
	s_andn2_b64 s[4:5], s[4:5], exec
	s_and_b64 s[30:31], vcc, exec
	s_or_b64 s[4:5], s[4:5], s[30:31]
	s_or_b64 exec, exec, s[24:25]
	v_mov_b32_e32 v5, 0
	s_and_saveexec_b64 s[24:25], s[4:5]
	s_cbranch_execnz .LBB14_319
	s_branch .LBB14_320
.LBB14_535:
	s_mov_b64 s[2:3], -1
	s_mov_b64 s[0:1], 0
	s_mov_b64 s[30:31], s[22:23]
                                        ; implicit-def: $vgpr2
	s_branch .LBB14_539
.LBB14_536:
	s_andn2_saveexec_b64 s[24:25], s[24:25]
	s_cbranch_execz .LBB14_331
.LBB14_537:
	s_mov_b32 s30, 0x42800000
	v_add_f32_e64 v3, |v2|, s30
	v_and_b32_e32 v3, 0xff, v3
	v_cmp_ne_u32_e32 vcc, 0, v3
	s_andn2_b64 s[4:5], s[4:5], exec
	s_and_b64 s[30:31], vcc, exec
	s_or_b64 s[4:5], s[4:5], s[30:31]
	s_or_b64 exec, exec, s[24:25]
	v_mov_b32_e32 v5, 0
	s_and_saveexec_b64 s[24:25], s[4:5]
	s_cbranch_execnz .LBB14_332
	s_branch .LBB14_333
.LBB14_538:
	s_mov_b64 s[30:31], -1
                                        ; implicit-def: $vgpr2
	s_mov_b64 s[0:1], 0
.LBB14_539:
	s_and_b64 vcc, exec, s[2:3]
	s_cbranch_vccz .LBB14_543
; %bb.540:
	s_cmp_eq_u32 s34, 44
	s_cbranch_scc0 .LBB14_542
; %bb.541:
	global_load_ubyte v2, v[0:1], off
	s_movk_i32 s2, 0xff
	v_mov_b32_e32 v3, 0x7f800001
	v_mov_b32_e32 v5, 0x400000
	s_mov_b64 s[0:1], -1
	s_mov_b64 s[30:31], 0
	s_waitcnt vmcnt(0)
	v_lshlrev_b32_e32 v6, 23, v2
	v_cmp_ne_u32_e32 vcc, s2, v2
	v_cndmask_b32_e32 v3, v3, v6, vcc
	v_cmp_ne_u32_e32 vcc, 0, v2
	v_cndmask_b32_e32 v2, v5, v3, vcc
	s_branch .LBB14_543
.LBB14_542:
	s_mov_b64 s[30:31], -1
                                        ; implicit-def: $vgpr2
.LBB14_543:
	s_mov_b64 s[2:3], 0
.LBB14_544:
	s_and_b64 vcc, exec, s[2:3]
	s_cbranch_vccz .LBB14_548
; %bb.545:
	s_cmp_eq_u32 s34, 29
	s_cbranch_scc0 .LBB14_547
; %bb.546:
	global_load_dwordx2 v[2:3], v[0:1], off
	s_mov_b64 s[0:1], -1
	s_mov_b64 s[30:31], 0
	s_mov_b64 s[2:3], 0
	s_waitcnt vmcnt(0)
	v_ffbh_u32_e32 v5, v3
	v_min_u32_e32 v5, 32, v5
	v_lshlrev_b64 v[2:3], v5, v[2:3]
	v_min_u32_e32 v2, 1, v2
	v_or_b32_e32 v2, v3, v2
	v_cvt_f32_u32_e32 v2, v2
	v_sub_u32_e32 v3, 32, v5
	v_ldexp_f32 v2, v2, v3
	s_branch .LBB14_549
.LBB14_547:
	s_mov_b64 s[30:31], -1
                                        ; implicit-def: $vgpr2
.LBB14_548:
	s_mov_b64 s[2:3], 0
.LBB14_549:
	s_and_b64 vcc, exec, s[2:3]
	s_cbranch_vccz .LBB14_567
; %bb.550:
	s_cmp_lt_i32 s34, 27
	s_cbranch_scc1 .LBB14_553
; %bb.551:
	s_cmp_gt_i32 s34, 27
	s_cbranch_scc0 .LBB14_554
; %bb.552:
	global_load_dword v2, v[0:1], off
	s_mov_b64 s[0:1], 0
	s_waitcnt vmcnt(0)
	v_cvt_f32_u32_e32 v2, v2
	s_branch .LBB14_555
.LBB14_553:
	s_mov_b64 s[0:1], -1
                                        ; implicit-def: $vgpr2
	s_branch .LBB14_558
.LBB14_554:
	s_mov_b64 s[0:1], -1
                                        ; implicit-def: $vgpr2
.LBB14_555:
	s_andn2_b64 vcc, exec, s[0:1]
	s_cbranch_vccnz .LBB14_557
; %bb.556:
	global_load_ushort v2, v[0:1], off
	s_waitcnt vmcnt(0)
	v_cvt_f32_u32_e32 v2, v2
.LBB14_557:
	s_mov_b64 s[0:1], 0
.LBB14_558:
	s_andn2_b64 vcc, exec, s[0:1]
	s_cbranch_vccnz .LBB14_566
; %bb.559:
	global_load_ubyte v3, v[0:1], off
	s_movk_i32 s0, 0x7f
	s_waitcnt vmcnt(0)
	v_cmp_lt_i16_e32 vcc, s0, v3
	s_mov_b64 s[0:1], 0
	s_and_saveexec_b64 s[2:3], vcc
	s_xor_b64 s[2:3], exec, s[2:3]
	s_cbranch_execz .LBB14_580
; %bb.560:
	s_movk_i32 s0, 0x80
	v_cmp_eq_u16_e32 vcc, s0, v3
	s_mov_b64 s[0:1], -1
	s_and_saveexec_b64 s[4:5], vcc
; %bb.561:
	s_xor_b64 s[0:1], exec, -1
; %bb.562:
	s_or_b64 exec, exec, s[4:5]
	s_and_b64 s[0:1], s[0:1], exec
	s_or_saveexec_b64 s[2:3], s[2:3]
	v_mov_b32_e32 v2, 0x7f800001
	s_xor_b64 exec, exec, s[2:3]
	s_cbranch_execnz .LBB14_581
.LBB14_563:
	s_or_b64 exec, exec, s[2:3]
	s_and_saveexec_b64 s[2:3], s[0:1]
	s_cbranch_execz .LBB14_565
.LBB14_564:
	v_lshlrev_b32_e32 v2, 24, v3
	v_and_b32_e32 v3, 0xffff, v3
	v_and_b32_e32 v5, 7, v3
	v_ffbh_u32_e32 v7, v5
	v_min_u32_e32 v7, 32, v7
	v_subrev_u32_e32 v8, 28, v7
	v_bfe_u32 v6, v3, 3, 4
	v_lshlrev_b32_e32 v3, v8, v3
	v_sub_u32_e32 v7, 29, v7
	v_and_b32_e32 v3, 7, v3
	v_cmp_eq_u32_e32 vcc, 0, v6
	v_cndmask_b32_e32 v6, v6, v7, vcc
	v_cndmask_b32_e32 v3, v5, v3, vcc
	v_mov_b32_e32 v5, 0x3b800000
	v_lshlrev_b32_e32 v3, 20, v3
	v_and_b32_e32 v2, 0x80000000, v2
	v_lshl_add_u32 v5, v6, 23, v5
	v_or3_b32 v2, v2, v5, v3
.LBB14_565:
	s_or_b64 exec, exec, s[2:3]
.LBB14_566:
	s_mov_b64 s[0:1], -1
.LBB14_567:
	s_mov_b64 s[2:3], 0
.LBB14_568:
	s_and_b64 vcc, exec, s[2:3]
	s_cbranch_vccz .LBB14_603
; %bb.569:
	s_cmp_gt_i32 s34, 22
	s_cbranch_scc0 .LBB14_579
; %bb.570:
	s_cmp_lt_i32 s34, 24
	s_cbranch_scc1 .LBB14_582
; %bb.571:
	s_cmp_gt_i32 s34, 24
	s_cbranch_scc0 .LBB14_583
; %bb.572:
	global_load_ubyte v3, v[0:1], off
	s_movk_i32 s0, 0x7f
	s_waitcnt vmcnt(0)
	v_cmp_lt_i16_e32 vcc, s0, v3
	s_mov_b64 s[0:1], 0
	s_and_saveexec_b64 s[2:3], vcc
	s_xor_b64 s[2:3], exec, s[2:3]
	s_cbranch_execz .LBB14_595
; %bb.573:
	s_movk_i32 s0, 0x80
	v_cmp_eq_u16_e32 vcc, s0, v3
	s_mov_b64 s[0:1], -1
	s_and_saveexec_b64 s[4:5], vcc
; %bb.574:
	s_xor_b64 s[0:1], exec, -1
; %bb.575:
	s_or_b64 exec, exec, s[4:5]
	s_and_b64 s[0:1], s[0:1], exec
	s_or_saveexec_b64 s[2:3], s[2:3]
	v_mov_b32_e32 v2, 0x7f800001
	s_xor_b64 exec, exec, s[2:3]
	s_cbranch_execnz .LBB14_596
.LBB14_576:
	s_or_b64 exec, exec, s[2:3]
	s_and_saveexec_b64 s[2:3], s[0:1]
	s_cbranch_execz .LBB14_578
.LBB14_577:
	v_lshlrev_b32_e32 v2, 24, v3
	v_and_b32_e32 v3, 0xffff, v3
	v_and_b32_e32 v5, 3, v3
	v_ffbh_u32_e32 v7, v5
	v_min_u32_e32 v7, 32, v7
	v_subrev_u32_e32 v8, 29, v7
	v_bfe_u32 v6, v3, 2, 5
	v_lshlrev_b32_e32 v3, v8, v3
	v_sub_u32_e32 v7, 30, v7
	v_and_b32_e32 v3, 3, v3
	v_cmp_eq_u32_e32 vcc, 0, v6
	v_cndmask_b32_e32 v6, v6, v7, vcc
	v_cndmask_b32_e32 v3, v5, v3, vcc
	v_mov_b32_e32 v5, 0x37800000
	v_lshlrev_b32_e32 v3, 21, v3
	v_and_b32_e32 v2, 0x80000000, v2
	v_lshl_add_u32 v5, v6, 23, v5
	v_or3_b32 v2, v2, v5, v3
.LBB14_578:
	s_or_b64 exec, exec, s[2:3]
	s_mov_b64 s[0:1], 0
	s_branch .LBB14_584
.LBB14_579:
	s_mov_b64 s[2:3], -1
                                        ; implicit-def: $vgpr2
	s_branch .LBB14_590
.LBB14_580:
	s_or_saveexec_b64 s[2:3], s[2:3]
	v_mov_b32_e32 v2, 0x7f800001
	s_xor_b64 exec, exec, s[2:3]
	s_cbranch_execz .LBB14_563
.LBB14_581:
	v_cmp_ne_u16_e32 vcc, 0, v3
	s_andn2_b64 s[0:1], s[0:1], exec
	s_and_b64 s[4:5], vcc, exec
	v_mov_b32_e32 v2, 0
	s_or_b64 s[0:1], s[0:1], s[4:5]
	s_or_b64 exec, exec, s[2:3]
	s_and_saveexec_b64 s[2:3], s[0:1]
	s_cbranch_execnz .LBB14_564
	s_branch .LBB14_565
.LBB14_582:
	s_mov_b64 s[0:1], -1
                                        ; implicit-def: $vgpr2
	s_branch .LBB14_587
.LBB14_583:
	s_mov_b64 s[0:1], -1
                                        ; implicit-def: $vgpr2
.LBB14_584:
	s_and_b64 vcc, exec, s[0:1]
	s_cbranch_vccz .LBB14_586
; %bb.585:
	global_load_ubyte v2, v[0:1], off
	s_mov_b32 s0, 0x7f800000
	s_waitcnt vmcnt(0)
	v_lshlrev_b32_e32 v2, 24, v2
	v_and_b32_e32 v3, 0x7f000000, v2
	v_ffbh_u32_e32 v5, v3
	v_min_u32_e32 v5, 32, v5
	v_sub_u32_e64 v5, v5, 4 clamp
	v_lshlrev_b32_e32 v7, v5, v3
	v_lshlrev_b32_e32 v5, 23, v5
	v_lshrrev_b32_e32 v7, 4, v7
	v_add_u32_e32 v6, 0x1000000, v3
	v_sub_u32_e32 v5, v7, v5
	v_ashrrev_i32_e32 v6, 8, v6
	v_add_u32_e32 v5, 0x3c000000, v5
	v_and_or_b32 v5, v6, s0, v5
	v_cmp_ne_u32_e32 vcc, 0, v3
	v_cndmask_b32_e32 v3, 0, v5, vcc
	s_brev_b32 s0, 1
	v_and_or_b32 v2, v2, s0, v3
.LBB14_586:
	s_mov_b64 s[0:1], 0
.LBB14_587:
	s_andn2_b64 vcc, exec, s[0:1]
	s_cbranch_vccnz .LBB14_589
; %bb.588:
	global_load_ubyte v2, v[0:1], off
	s_movk_i32 s0, 0x7f00
	s_brev_b32 s1, 16
	s_waitcnt vmcnt(0)
	v_lshlrev_b16_e32 v3, 8, v2
	v_lshlrev_b32_e32 v2, 25, v2
	v_lshrrev_b32_e32 v5, 4, v2
	v_and_or_b32 v6, v3, s0, 0.5
	v_or_b32_e32 v5, 0x70000000, v5
	v_add_f32_e32 v6, -0.5, v6
	v_mul_f32_e32 v5, 0x7800000, v5
	v_cmp_gt_u32_e32 vcc, s1, v2
	v_bfe_i32 v3, v3, 0, 16
	v_cndmask_b32_e32 v2, v5, v6, vcc
	s_brev_b32 s0, 1
	v_and_or_b32 v2, v3, s0, v2
.LBB14_589:
	s_mov_b64 s[2:3], 0
	s_mov_b64 s[0:1], -1
.LBB14_590:
	s_andn2_b64 vcc, exec, s[2:3]
	s_cbranch_vccnz .LBB14_603
; %bb.591:
	s_cmp_gt_i32 s34, 14
	s_cbranch_scc0 .LBB14_594
; %bb.592:
	s_cmp_eq_u32 s34, 15
	s_cbranch_scc0 .LBB14_597
; %bb.593:
	global_load_ushort v2, v[0:1], off
	s_mov_b64 s[0:1], -1
	s_mov_b64 s[30:31], 0
	s_waitcnt vmcnt(0)
	v_lshlrev_b32_e32 v2, 16, v2
	s_branch .LBB14_598
.LBB14_594:
	s_mov_b64 s[2:3], -1
                                        ; implicit-def: $vgpr2
	s_branch .LBB14_599
.LBB14_595:
	s_or_saveexec_b64 s[2:3], s[2:3]
	v_mov_b32_e32 v2, 0x7f800001
	s_xor_b64 exec, exec, s[2:3]
	s_cbranch_execz .LBB14_576
.LBB14_596:
	v_cmp_ne_u16_e32 vcc, 0, v3
	s_andn2_b64 s[0:1], s[0:1], exec
	s_and_b64 s[4:5], vcc, exec
	v_mov_b32_e32 v2, 0
	s_or_b64 s[0:1], s[0:1], s[4:5]
	s_or_b64 exec, exec, s[2:3]
	s_and_saveexec_b64 s[2:3], s[0:1]
	s_cbranch_execnz .LBB14_577
	s_branch .LBB14_578
.LBB14_597:
	s_mov_b64 s[30:31], -1
                                        ; implicit-def: $vgpr2
.LBB14_598:
	s_mov_b64 s[2:3], 0
.LBB14_599:
	s_and_b64 vcc, exec, s[2:3]
	s_cbranch_vccz .LBB14_603
; %bb.600:
	s_cmp_eq_u32 s34, 11
	s_cbranch_scc0 .LBB14_602
; %bb.601:
	global_load_ubyte v2, v[0:1], off
	s_mov_b64 s[0:1], -1
	s_mov_b64 s[30:31], 0
	s_waitcnt vmcnt(0)
	v_cmp_ne_u16_e32 vcc, 0, v2
	v_cndmask_b32_e64 v2, 0, 1.0, vcc
	s_branch .LBB14_603
.LBB14_602:
	s_mov_b64 s[30:31], -1
                                        ; implicit-def: $vgpr2
.LBB14_603:
	s_mov_b64 s[2:3], 0
.LBB14_604:
	s_and_b64 vcc, exec, s[2:3]
	s_cbranch_vccz .LBB14_653
; %bb.605:
	s_cmp_lt_i32 s34, 5
	s_cbranch_scc1 .LBB14_610
; %bb.606:
	s_cmp_lt_i32 s34, 8
	s_cbranch_scc1 .LBB14_611
	;; [unrolled: 3-line block ×3, first 2 shown]
; %bb.608:
	s_cmp_gt_i32 s34, 9
	s_cbranch_scc0 .LBB14_613
; %bb.609:
	global_load_dwordx2 v[2:3], v[0:1], off
	s_mov_b64 s[0:1], 0
	s_waitcnt vmcnt(0)
	v_cvt_f32_f64_e32 v2, v[2:3]
	s_branch .LBB14_614
.LBB14_610:
	s_mov_b64 s[0:1], -1
                                        ; implicit-def: $vgpr2
	s_branch .LBB14_632
.LBB14_611:
	s_mov_b64 s[0:1], -1
                                        ; implicit-def: $vgpr2
	s_branch .LBB14_620
.LBB14_612:
	s_mov_b64 s[0:1], -1
                                        ; implicit-def: $vgpr2
	s_branch .LBB14_617
.LBB14_613:
	s_mov_b64 s[0:1], -1
                                        ; implicit-def: $vgpr2
.LBB14_614:
	s_andn2_b64 vcc, exec, s[0:1]
	s_cbranch_vccnz .LBB14_616
; %bb.615:
	global_load_dword v2, v[0:1], off
.LBB14_616:
	s_mov_b64 s[0:1], 0
.LBB14_617:
	s_andn2_b64 vcc, exec, s[0:1]
	s_cbranch_vccnz .LBB14_619
; %bb.618:
	global_load_dword v2, v[0:1], off
	s_waitcnt vmcnt(0)
	v_cvt_f32_f16_e32 v2, v2
.LBB14_619:
	s_mov_b64 s[0:1], 0
.LBB14_620:
	s_andn2_b64 vcc, exec, s[0:1]
	s_cbranch_vccnz .LBB14_631
; %bb.621:
	s_cmp_lt_i32 s34, 6
	s_cbranch_scc1 .LBB14_624
; %bb.622:
	s_cmp_gt_i32 s34, 6
	s_cbranch_scc0 .LBB14_625
; %bb.623:
	global_load_dwordx2 v[2:3], v[0:1], off
	s_mov_b64 s[0:1], 0
	s_waitcnt vmcnt(0)
	v_cvt_f32_f64_e32 v2, v[2:3]
	s_branch .LBB14_626
.LBB14_624:
	s_mov_b64 s[0:1], -1
                                        ; implicit-def: $vgpr2
	s_branch .LBB14_629
.LBB14_625:
	s_mov_b64 s[0:1], -1
                                        ; implicit-def: $vgpr2
.LBB14_626:
	s_andn2_b64 vcc, exec, s[0:1]
	s_cbranch_vccnz .LBB14_628
; %bb.627:
	global_load_dword v2, v[0:1], off
.LBB14_628:
	s_mov_b64 s[0:1], 0
.LBB14_629:
	s_andn2_b64 vcc, exec, s[0:1]
	s_cbranch_vccnz .LBB14_631
; %bb.630:
	global_load_ushort v2, v[0:1], off
	s_waitcnt vmcnt(0)
	v_cvt_f32_f16_e32 v2, v2
.LBB14_631:
	s_mov_b64 s[0:1], 0
.LBB14_632:
	s_andn2_b64 vcc, exec, s[0:1]
	s_cbranch_vccnz .LBB14_652
; %bb.633:
	s_cmp_lt_i32 s34, 2
	s_cbranch_scc1 .LBB14_637
; %bb.634:
	s_cmp_lt_i32 s34, 3
	s_cbranch_scc1 .LBB14_638
; %bb.635:
	s_cmp_gt_i32 s34, 3
	s_cbranch_scc0 .LBB14_639
; %bb.636:
	global_load_dwordx2 v[2:3], v[0:1], off
	s_mov_b64 s[0:1], 0
	s_waitcnt vmcnt(0)
	v_xor_b32_e32 v6, v2, v3
	v_ffbh_i32_e32 v5, v3
	v_ashrrev_i32_e32 v6, 31, v6
	v_add_u32_e32 v5, -1, v5
	v_add_u32_e32 v6, 32, v6
	v_min_u32_e32 v5, v5, v6
	v_lshlrev_b64 v[2:3], v5, v[2:3]
	v_min_u32_e32 v2, 1, v2
	v_or_b32_e32 v2, v3, v2
	v_cvt_f32_i32_e32 v2, v2
	v_sub_u32_e32 v3, 32, v5
	v_ldexp_f32 v2, v2, v3
	s_branch .LBB14_640
.LBB14_637:
	s_mov_b64 s[0:1], -1
                                        ; implicit-def: $vgpr2
	s_branch .LBB14_646
.LBB14_638:
	s_mov_b64 s[0:1], -1
                                        ; implicit-def: $vgpr2
	s_branch .LBB14_643
.LBB14_639:
	s_mov_b64 s[0:1], -1
                                        ; implicit-def: $vgpr2
.LBB14_640:
	s_andn2_b64 vcc, exec, s[0:1]
	s_cbranch_vccnz .LBB14_642
; %bb.641:
	global_load_dword v2, v[0:1], off
	s_waitcnt vmcnt(0)
	v_cvt_f32_i32_e32 v2, v2
.LBB14_642:
	s_mov_b64 s[0:1], 0
.LBB14_643:
	s_andn2_b64 vcc, exec, s[0:1]
	s_cbranch_vccnz .LBB14_645
; %bb.644:
	global_load_sshort v2, v[0:1], off
	s_waitcnt vmcnt(0)
	v_cvt_f32_i32_e32 v2, v2
.LBB14_645:
	s_mov_b64 s[0:1], 0
.LBB14_646:
	s_andn2_b64 vcc, exec, s[0:1]
	s_cbranch_vccnz .LBB14_652
; %bb.647:
	s_cmp_gt_i32 s34, 0
	s_cbranch_scc0 .LBB14_649
; %bb.648:
	global_load_sbyte v2, v[0:1], off
	s_mov_b64 s[0:1], 0
	s_waitcnt vmcnt(0)
	v_cvt_f32_i32_e32 v2, v2
	s_branch .LBB14_650
.LBB14_649:
	s_mov_b64 s[0:1], -1
                                        ; implicit-def: $vgpr2
.LBB14_650:
	s_andn2_b64 vcc, exec, s[0:1]
	s_cbranch_vccnz .LBB14_652
; %bb.651:
	global_load_ubyte v0, v[0:1], off
	s_waitcnt vmcnt(0)
	v_cvt_f32_ubyte0_e32 v2, v0
.LBB14_652:
	s_mov_b64 s[0:1], -1
.LBB14_653:
	s_andn2_b64 vcc, exec, s[0:1]
	s_cbranch_vccnz .LBB14_665
; %bb.654:
	s_brev_b32 s0, 18
	s_waitcnt vmcnt(0)
	v_and_b32_e32 v0, 0x7fffffff, v2
	v_cmp_nlt_f32_e64 s[0:1], |v2|, s0
                                        ; implicit-def: $vgpr1
                                        ; implicit-def: $vgpr3
	s_and_saveexec_b64 s[2:3], s[0:1]
	s_xor_b64 s[34:35], exec, s[2:3]
	s_cbranch_execz .LBB14_656
; %bb.655:
	v_and_b32_e32 v1, 0x7fffff, v0
	v_or_b32_e32 v1, 0x800000, v1
	s_mov_b32 s0, 0xfe5163ab
	v_mad_u64_u32 v[5:6], s[0:1], v1, s0, 0
	v_mov_b32_e32 v7, 0
	s_mov_b32 s0, 0x3c439041
	v_mad_u64_u32 v[8:9], s[0:1], v1, s0, v[6:7]
	s_mov_b32 s0, 0xdb629599
	v_lshrrev_b32_e32 v3, 23, v0
	v_mov_b32_e32 v6, v9
	v_mad_u64_u32 v[9:10], s[0:1], v1, s0, v[6:7]
	s_mov_b32 s0, 0xf534ddc0
	v_add_u32_e32 v3, 0xffffff88, v3
	v_mov_b32_e32 v6, v10
	v_mad_u64_u32 v[10:11], s[0:1], v1, s0, v[6:7]
	s_mov_b32 s0, 0xfc2757d1
	v_not_b32_e32 v13, 63
	v_mov_b32_e32 v6, v11
	v_mad_u64_u32 v[11:12], s[0:1], v1, s0, v[6:7]
	v_cmp_lt_u32_e32 vcc, 63, v3
	v_cndmask_b32_e32 v6, 0, v13, vcc
	v_add_u32_e32 v3, v6, v3
	v_mov_b32_e32 v6, v12
	s_mov_b32 s0, 0x4e441529
	v_mad_u64_u32 v[12:13], s[0:1], v1, s0, v[6:7]
	v_not_b32_e32 v14, 31
	v_cmp_lt_u32_e64 s[0:1], 31, v3
	v_cndmask_b32_e64 v6, 0, v14, s[0:1]
	v_add_u32_e32 v3, v6, v3
	v_mov_b32_e32 v6, v13
	s_mov_b32 s2, 0xa2f9836e
	v_mad_u64_u32 v[6:7], s[2:3], v1, s2, v[6:7]
	v_cmp_lt_u32_e64 s[2:3], 31, v3
	v_cndmask_b32_e64 v1, 0, v14, s[2:3]
	v_add_u32_e32 v1, v1, v3
	v_cndmask_b32_e32 v3, v12, v10, vcc
	v_cndmask_b32_e32 v6, v6, v11, vcc
	;; [unrolled: 1-line block ×3, first 2 shown]
	v_cndmask_b32_e64 v13, v6, v3, s[0:1]
	v_cndmask_b32_e64 v6, v7, v6, s[0:1]
	v_cndmask_b32_e32 v7, v11, v9, vcc
	v_cndmask_b32_e64 v3, v3, v7, s[0:1]
	v_cndmask_b32_e64 v6, v6, v13, s[2:3]
	;; [unrolled: 1-line block ×3, first 2 shown]
	v_sub_u32_e32 v12, 32, v1
	v_alignbit_b32 v13, v6, v11, v12
	v_cmp_eq_u32_e64 s[4:5], 0, v1
	v_cndmask_b32_e64 v1, v13, v6, s[4:5]
	v_cndmask_b32_e32 v6, v10, v8, vcc
	v_cndmask_b32_e64 v7, v7, v6, s[0:1]
	v_cndmask_b32_e64 v3, v3, v7, s[2:3]
	v_alignbit_b32 v8, v11, v3, v12
	v_cndmask_b32_e32 v5, v9, v5, vcc
	v_cndmask_b32_e64 v8, v8, v11, s[4:5]
	v_bfe_u32 v13, v1, 29, 1
	v_cndmask_b32_e64 v5, v6, v5, s[0:1]
	v_alignbit_b32 v10, v1, v8, 30
	v_sub_u32_e32 v14, 0, v13
	v_cndmask_b32_e64 v5, v7, v5, s[2:3]
	v_xor_b32_e32 v10, v10, v14
	v_alignbit_b32 v6, v3, v5, v12
	v_cndmask_b32_e64 v3, v6, v3, s[4:5]
	v_ffbh_u32_e32 v7, v10
	v_alignbit_b32 v6, v8, v3, 30
	v_min_u32_e32 v7, 32, v7
	v_alignbit_b32 v3, v3, v5, 30
	v_xor_b32_e32 v6, v6, v14
	v_sub_u32_e32 v8, 31, v7
	v_xor_b32_e32 v3, v3, v14
	v_alignbit_b32 v9, v10, v6, v8
	v_alignbit_b32 v3, v6, v3, v8
	;; [unrolled: 1-line block ×3, first 2 shown]
	v_ffbh_u32_e32 v6, v5
	v_min_u32_e32 v6, 32, v6
	v_lshrrev_b32_e32 v11, 29, v1
	v_not_b32_e32 v8, v6
	v_alignbit_b32 v3, v5, v3, v8
	v_lshlrev_b32_e32 v5, 31, v11
	v_or_b32_e32 v8, 0x33000000, v5
	v_add_lshl_u32 v6, v6, v7, 23
	v_lshrrev_b32_e32 v3, 9, v3
	v_sub_u32_e32 v6, v8, v6
	v_or_b32_e32 v5, 0.5, v5
	v_lshlrev_b32_e32 v7, 23, v7
	v_or_b32_e32 v3, v6, v3
	v_lshrrev_b32_e32 v6, 9, v9
	v_sub_u32_e32 v5, v5, v7
	v_or_b32_e32 v5, v6, v5
	s_mov_b32 s0, 0x3fc90fda
	v_mul_f32_e32 v6, 0x3fc90fda, v5
	v_fma_f32 v7, v5, s0, -v6
	v_fmac_f32_e32 v7, 0x33a22168, v5
	v_fmac_f32_e32 v7, 0x3fc90fda, v3
	v_lshrrev_b32_e32 v1, 30, v1
	v_add_f32_e32 v3, v6, v7
	v_add_u32_e32 v1, v13, v1
.LBB14_656:
	s_andn2_saveexec_b64 s[0:1], s[34:35]
	s_cbranch_execz .LBB14_658
; %bb.657:
	s_mov_b32 s2, 0x3f22f983
	v_mul_f32_e64 v1, |v2|, s2
	v_rndne_f32_e32 v5, v1
	s_mov_b32 s2, 0xbfc90fda
	v_cvt_i32_f32_e32 v1, v5
	v_fma_f32 v3, v5, s2, |v2|
	v_fmac_f32_e32 v3, 0xb3a22168, v5
	v_fmac_f32_e32 v3, 0xa7c234c4, v5
.LBB14_658:
	s_or_b64 exec, exec, s[0:1]
	v_mul_f32_e32 v5, v3, v3
	v_mov_b32_e32 v6, 0x3c0881c4
	v_fmac_f32_e32 v6, 0xb94c1982, v5
	v_mov_b32_e32 v7, 0xbe2aaa9d
	v_fmac_f32_e32 v7, v5, v6
	v_mul_f32_e32 v6, v5, v7
	v_fmac_f32_e32 v3, v3, v6
	v_mov_b32_e32 v6, 0xbab64f3b
	v_fmac_f32_e32 v6, 0x37d75334, v5
	v_mov_b32_e32 v7, 0x3d2aabf7
	;; [unrolled: 2-line block ×3, first 2 shown]
	v_fmac_f32_e32 v6, v5, v7
	v_fma_f32 v5, v5, v6, 1.0
	v_and_b32_e32 v6, 1, v1
	v_lshlrev_b32_e32 v1, 30, v1
	v_and_b32_e32 v1, 0x80000000, v1
	v_xor_b32_e32 v0, v0, v2
	v_xor_b32_e32 v0, v0, v1
	v_mul_lo_u32 v1, v4, s12
	v_cmp_eq_u32_e32 vcc, 0, v6
	v_cndmask_b32_e32 v3, v5, v3, vcc
	s_movk_i32 s0, 0x1f8
	v_xor_b32_e32 v0, v0, v3
	v_mov_b32_e32 v3, 0x7fc00000
	v_cmp_class_f32_e64 vcc, v2, s0
	v_cndmask_b32_e32 v2, v3, v0, vcc
	v_ashrrev_i32_e32 v3, 31, v1
	v_mov_b32_e32 v5, s9
	s_and_b32 s36, s33, 0xff
	v_add_co_u32_e32 v0, vcc, s8, v1
	s_cmp_lt_i32 s36, 11
	v_addc_co_u32_e32 v1, vcc, v5, v3, vcc
	s_cbranch_scc1 .LBB14_666
; %bb.659:
	s_and_b32 s37, 0xffff, s36
	s_cmp_gt_i32 s37, 25
	s_cbranch_scc0 .LBB14_667
; %bb.660:
	s_cmp_gt_i32 s37, 28
	s_cbranch_scc0 .LBB14_668
; %bb.661:
	;; [unrolled: 3-line block ×4, first 2 shown]
	s_mov_b64 s[4:5], 0
	s_mov_b64 s[0:1], -1
	s_cmp_eq_u32 s37, 46
	s_mov_b64 s[2:3], 0
	s_cbranch_scc0 .LBB14_671
; %bb.664:
	v_bfe_u32 v3, v2, 16, 1
	s_movk_i32 s0, 0x7fff
	v_add3_u32 v3, v2, v3, s0
	v_cmp_o_f32_e32 vcc, v2, v2
	v_mov_b32_e32 v5, 0x7fc0
	v_cndmask_b32_sdwa v3, v5, v3, vcc dst_sel:DWORD dst_unused:UNUSED_PAD src0_sel:DWORD src1_sel:WORD_1
	global_store_dword v[0:1], v3, off
	s_mov_b64 s[2:3], -1
	s_mov_b64 s[0:1], 0
	s_branch .LBB14_671
.LBB14_665:
	s_mov_b64 s[4:5], 0
                                        ; implicit-def: $vgpr4
	s_mov_b64 s[0:1], s[24:25]
	s_branch .LBB14_782
.LBB14_666:
	s_mov_b64 s[4:5], -1
	s_mov_b64 s[2:3], 0
	s_mov_b64 s[0:1], s[24:25]
	s_branch .LBB14_740
.LBB14_667:
	s_mov_b64 s[4:5], -1
	s_mov_b64 s[2:3], 0
	s_mov_b64 s[0:1], s[24:25]
	s_branch .LBB14_698
.LBB14_668:
	s_mov_b64 s[4:5], -1
	s_mov_b64 s[2:3], 0
	s_mov_b64 s[0:1], s[24:25]
	s_branch .LBB14_681
.LBB14_669:
	s_mov_b64 s[4:5], -1
	s_mov_b64 s[2:3], 0
	s_mov_b64 s[0:1], s[24:25]
	s_branch .LBB14_677
.LBB14_670:
	s_mov_b64 s[4:5], -1
	s_mov_b64 s[2:3], 0
	s_mov_b64 s[0:1], s[24:25]
.LBB14_671:
	s_and_b64 vcc, exec, s[4:5]
	s_cbranch_vccz .LBB14_676
; %bb.672:
	s_cmp_eq_u32 s37, 44
	s_mov_b64 s[0:1], -1
	s_cbranch_scc0 .LBB14_676
; %bb.673:
	v_bfe_u32 v3, v2, 23, 8
	s_movk_i32 s0, 0xff
	v_cmp_ne_u32_e32 vcc, s0, v3
	v_mov_b32_e32 v5, 0xff
	s_and_saveexec_b64 s[2:3], vcc
; %bb.674:
	s_mov_b32 s0, 0x3fffff
	v_and_b32_e32 v6, 0x400000, v2
	v_and_or_b32 v3, v2, s0, v3
	v_cmp_ne_u32_e32 vcc, 0, v6
	v_cmp_ne_u32_e64 s[0:1], 0, v3
	s_and_b64 s[0:1], vcc, s[0:1]
	v_lshrrev_b32_e32 v5, 23, v2
	v_cndmask_b32_e64 v3, 0, 1, s[0:1]
	v_add_u32_e32 v5, v5, v3
; %bb.675:
	s_or_b64 exec, exec, s[2:3]
	s_mov_b64 s[2:3], -1
	s_mov_b64 s[0:1], 0
	global_store_byte v[0:1], v5, off
.LBB14_676:
	s_mov_b64 s[4:5], 0
.LBB14_677:
	s_and_b64 vcc, exec, s[4:5]
	s_cbranch_vccz .LBB14_680
; %bb.678:
	s_cmp_eq_u32 s37, 29
	s_mov_b64 s[0:1], -1
	s_cbranch_scc0 .LBB14_680
; %bb.679:
	v_trunc_f32_e32 v3, v2
	v_mul_f32_e32 v5, 0x2f800000, v3
	v_floor_f32_e32 v5, v5
	v_fmac_f32_e32 v3, 0xcf800000, v5
	v_cvt_u32_f32_e32 v6, v5
	v_cvt_u32_f32_e32 v5, v3
	s_mov_b64 s[2:3], -1
	s_mov_b64 s[0:1], 0
	s_mov_b64 s[4:5], 0
	global_store_dwordx2 v[0:1], v[5:6], off
	s_branch .LBB14_681
.LBB14_680:
	s_mov_b64 s[4:5], 0
.LBB14_681:
	s_and_b64 vcc, exec, s[4:5]
	s_cbranch_vccz .LBB14_697
; %bb.682:
	s_cmp_lt_i32 s37, 27
	s_mov_b64 s[2:3], -1
	s_cbranch_scc1 .LBB14_688
; %bb.683:
	v_cvt_u32_f32_e32 v3, v2
	s_cmp_gt_i32 s37, 27
	s_cbranch_scc0 .LBB14_685
; %bb.684:
	s_mov_b64 s[2:3], 0
	global_store_dword v[0:1], v3, off
.LBB14_685:
	s_andn2_b64 vcc, exec, s[2:3]
	s_cbranch_vccnz .LBB14_687
; %bb.686:
	global_store_short v[0:1], v3, off
.LBB14_687:
	s_mov_b64 s[2:3], 0
.LBB14_688:
	s_andn2_b64 vcc, exec, s[2:3]
	s_cbranch_vccnz .LBB14_696
; %bb.689:
	v_and_b32_e32 v3, 0x7fffffff, v2
	s_mov_b32 s2, 0x43800000
	v_cmp_gt_u32_e32 vcc, s2, v3
	v_mov_b32_e32 v5, 0x80
	s_and_saveexec_b64 s[2:3], vcc
	s_cbranch_execz .LBB14_695
; %bb.690:
	s_mov_b32 s4, 0x3bffffff
	v_cmp_lt_u32_e32 vcc, s4, v3
	s_mov_b64 s[4:5], 0
                                        ; implicit-def: $vgpr3
	s_and_saveexec_b64 s[34:35], vcc
	s_xor_b64 s[34:35], exec, s[34:35]
	s_cbranch_execz .LBB14_796
; %bb.691:
	v_bfe_u32 v3, v2, 20, 1
	s_mov_b32 s39, 0x487ffff
	v_add3_u32 v3, v2, v3, s39
	s_mov_b64 s[4:5], exec
	v_lshrrev_b32_e32 v3, 20, v3
	s_andn2_saveexec_b64 s[34:35], s[34:35]
	s_cbranch_execnz .LBB14_797
.LBB14_692:
	s_or_b64 exec, exec, s[34:35]
	v_mov_b32_e32 v5, 0
	s_and_saveexec_b64 s[34:35], s[4:5]
.LBB14_693:
	v_lshrrev_b32_e32 v5, 24, v2
	s_movk_i32 s4, 0x80
	v_and_or_b32 v5, v5, s4, v3
.LBB14_694:
	s_or_b64 exec, exec, s[34:35]
.LBB14_695:
	s_or_b64 exec, exec, s[2:3]
	global_store_byte v[0:1], v5, off
.LBB14_696:
	s_mov_b64 s[2:3], -1
.LBB14_697:
	s_mov_b64 s[4:5], 0
.LBB14_698:
	s_and_b64 vcc, exec, s[4:5]
	s_cbranch_vccz .LBB14_739
; %bb.699:
	s_cmp_gt_i32 s37, 22
	s_mov_b64 s[4:5], -1
	s_cbranch_scc0 .LBB14_731
; %bb.700:
	s_cmp_lt_i32 s37, 24
	s_mov_b64 s[2:3], -1
	s_cbranch_scc1 .LBB14_720
; %bb.701:
	s_cmp_gt_i32 s37, 24
	s_cbranch_scc0 .LBB14_709
; %bb.702:
	v_and_b32_e32 v3, 0x7fffffff, v2
	s_mov_b32 s2, 0x47800000
	v_cmp_gt_u32_e32 vcc, s2, v3
	v_mov_b32_e32 v5, 0x80
	s_and_saveexec_b64 s[2:3], vcc
	s_cbranch_execz .LBB14_708
; %bb.703:
	s_mov_b32 s4, 0x37ffffff
	v_cmp_lt_u32_e32 vcc, s4, v3
	s_mov_b64 s[4:5], 0
                                        ; implicit-def: $vgpr3
	s_and_saveexec_b64 s[34:35], vcc
	s_xor_b64 s[34:35], exec, s[34:35]
	s_cbranch_execz .LBB14_799
; %bb.704:
	v_bfe_u32 v3, v2, 21, 1
	s_mov_b32 s39, 0x88fffff
	v_add3_u32 v3, v2, v3, s39
	s_mov_b64 s[4:5], exec
	v_lshrrev_b32_e32 v3, 21, v3
	s_andn2_saveexec_b64 s[34:35], s[34:35]
	s_cbranch_execnz .LBB14_800
.LBB14_705:
	s_or_b64 exec, exec, s[34:35]
	v_mov_b32_e32 v5, 0
	s_and_saveexec_b64 s[34:35], s[4:5]
.LBB14_706:
	v_lshrrev_b32_e32 v5, 24, v2
	s_movk_i32 s4, 0x80
	v_and_or_b32 v5, v5, s4, v3
.LBB14_707:
	s_or_b64 exec, exec, s[34:35]
.LBB14_708:
	s_or_b64 exec, exec, s[2:3]
	s_mov_b64 s[2:3], 0
	global_store_byte v[0:1], v5, off
.LBB14_709:
	s_and_b64 vcc, exec, s[2:3]
	s_cbranch_vccz .LBB14_719
; %bb.710:
	v_and_b32_e32 v5, 0x7fffffff, v2
	s_mov_b32 s2, 0x43f00000
	v_cmp_gt_u32_e32 vcc, s2, v5
                                        ; implicit-def: $vgpr3
	s_and_saveexec_b64 s[2:3], vcc
	s_xor_b64 s[2:3], exec, s[2:3]
	s_cbranch_execz .LBB14_716
; %bb.711:
	s_mov_b32 s4, 0x3c7fffff
	v_cmp_lt_u32_e32 vcc, s4, v5
                                        ; implicit-def: $vgpr3
	s_and_saveexec_b64 s[4:5], vcc
	s_xor_b64 s[4:5], exec, s[4:5]
; %bb.712:
	v_bfe_u32 v3, v2, 20, 1
	s_mov_b32 s34, 0x407ffff
	v_add3_u32 v3, v2, v3, s34
	v_lshrrev_b32_e32 v5, 20, v3
	v_and_b32_e32 v3, 0xff00000, v3
	s_mov_b32 s34, 0x7f00000
	v_mov_b32_e32 v6, 0x7e
	v_cmp_ne_u32_e32 vcc, s34, v3
	v_cndmask_b32_e32 v3, v6, v5, vcc
; %bb.713:
	s_andn2_saveexec_b64 s[4:5], s[4:5]
; %bb.714:
	s_mov_b32 s34, 0x46800000
	v_add_f32_e64 v3, |v2|, s34
; %bb.715:
	s_or_b64 exec, exec, s[4:5]
                                        ; implicit-def: $vgpr5
.LBB14_716:
	s_andn2_saveexec_b64 s[2:3], s[2:3]
; %bb.717:
	s_mov_b32 s4, 0x7f800000
	v_mov_b32_e32 v3, 0x7e
	v_mov_b32_e32 v6, 0x7f
	v_cmp_lt_u32_e32 vcc, s4, v5
	v_cndmask_b32_e32 v3, v3, v6, vcc
; %bb.718:
	s_or_b64 exec, exec, s[2:3]
	v_lshrrev_b32_e32 v5, 24, v2
	s_movk_i32 s2, 0x80
	v_and_or_b32 v3, v5, s2, v3
	global_store_byte v[0:1], v3, off
.LBB14_719:
	s_mov_b64 s[2:3], 0
.LBB14_720:
	s_andn2_b64 vcc, exec, s[2:3]
	s_cbranch_vccnz .LBB14_730
; %bb.721:
	v_and_b32_e32 v5, 0x7fffffff, v2
	s_mov_b32 s2, 0x47800000
	v_cmp_gt_u32_e32 vcc, s2, v5
                                        ; implicit-def: $vgpr3
	s_and_saveexec_b64 s[2:3], vcc
	s_xor_b64 s[2:3], exec, s[2:3]
	s_cbranch_execz .LBB14_727
; %bb.722:
	s_mov_b32 s4, 0x387fffff
	v_cmp_lt_u32_e32 vcc, s4, v5
                                        ; implicit-def: $vgpr3
	s_and_saveexec_b64 s[4:5], vcc
	s_xor_b64 s[4:5], exec, s[4:5]
; %bb.723:
	v_bfe_u32 v3, v2, 21, 1
	s_mov_b32 s34, 0x80fffff
	v_add3_u32 v3, v2, v3, s34
	v_lshrrev_b32_e32 v3, 21, v3
; %bb.724:
	s_andn2_saveexec_b64 s[4:5], s[4:5]
; %bb.725:
	s_mov_b32 s34, 0x43000000
	v_add_f32_e64 v3, |v2|, s34
; %bb.726:
	s_or_b64 exec, exec, s[4:5]
                                        ; implicit-def: $vgpr5
.LBB14_727:
	s_andn2_saveexec_b64 s[2:3], s[2:3]
; %bb.728:
	s_mov_b32 s4, 0x7f800000
	v_mov_b32_e32 v3, 0x7c
	v_mov_b32_e32 v6, 0x7f
	v_cmp_lt_u32_e32 vcc, s4, v5
	v_cndmask_b32_e32 v3, v3, v6, vcc
; %bb.729:
	s_or_b64 exec, exec, s[2:3]
	v_lshrrev_b32_e32 v5, 24, v2
	s_movk_i32 s2, 0x80
	v_and_or_b32 v3, v5, s2, v3
	global_store_byte v[0:1], v3, off
.LBB14_730:
	s_mov_b64 s[4:5], 0
	s_mov_b64 s[2:3], -1
.LBB14_731:
	s_andn2_b64 vcc, exec, s[4:5]
	s_cbranch_vccnz .LBB14_739
; %bb.732:
	s_cmp_gt_i32 s37, 14
	s_mov_b64 s[4:5], -1
	s_cbranch_scc0 .LBB14_736
; %bb.733:
	s_cmp_eq_u32 s37, 15
	s_mov_b64 s[0:1], -1
	s_cbranch_scc0 .LBB14_735
; %bb.734:
	v_bfe_u32 v3, v2, 16, 1
	s_movk_i32 s0, 0x7fff
	v_add3_u32 v3, v2, v3, s0
	v_cmp_o_f32_e32 vcc, v2, v2
	v_mov_b32_e32 v5, 0x7fc0
	v_cndmask_b32_sdwa v3, v5, v3, vcc dst_sel:DWORD dst_unused:UNUSED_PAD src0_sel:DWORD src1_sel:WORD_1
	global_store_short v[0:1], v3, off
	s_mov_b64 s[2:3], -1
	s_mov_b64 s[0:1], 0
.LBB14_735:
	s_mov_b64 s[4:5], 0
.LBB14_736:
	s_and_b64 vcc, exec, s[4:5]
	s_cbranch_vccz .LBB14_739
; %bb.737:
	s_cmp_eq_u32 s37, 11
	s_mov_b64 s[0:1], -1
	s_cbranch_scc0 .LBB14_739
; %bb.738:
	v_cmp_neq_f32_e32 vcc, 0, v2
	v_cndmask_b32_e64 v3, 0, 1, vcc
	s_mov_b64 s[2:3], -1
	s_mov_b64 s[0:1], 0
	global_store_byte v[0:1], v3, off
.LBB14_739:
	s_mov_b64 s[4:5], 0
.LBB14_740:
	s_and_b64 vcc, exec, s[4:5]
	s_cbranch_vccz .LBB14_779
; %bb.741:
	s_and_b32 s4, 0xffff, s36
	s_cmp_lt_i32 s4, 5
	s_mov_b64 s[2:3], -1
	s_cbranch_scc1 .LBB14_762
; %bb.742:
	s_cmp_lt_i32 s4, 8
	s_cbranch_scc1 .LBB14_752
; %bb.743:
	s_cmp_lt_i32 s4, 9
	s_cbranch_scc1 .LBB14_749
; %bb.744:
	s_cmp_gt_i32 s4, 9
	s_cbranch_scc0 .LBB14_746
; %bb.745:
	v_cvt_f64_f32_e32 v[5:6], v2
	v_mov_b32_e32 v7, 0
	v_mov_b32_e32 v8, v7
	s_mov_b64 s[2:3], 0
	global_store_dwordx4 v[0:1], v[5:8], off
.LBB14_746:
	s_andn2_b64 vcc, exec, s[2:3]
	s_cbranch_vccnz .LBB14_748
; %bb.747:
	v_mov_b32_e32 v3, 0
	global_store_dwordx2 v[0:1], v[2:3], off
.LBB14_748:
	s_mov_b64 s[2:3], 0
.LBB14_749:
	s_andn2_b64 vcc, exec, s[2:3]
	s_cbranch_vccnz .LBB14_751
; %bb.750:
	v_cvt_f16_f32_e32 v3, v2
	global_store_dword v[0:1], v3, off
.LBB14_751:
	s_mov_b64 s[2:3], 0
.LBB14_752:
	s_andn2_b64 vcc, exec, s[2:3]
	s_cbranch_vccnz .LBB14_761
; %bb.753:
	s_cmp_lt_i32 s4, 6
	s_mov_b64 s[2:3], -1
	s_cbranch_scc1 .LBB14_759
; %bb.754:
	s_cmp_gt_i32 s4, 6
	s_cbranch_scc0 .LBB14_756
; %bb.755:
	v_cvt_f64_f32_e32 v[5:6], v2
	s_mov_b64 s[2:3], 0
	global_store_dwordx2 v[0:1], v[5:6], off
.LBB14_756:
	s_andn2_b64 vcc, exec, s[2:3]
	s_cbranch_vccnz .LBB14_758
; %bb.757:
	global_store_dword v[0:1], v2, off
.LBB14_758:
	s_mov_b64 s[2:3], 0
.LBB14_759:
	s_andn2_b64 vcc, exec, s[2:3]
	s_cbranch_vccnz .LBB14_761
; %bb.760:
	v_cvt_f16_f32_e32 v3, v2
	global_store_short v[0:1], v3, off
.LBB14_761:
	s_mov_b64 s[2:3], 0
.LBB14_762:
	s_andn2_b64 vcc, exec, s[2:3]
	s_cbranch_vccnz .LBB14_778
; %bb.763:
	s_cmp_lt_i32 s4, 2
	s_mov_b64 s[2:3], -1
	s_cbranch_scc1 .LBB14_773
; %bb.764:
	s_cmp_lt_i32 s4, 3
	s_cbranch_scc1 .LBB14_770
; %bb.765:
	s_cmp_gt_i32 s4, 3
	s_cbranch_scc0 .LBB14_767
; %bb.766:
	v_trunc_f32_e32 v3, v2
	s_mov_b32 s2, 0x2f800000
	v_mul_f32_e64 v5, |v3|, s2
	v_floor_f32_e32 v5, v5
	s_mov_b32 s2, 0xcf800000
	v_cvt_u32_f32_e32 v6, v5
	v_fma_f32 v5, v5, s2, |v3|
	v_cvt_u32_f32_e32 v5, v5
	v_ashrrev_i32_e32 v3, 31, v3
	v_xor_b32_e32 v6, v6, v3
	s_mov_b64 s[2:3], 0
	v_xor_b32_e32 v5, v5, v3
	v_sub_co_u32_e32 v5, vcc, v5, v3
	v_subb_co_u32_e32 v6, vcc, v6, v3, vcc
	global_store_dwordx2 v[0:1], v[5:6], off
.LBB14_767:
	s_andn2_b64 vcc, exec, s[2:3]
	s_cbranch_vccnz .LBB14_769
; %bb.768:
	v_cvt_i32_f32_e32 v3, v2
	global_store_dword v[0:1], v3, off
.LBB14_769:
	s_mov_b64 s[2:3], 0
.LBB14_770:
	s_andn2_b64 vcc, exec, s[2:3]
	s_cbranch_vccnz .LBB14_772
; %bb.771:
	v_cvt_i32_f32_e32 v3, v2
	global_store_short v[0:1], v3, off
.LBB14_772:
	s_mov_b64 s[2:3], 0
.LBB14_773:
	s_andn2_b64 vcc, exec, s[2:3]
	s_cbranch_vccnz .LBB14_778
; %bb.774:
	s_cmp_gt_i32 s4, 0
	s_mov_b64 s[2:3], -1
	s_cbranch_scc0 .LBB14_776
; %bb.775:
	v_cvt_i32_f32_e32 v3, v2
	s_mov_b64 s[2:3], 0
	global_store_byte v[0:1], v3, off
.LBB14_776:
	s_andn2_b64 vcc, exec, s[2:3]
	s_cbranch_vccnz .LBB14_778
; %bb.777:
	v_trunc_f32_e32 v2, v2
	s_mov_b32 s2, 0x2f800000
	v_mul_f32_e64 v3, |v2|, s2
	v_floor_f32_e32 v3, v3
	s_mov_b32 s2, 0xcf800000
	v_fma_f32 v3, v3, s2, |v2|
	v_cvt_u32_f32_e32 v3, v3
	v_ashrrev_i32_e32 v2, 31, v2
	v_xor_b32_e32 v3, v3, v2
	v_sub_u32_e32 v2, v3, v2
	global_store_byte v[0:1], v2, off
.LBB14_778:
	s_mov_b64 s[2:3], -1
.LBB14_779:
	s_andn2_b64 vcc, exec, s[2:3]
	s_cbranch_vccnz .LBB14_781
; %bb.780:
	v_add_u32_e32 v4, 0x80, v4
	s_mov_b64 s[4:5], -1
	s_branch .LBB14_782
.LBB14_781:
	s_mov_b64 s[4:5], 0
                                        ; implicit-def: $vgpr4
.LBB14_782:
	s_andn2_b64 s[2:3], s[24:25], exec
	s_and_b64 s[0:1], s[0:1], exec
	s_or_b64 s[2:3], s[2:3], s[0:1]
	s_andn2_b64 s[0:1], s[22:23], exec
	s_and_b64 s[30:31], s[30:31], exec
	s_or_b64 s[0:1], s[0:1], s[30:31]
	s_orn2_b64 s[34:35], s[4:5], exec
.LBB14_783:
	s_or_b64 exec, exec, s[28:29]
	s_mov_b64 s[30:31], 0
	s_mov_b64 s[36:37], 0
	;; [unrolled: 1-line block ×3, first 2 shown]
                                        ; implicit-def: $vgpr0_vgpr1
                                        ; implicit-def: $vgpr3
	s_and_saveexec_b64 s[4:5], s[34:35]
	s_cbranch_execz .LBB14_868
; %bb.784:
	v_cmp_gt_i32_e32 vcc, s38, v4
	s_mov_b64 s[34:35], 0
	s_mov_b64 s[38:39], s[0:1]
	;; [unrolled: 1-line block ×3, first 2 shown]
                                        ; implicit-def: $vgpr0_vgpr1
                                        ; implicit-def: $vgpr3
	s_and_saveexec_b64 s[28:29], vcc
	s_cbranch_execz .LBB14_867
; %bb.785:
	v_mul_lo_u32 v0, v4, s13
	v_mov_b32_e32 v1, s11
	s_and_b32 s43, 0xffff, s42
	s_cmp_lt_i32 s43, 11
	s_waitcnt vmcnt(0)
	v_ashrrev_i32_e32 v2, 31, v0
	v_add_co_u32_e32 v0, vcc, s10, v0
	v_addc_co_u32_e32 v1, vcc, v1, v2, vcc
	s_cbranch_scc1 .LBB14_792
; %bb.786:
	s_cmp_gt_i32 s43, 25
	s_cbranch_scc0 .LBB14_793
; %bb.787:
	s_cmp_gt_i32 s43, 28
	s_cbranch_scc0 .LBB14_794
	;; [unrolled: 3-line block ×4, first 2 shown]
; %bb.790:
	s_cmp_eq_u32 s43, 46
	s_mov_b64 s[38:39], 0
	s_cbranch_scc0 .LBB14_801
; %bb.791:
	global_load_dword v2, v[0:1], off
	s_mov_b64 s[36:37], -1
	s_waitcnt vmcnt(0)
	v_lshlrev_b32_e32 v3, 16, v2
	s_branch .LBB14_803
.LBB14_792:
	s_mov_b64 s[38:39], -1
                                        ; implicit-def: $vgpr3
	s_mov_b64 s[30:31], s[0:1]
	s_branch .LBB14_866
.LBB14_793:
	s_mov_b64 s[38:39], -1
	s_mov_b64 s[30:31], s[0:1]
                                        ; implicit-def: $vgpr3
	s_branch .LBB14_832
.LBB14_794:
	s_mov_b64 s[38:39], -1
	s_mov_b64 s[30:31], s[0:1]
                                        ; implicit-def: $vgpr3
	s_branch .LBB14_813
.LBB14_795:
	s_mov_b64 s[38:39], -1
	s_mov_b64 s[30:31], s[0:1]
                                        ; implicit-def: $vgpr3
	s_branch .LBB14_808
.LBB14_796:
	s_andn2_saveexec_b64 s[34:35], s[34:35]
	s_cbranch_execz .LBB14_692
.LBB14_797:
	s_mov_b32 s39, 0x46000000
	v_add_f32_e64 v3, |v2|, s39
	v_and_b32_e32 v3, 0xff, v3
	v_cmp_ne_u32_e32 vcc, 0, v3
	s_andn2_b64 s[4:5], s[4:5], exec
	s_and_b64 s[40:41], vcc, exec
	s_or_b64 s[4:5], s[4:5], s[40:41]
	s_or_b64 exec, exec, s[34:35]
	v_mov_b32_e32 v5, 0
	s_and_saveexec_b64 s[34:35], s[4:5]
	s_cbranch_execnz .LBB14_693
	s_branch .LBB14_694
.LBB14_798:
	s_mov_b64 s[38:39], -1
	s_mov_b64 s[30:31], s[0:1]
	s_branch .LBB14_802
.LBB14_799:
	s_andn2_saveexec_b64 s[34:35], s[34:35]
	s_cbranch_execz .LBB14_705
.LBB14_800:
	s_mov_b32 s39, 0x42800000
	v_add_f32_e64 v3, |v2|, s39
	v_and_b32_e32 v3, 0xff, v3
	v_cmp_ne_u32_e32 vcc, 0, v3
	s_andn2_b64 s[4:5], s[4:5], exec
	s_and_b64 s[40:41], vcc, exec
	s_or_b64 s[4:5], s[4:5], s[40:41]
	s_or_b64 exec, exec, s[34:35]
	v_mov_b32_e32 v5, 0
	s_and_saveexec_b64 s[34:35], s[4:5]
	s_cbranch_execnz .LBB14_706
	s_branch .LBB14_707
.LBB14_801:
	s_mov_b64 s[30:31], -1
.LBB14_802:
                                        ; implicit-def: $vgpr3
.LBB14_803:
	s_and_b64 vcc, exec, s[38:39]
	s_cbranch_vccz .LBB14_807
; %bb.804:
	s_cmp_eq_u32 s43, 44
	s_cbranch_scc0 .LBB14_806
; %bb.805:
	global_load_ubyte v2, v[0:1], off
	s_movk_i32 s36, 0xff
	v_mov_b32_e32 v3, 0x7f800001
	v_mov_b32_e32 v5, 0x400000
	s_mov_b64 s[30:31], 0
	s_waitcnt vmcnt(0)
	v_lshlrev_b32_e32 v6, 23, v2
	v_cmp_ne_u32_e32 vcc, s36, v2
	v_cndmask_b32_e32 v3, v3, v6, vcc
	v_cmp_ne_u32_e32 vcc, 0, v2
	v_cndmask_b32_e32 v3, v5, v3, vcc
	s_mov_b64 s[36:37], -1
	s_branch .LBB14_807
.LBB14_806:
	s_mov_b64 s[30:31], -1
                                        ; implicit-def: $vgpr3
.LBB14_807:
	s_mov_b64 s[38:39], 0
.LBB14_808:
	s_and_b64 vcc, exec, s[38:39]
	s_cbranch_vccz .LBB14_812
; %bb.809:
	s_cmp_eq_u32 s43, 29
	s_cbranch_scc0 .LBB14_811
; %bb.810:
	global_load_dwordx2 v[2:3], v[0:1], off
	s_mov_b64 s[30:31], 0
	s_mov_b64 s[36:37], -1
	s_mov_b64 s[38:39], 0
	s_waitcnt vmcnt(0)
	v_ffbh_u32_e32 v5, v3
	v_min_u32_e32 v5, 32, v5
	v_lshlrev_b64 v[2:3], v5, v[2:3]
	v_min_u32_e32 v2, 1, v2
	v_or_b32_e32 v2, v3, v2
	v_cvt_f32_u32_e32 v2, v2
	v_sub_u32_e32 v3, 32, v5
	v_ldexp_f32 v3, v2, v3
	s_branch .LBB14_813
.LBB14_811:
	s_mov_b64 s[30:31], -1
                                        ; implicit-def: $vgpr3
.LBB14_812:
	s_mov_b64 s[38:39], 0
.LBB14_813:
	s_and_b64 vcc, exec, s[38:39]
	s_cbranch_vccz .LBB14_831
; %bb.814:
	s_cmp_lt_i32 s43, 27
	s_cbranch_scc1 .LBB14_817
; %bb.815:
	s_cmp_gt_i32 s43, 27
	s_cbranch_scc0 .LBB14_818
; %bb.816:
	global_load_dword v2, v[0:1], off
	s_mov_b64 s[36:37], 0
	s_waitcnt vmcnt(0)
	v_cvt_f32_u32_e32 v3, v2
	s_branch .LBB14_819
.LBB14_817:
	s_mov_b64 s[36:37], -1
                                        ; implicit-def: $vgpr3
	s_branch .LBB14_822
.LBB14_818:
	s_mov_b64 s[36:37], -1
                                        ; implicit-def: $vgpr3
.LBB14_819:
	s_andn2_b64 vcc, exec, s[36:37]
	s_cbranch_vccnz .LBB14_821
; %bb.820:
	global_load_ushort v2, v[0:1], off
	s_waitcnt vmcnt(0)
	v_cvt_f32_u32_e32 v3, v2
.LBB14_821:
	s_mov_b64 s[36:37], 0
.LBB14_822:
	s_andn2_b64 vcc, exec, s[36:37]
	s_cbranch_vccnz .LBB14_830
; %bb.823:
	global_load_ubyte v2, v[0:1], off
	s_movk_i32 s36, 0x7f
	s_waitcnt vmcnt(0)
	v_cmp_lt_i16_e32 vcc, s36, v2
	s_mov_b64 s[36:37], 0
	s_and_saveexec_b64 s[38:39], vcc
	s_xor_b64 s[38:39], exec, s[38:39]
	s_cbranch_execz .LBB14_844
; %bb.824:
	s_movk_i32 s36, 0x80
	v_cmp_eq_u16_e32 vcc, s36, v2
	s_mov_b64 s[36:37], -1
	s_and_saveexec_b64 s[40:41], vcc
; %bb.825:
	s_xor_b64 s[36:37], exec, -1
; %bb.826:
	s_or_b64 exec, exec, s[40:41]
	s_and_b64 s[36:37], s[36:37], exec
	s_or_saveexec_b64 s[38:39], s[38:39]
	v_mov_b32_e32 v3, 0x7f800001
	s_xor_b64 exec, exec, s[38:39]
	s_cbranch_execnz .LBB14_845
.LBB14_827:
	s_or_b64 exec, exec, s[38:39]
	s_and_saveexec_b64 s[38:39], s[36:37]
	s_cbranch_execz .LBB14_829
.LBB14_828:
	v_lshlrev_b32_e32 v3, 24, v2
	v_and_b32_e32 v2, 0xffff, v2
	v_and_b32_e32 v5, 7, v2
	v_ffbh_u32_e32 v7, v5
	v_min_u32_e32 v7, 32, v7
	v_subrev_u32_e32 v8, 28, v7
	v_bfe_u32 v6, v2, 3, 4
	v_lshlrev_b32_e32 v2, v8, v2
	v_sub_u32_e32 v7, 29, v7
	v_and_b32_e32 v2, 7, v2
	v_cmp_eq_u32_e32 vcc, 0, v6
	v_cndmask_b32_e32 v6, v6, v7, vcc
	v_cndmask_b32_e32 v2, v5, v2, vcc
	v_mov_b32_e32 v5, 0x3b800000
	v_lshlrev_b32_e32 v2, 20, v2
	v_and_b32_e32 v3, 0x80000000, v3
	v_lshl_add_u32 v5, v6, 23, v5
	v_or3_b32 v3, v3, v5, v2
.LBB14_829:
	s_or_b64 exec, exec, s[38:39]
.LBB14_830:
	s_mov_b64 s[36:37], -1
.LBB14_831:
	s_mov_b64 s[38:39], 0
.LBB14_832:
	s_and_b64 vcc, exec, s[38:39]
	s_cbranch_vccz .LBB14_865
; %bb.833:
	s_cmp_gt_i32 s43, 22
	s_cbranch_scc0 .LBB14_843
; %bb.834:
	s_cmp_lt_i32 s43, 24
	s_cbranch_scc1 .LBB14_846
; %bb.835:
	s_cmp_gt_i32 s43, 24
	s_cbranch_scc0 .LBB14_847
; %bb.836:
	global_load_ubyte v2, v[0:1], off
	s_movk_i32 s34, 0x7f
	s_waitcnt vmcnt(0)
	v_cmp_lt_i16_e32 vcc, s34, v2
	s_mov_b64 s[34:35], 0
	s_and_saveexec_b64 s[36:37], vcc
	s_xor_b64 s[36:37], exec, s[36:37]
	s_cbranch_execz .LBB14_859
; %bb.837:
	s_movk_i32 s34, 0x80
	v_cmp_eq_u16_e32 vcc, s34, v2
	s_mov_b64 s[34:35], -1
	s_and_saveexec_b64 s[38:39], vcc
; %bb.838:
	s_xor_b64 s[34:35], exec, -1
; %bb.839:
	s_or_b64 exec, exec, s[38:39]
	s_and_b64 s[34:35], s[34:35], exec
	s_or_saveexec_b64 s[36:37], s[36:37]
	v_mov_b32_e32 v3, 0x7f800001
	s_xor_b64 exec, exec, s[36:37]
	s_cbranch_execnz .LBB14_860
.LBB14_840:
	s_or_b64 exec, exec, s[36:37]
	s_and_saveexec_b64 s[36:37], s[34:35]
	s_cbranch_execz .LBB14_842
.LBB14_841:
	v_lshlrev_b32_e32 v3, 24, v2
	v_and_b32_e32 v2, 0xffff, v2
	v_and_b32_e32 v5, 3, v2
	v_ffbh_u32_e32 v7, v5
	v_min_u32_e32 v7, 32, v7
	v_subrev_u32_e32 v8, 29, v7
	v_bfe_u32 v6, v2, 2, 5
	v_lshlrev_b32_e32 v2, v8, v2
	v_sub_u32_e32 v7, 30, v7
	v_and_b32_e32 v2, 3, v2
	v_cmp_eq_u32_e32 vcc, 0, v6
	v_cndmask_b32_e32 v6, v6, v7, vcc
	v_cndmask_b32_e32 v2, v5, v2, vcc
	v_mov_b32_e32 v5, 0x37800000
	v_lshlrev_b32_e32 v2, 21, v2
	v_and_b32_e32 v3, 0x80000000, v3
	v_lshl_add_u32 v5, v6, 23, v5
	v_or3_b32 v3, v3, v5, v2
.LBB14_842:
	s_or_b64 exec, exec, s[36:37]
	s_mov_b64 s[34:35], 0
	s_branch .LBB14_848
.LBB14_843:
	s_mov_b64 s[34:35], -1
                                        ; implicit-def: $vgpr3
	s_branch .LBB14_854
.LBB14_844:
	s_or_saveexec_b64 s[38:39], s[38:39]
	v_mov_b32_e32 v3, 0x7f800001
	s_xor_b64 exec, exec, s[38:39]
	s_cbranch_execz .LBB14_827
.LBB14_845:
	v_cmp_ne_u16_e32 vcc, 0, v2
	s_andn2_b64 s[36:37], s[36:37], exec
	s_and_b64 s[40:41], vcc, exec
	v_mov_b32_e32 v3, 0
	s_or_b64 s[36:37], s[36:37], s[40:41]
	s_or_b64 exec, exec, s[38:39]
	s_and_saveexec_b64 s[38:39], s[36:37]
	s_cbranch_execnz .LBB14_828
	s_branch .LBB14_829
.LBB14_846:
	s_mov_b64 s[34:35], -1
                                        ; implicit-def: $vgpr3
	s_branch .LBB14_851
.LBB14_847:
	s_mov_b64 s[34:35], -1
                                        ; implicit-def: $vgpr3
.LBB14_848:
	s_and_b64 vcc, exec, s[34:35]
	s_cbranch_vccz .LBB14_850
; %bb.849:
	global_load_ubyte v2, v[0:1], off
	s_mov_b32 s34, 0x7f800000
	s_waitcnt vmcnt(0)
	v_lshlrev_b32_e32 v2, 24, v2
	v_and_b32_e32 v3, 0x7f000000, v2
	v_ffbh_u32_e32 v5, v3
	v_min_u32_e32 v5, 32, v5
	v_sub_u32_e64 v5, v5, 4 clamp
	v_lshlrev_b32_e32 v7, v5, v3
	v_lshlrev_b32_e32 v5, 23, v5
	v_lshrrev_b32_e32 v7, 4, v7
	v_add_u32_e32 v6, 0x1000000, v3
	v_sub_u32_e32 v5, v7, v5
	v_ashrrev_i32_e32 v6, 8, v6
	v_add_u32_e32 v5, 0x3c000000, v5
	v_and_or_b32 v5, v6, s34, v5
	v_cmp_ne_u32_e32 vcc, 0, v3
	v_cndmask_b32_e32 v3, 0, v5, vcc
	s_brev_b32 s34, 1
	v_and_or_b32 v3, v2, s34, v3
.LBB14_850:
	s_mov_b64 s[34:35], 0
.LBB14_851:
	s_andn2_b64 vcc, exec, s[34:35]
	s_cbranch_vccnz .LBB14_853
; %bb.852:
	global_load_ubyte v2, v[0:1], off
	s_movk_i32 s34, 0x7f00
	s_brev_b32 s35, 16
	s_waitcnt vmcnt(0)
	v_lshlrev_b16_e32 v3, 8, v2
	v_lshlrev_b32_e32 v2, 25, v2
	v_lshrrev_b32_e32 v5, 4, v2
	v_and_or_b32 v6, v3, s34, 0.5
	v_or_b32_e32 v5, 0x70000000, v5
	v_add_f32_e32 v6, -0.5, v6
	v_mul_f32_e32 v5, 0x7800000, v5
	v_cmp_gt_u32_e32 vcc, s35, v2
	v_bfe_i32 v3, v3, 0, 16
	v_cndmask_b32_e32 v2, v5, v6, vcc
	s_brev_b32 s34, 1
	v_and_or_b32 v3, v3, s34, v2
.LBB14_853:
	s_mov_b64 s[34:35], 0
	s_mov_b64 s[36:37], -1
.LBB14_854:
	s_andn2_b64 vcc, exec, s[34:35]
	s_mov_b64 s[34:35], 0
	s_cbranch_vccnz .LBB14_865
; %bb.855:
	s_cmp_gt_i32 s43, 14
	s_cbranch_scc0 .LBB14_858
; %bb.856:
	s_cmp_eq_u32 s43, 15
	s_cbranch_scc0 .LBB14_861
; %bb.857:
	global_load_ushort v2, v[0:1], off
	s_mov_b64 s[30:31], 0
	s_mov_b64 s[36:37], -1
	s_waitcnt vmcnt(0)
	v_lshlrev_b32_e32 v3, 16, v2
	s_branch .LBB14_862
.LBB14_858:
	s_mov_b64 s[38:39], -1
                                        ; implicit-def: $vgpr3
	s_branch .LBB14_863
.LBB14_859:
	s_or_saveexec_b64 s[36:37], s[36:37]
	v_mov_b32_e32 v3, 0x7f800001
	s_xor_b64 exec, exec, s[36:37]
	s_cbranch_execz .LBB14_840
.LBB14_860:
	v_cmp_ne_u16_e32 vcc, 0, v2
	s_andn2_b64 s[34:35], s[34:35], exec
	s_and_b64 s[38:39], vcc, exec
	v_mov_b32_e32 v3, 0
	s_or_b64 s[34:35], s[34:35], s[38:39]
	s_or_b64 exec, exec, s[36:37]
	s_and_saveexec_b64 s[36:37], s[34:35]
	s_cbranch_execnz .LBB14_841
	s_branch .LBB14_842
.LBB14_861:
	s_mov_b64 s[30:31], -1
                                        ; implicit-def: $vgpr3
.LBB14_862:
	s_mov_b64 s[38:39], 0
.LBB14_863:
	s_and_b64 vcc, exec, s[38:39]
	s_cbranch_vccz .LBB14_865
; %bb.864:
	s_cmp_lg_u32 s43, 11
	s_cselect_b64 s[38:39], -1, 0
	s_andn2_b64 s[30:31], s[30:31], exec
	s_and_b64 s[38:39], s[38:39], exec
	s_mov_b64 s[34:35], -1
	s_or_b64 s[30:31], s[30:31], s[38:39]
.LBB14_865:
	s_mov_b64 s[38:39], 0
.LBB14_866:
	s_and_b64 s[40:41], s[36:37], exec
	s_and_b64 s[36:37], s[38:39], exec
	s_andn2_b64 s[38:39], s[0:1], exec
	s_and_b64 s[30:31], s[30:31], exec
	s_and_b64 s[34:35], s[34:35], exec
	s_or_b64 s[38:39], s[38:39], s[30:31]
.LBB14_867:
	s_or_b64 exec, exec, s[28:29]
	s_and_b64 s[30:31], s[34:35], exec
	s_andn2_b64 s[0:1], s[0:1], exec
	s_and_b64 s[34:35], s[38:39], exec
	s_and_b64 s[28:29], s[40:41], exec
	;; [unrolled: 1-line block ×3, first 2 shown]
	s_or_b64 s[0:1], s[0:1], s[34:35]
.LBB14_868:
	s_or_b64 exec, exec, s[4:5]
	s_andn2_b64 s[4:5], s[24:25], exec
	s_and_b64 s[2:3], s[2:3], exec
	s_andn2_b64 s[22:23], s[22:23], exec
	s_and_b64 s[0:1], s[0:1], exec
	s_or_b64 s[24:25], s[4:5], s[2:3]
	s_and_b64 s[28:29], s[28:29], exec
	s_and_b64 s[4:5], s[36:37], exec
	;; [unrolled: 1-line block ×3, first 2 shown]
	s_or_b64 s[22:23], s[22:23], s[0:1]
.LBB14_869:
	s_or_b64 exec, exec, s[26:27]
	s_andn2_b64 s[0:1], s[16:17], exec
	s_and_b64 s[16:17], s[24:25], exec
	s_and_b64 s[24:25], s[2:3], exec
	s_andn2_b64 s[2:3], s[18:19], exec
	s_and_b64 s[18:19], s[22:23], exec
	s_or_b64 s[16:17], s[0:1], s[16:17]
	s_and_b64 s[0:1], s[28:29], exec
	s_and_b64 s[4:5], s[4:5], exec
	s_or_b64 s[18:19], s[2:3], s[18:19]
	s_or_b64 exec, exec, s[20:21]
	s_mov_b64 s[20:21], 0
	s_and_saveexec_b64 s[2:3], s[18:19]
	s_cbranch_execz .LBB14_265
.LBB14_870:
	s_mov_b64 s[20:21], exec
	s_andn2_b64 s[24:25], s[24:25], exec
	s_trap 2
	s_or_b64 exec, exec, s[2:3]
	s_and_saveexec_b64 s[2:3], s[24:25]
	s_xor_b64 s[2:3], exec, s[2:3]
	s_cbranch_execnz .LBB14_266
.LBB14_871:
	s_or_b64 exec, exec, s[2:3]
	s_and_saveexec_b64 s[2:3], s[4:5]
	s_cbranch_execz .LBB14_917
.LBB14_872:
	s_sext_i32_i16 s4, s42
	s_cmp_lt_i32 s4, 5
	s_cbranch_scc1 .LBB14_877
; %bb.873:
	s_cmp_lt_i32 s4, 8
	s_cbranch_scc1 .LBB14_878
; %bb.874:
	;; [unrolled: 3-line block ×3, first 2 shown]
	s_cmp_gt_i32 s4, 9
	s_cbranch_scc0 .LBB14_880
; %bb.876:
	global_load_dwordx2 v[2:3], v[0:1], off
	s_mov_b64 s[4:5], 0
	s_waitcnt vmcnt(0)
	v_cvt_f32_f64_e32 v3, v[2:3]
	s_branch .LBB14_881
.LBB14_877:
                                        ; implicit-def: $vgpr3
	s_branch .LBB14_898
.LBB14_878:
                                        ; implicit-def: $vgpr3
	s_branch .LBB14_887
.LBB14_879:
	s_mov_b64 s[4:5], -1
                                        ; implicit-def: $vgpr3
	s_branch .LBB14_884
.LBB14_880:
	s_mov_b64 s[4:5], -1
                                        ; implicit-def: $vgpr3
.LBB14_881:
	s_andn2_b64 vcc, exec, s[4:5]
	s_cbranch_vccnz .LBB14_883
; %bb.882:
	global_load_dword v3, v[0:1], off
.LBB14_883:
	s_mov_b64 s[4:5], 0
.LBB14_884:
	s_andn2_b64 vcc, exec, s[4:5]
	s_cbranch_vccnz .LBB14_886
; %bb.885:
	global_load_dword v2, v[0:1], off
	s_waitcnt vmcnt(0)
	v_cvt_f32_f16_e32 v3, v2
.LBB14_886:
	s_cbranch_execnz .LBB14_897
.LBB14_887:
	s_sext_i32_i16 s4, s42
	s_cmp_lt_i32 s4, 6
	s_cbranch_scc1 .LBB14_890
; %bb.888:
	s_cmp_gt_i32 s4, 6
	s_cbranch_scc0 .LBB14_891
; %bb.889:
	global_load_dwordx2 v[2:3], v[0:1], off
	s_mov_b64 s[4:5], 0
	s_waitcnt vmcnt(0)
	v_cvt_f32_f64_e32 v3, v[2:3]
	s_branch .LBB14_892
.LBB14_890:
	s_mov_b64 s[4:5], -1
                                        ; implicit-def: $vgpr3
	s_branch .LBB14_895
.LBB14_891:
	s_mov_b64 s[4:5], -1
                                        ; implicit-def: $vgpr3
.LBB14_892:
	s_andn2_b64 vcc, exec, s[4:5]
	s_cbranch_vccnz .LBB14_894
; %bb.893:
	global_load_dword v3, v[0:1], off
.LBB14_894:
	s_mov_b64 s[4:5], 0
.LBB14_895:
	s_andn2_b64 vcc, exec, s[4:5]
	s_cbranch_vccnz .LBB14_897
; %bb.896:
	global_load_ushort v2, v[0:1], off
	s_waitcnt vmcnt(0)
	v_cvt_f32_f16_e32 v3, v2
.LBB14_897:
	s_cbranch_execnz .LBB14_916
.LBB14_898:
	s_sext_i32_i16 s4, s42
	s_cmp_lt_i32 s4, 2
	s_cbranch_scc1 .LBB14_902
; %bb.899:
	s_cmp_lt_i32 s4, 3
	s_cbranch_scc1 .LBB14_903
; %bb.900:
	s_cmp_gt_i32 s4, 3
	s_cbranch_scc0 .LBB14_904
; %bb.901:
	global_load_dwordx2 v[2:3], v[0:1], off
	s_mov_b64 s[4:5], 0
	s_waitcnt vmcnt(0)
	v_xor_b32_e32 v6, v2, v3
	v_ffbh_i32_e32 v5, v3
	v_ashrrev_i32_e32 v6, 31, v6
	v_add_u32_e32 v5, -1, v5
	v_add_u32_e32 v6, 32, v6
	v_min_u32_e32 v5, v5, v6
	v_lshlrev_b64 v[2:3], v5, v[2:3]
	v_min_u32_e32 v2, 1, v2
	v_or_b32_e32 v2, v3, v2
	v_cvt_f32_i32_e32 v2, v2
	v_sub_u32_e32 v3, 32, v5
	v_ldexp_f32 v3, v2, v3
	s_branch .LBB14_905
.LBB14_902:
                                        ; implicit-def: $vgpr3
	s_branch .LBB14_911
.LBB14_903:
	s_mov_b64 s[4:5], -1
                                        ; implicit-def: $vgpr3
	s_branch .LBB14_908
.LBB14_904:
	s_mov_b64 s[4:5], -1
                                        ; implicit-def: $vgpr3
.LBB14_905:
	s_andn2_b64 vcc, exec, s[4:5]
	s_cbranch_vccnz .LBB14_907
; %bb.906:
	global_load_dword v2, v[0:1], off
	s_waitcnt vmcnt(0)
	v_cvt_f32_i32_e32 v3, v2
.LBB14_907:
	s_mov_b64 s[4:5], 0
.LBB14_908:
	s_andn2_b64 vcc, exec, s[4:5]
	s_cbranch_vccnz .LBB14_910
; %bb.909:
	global_load_sshort v2, v[0:1], off
	s_waitcnt vmcnt(0)
	v_cvt_f32_i32_e32 v3, v2
.LBB14_910:
	s_cbranch_execnz .LBB14_916
.LBB14_911:
	s_sext_i32_i16 s4, s42
	s_cmp_gt_i32 s4, 0
	s_cbranch_scc0 .LBB14_913
; %bb.912:
	global_load_sbyte v2, v[0:1], off
	s_mov_b64 s[4:5], 0
	s_waitcnt vmcnt(0)
	v_cvt_f32_i32_e32 v3, v2
	s_branch .LBB14_914
.LBB14_913:
	s_mov_b64 s[4:5], -1
                                        ; implicit-def: $vgpr3
.LBB14_914:
	s_andn2_b64 vcc, exec, s[4:5]
	s_cbranch_vccnz .LBB14_916
; %bb.915:
	global_load_ubyte v0, v[0:1], off
	s_waitcnt vmcnt(0)
	v_cvt_f32_ubyte0_e32 v3, v0
.LBB14_916:
	s_or_b64 s[0:1], s[0:1], exec
.LBB14_917:
	s_or_b64 exec, exec, s[2:3]
	s_mov_b64 s[4:5], 0
	s_mov_b64 s[2:3], 0
                                        ; implicit-def: $sgpr26
                                        ; implicit-def: $vgpr0_vgpr1
                                        ; implicit-def: $vgpr2
	s_and_saveexec_b64 s[18:19], s[0:1]
	s_cbranch_execz .LBB14_939
; %bb.918:
	s_brev_b32 s0, 18
	s_waitcnt vmcnt(0)
	v_and_b32_e32 v0, 0x7fffffff, v3
	v_cmp_nlt_f32_e64 s[0:1], |v3|, s0
                                        ; implicit-def: $vgpr1
                                        ; implicit-def: $vgpr2
	s_and_saveexec_b64 s[2:3], s[0:1]
	s_xor_b64 s[22:23], exec, s[2:3]
	s_cbranch_execz .LBB14_920
; %bb.919:
	v_and_b32_e32 v1, 0x7fffff, v0
	v_or_b32_e32 v13, 0x800000, v1
	s_mov_b32 s0, 0xfe5163ab
	v_mad_u64_u32 v[1:2], s[0:1], v13, s0, 0
	v_mov_b32_e32 v6, 0
	s_mov_b32 s0, 0x3c439041
	v_mov_b32_e32 v5, v2
	v_mad_u64_u32 v[7:8], s[0:1], v13, s0, v[5:6]
	s_mov_b32 s0, 0xdb629599
	v_lshrrev_b32_e32 v2, 23, v0
	v_mov_b32_e32 v5, v8
	v_mad_u64_u32 v[8:9], s[0:1], v13, s0, v[5:6]
	s_mov_b32 s0, 0xf534ddc0
	v_add_u32_e32 v2, 0xffffff88, v2
	v_mov_b32_e32 v5, v9
	v_mad_u64_u32 v[9:10], s[0:1], v13, s0, v[5:6]
	s_mov_b32 s0, 0xfc2757d1
	v_not_b32_e32 v12, 63
	v_mov_b32_e32 v5, v10
	v_mad_u64_u32 v[10:11], s[0:1], v13, s0, v[5:6]
	v_cmp_lt_u32_e32 vcc, 63, v2
	v_cndmask_b32_e32 v5, 0, v12, vcc
	v_add_u32_e32 v2, v5, v2
	v_mov_b32_e32 v5, v11
	s_mov_b32 s0, 0x4e441529
	v_mad_u64_u32 v[11:12], s[0:1], v13, s0, v[5:6]
	v_not_b32_e32 v14, 31
	v_cmp_lt_u32_e64 s[0:1], 31, v2
	v_cndmask_b32_e64 v5, 0, v14, s[0:1]
	v_add_u32_e32 v2, v5, v2
	v_mov_b32_e32 v5, v12
	s_mov_b32 s2, 0xa2f9836e
	v_mad_u64_u32 v[5:6], s[2:3], v13, s2, v[5:6]
	v_cmp_lt_u32_e64 s[2:3], 31, v2
	v_cndmask_b32_e64 v12, 0, v14, s[2:3]
	v_add_u32_e32 v2, v12, v2
	v_cndmask_b32_e32 v12, v11, v9, vcc
	v_cndmask_b32_e32 v5, v5, v10, vcc
	;; [unrolled: 1-line block ×3, first 2 shown]
	v_cndmask_b32_e64 v13, v5, v12, s[0:1]
	v_cndmask_b32_e64 v5, v6, v5, s[0:1]
	v_cndmask_b32_e32 v6, v10, v8, vcc
	v_cndmask_b32_e64 v10, v12, v6, s[0:1]
	v_sub_u32_e32 v12, 32, v2
	v_cmp_eq_u32_e64 s[4:5], 0, v2
	v_cndmask_b32_e32 v2, v9, v7, vcc
	v_cndmask_b32_e64 v5, v5, v13, s[2:3]
	v_cndmask_b32_e64 v11, v13, v10, s[2:3]
	;; [unrolled: 1-line block ×3, first 2 shown]
	v_alignbit_b32 v13, v5, v11, v12
	v_cndmask_b32_e64 v7, v10, v6, s[2:3]
	v_cndmask_b32_e64 v5, v13, v5, s[4:5]
	v_alignbit_b32 v9, v11, v7, v12
	v_cndmask_b32_e32 v1, v8, v1, vcc
	v_cndmask_b32_e64 v9, v9, v11, s[4:5]
	v_bfe_u32 v13, v5, 29, 1
	v_cndmask_b32_e64 v1, v2, v1, s[0:1]
	v_alignbit_b32 v10, v5, v9, 30
	v_sub_u32_e32 v14, 0, v13
	v_cndmask_b32_e64 v1, v6, v1, s[2:3]
	v_xor_b32_e32 v10, v10, v14
	v_alignbit_b32 v2, v7, v1, v12
	v_cndmask_b32_e64 v2, v2, v7, s[4:5]
	v_ffbh_u32_e32 v7, v10
	v_alignbit_b32 v6, v9, v2, 30
	v_min_u32_e32 v7, 32, v7
	v_alignbit_b32 v1, v2, v1, 30
	v_xor_b32_e32 v6, v6, v14
	v_sub_u32_e32 v8, 31, v7
	v_xor_b32_e32 v1, v1, v14
	v_alignbit_b32 v9, v10, v6, v8
	v_alignbit_b32 v1, v6, v1, v8
	;; [unrolled: 1-line block ×3, first 2 shown]
	v_ffbh_u32_e32 v6, v2
	v_min_u32_e32 v6, 32, v6
	v_lshrrev_b32_e32 v11, 29, v5
	v_not_b32_e32 v8, v6
	v_alignbit_b32 v1, v2, v1, v8
	v_lshlrev_b32_e32 v2, 31, v11
	v_or_b32_e32 v8, 0x33000000, v2
	v_add_lshl_u32 v6, v6, v7, 23
	v_lshrrev_b32_e32 v1, 9, v1
	v_sub_u32_e32 v6, v8, v6
	v_or_b32_e32 v2, 0.5, v2
	v_lshlrev_b32_e32 v7, 23, v7
	v_or_b32_e32 v1, v6, v1
	v_lshrrev_b32_e32 v6, 9, v9
	v_sub_u32_e32 v2, v2, v7
	v_or_b32_e32 v2, v6, v2
	s_mov_b32 s0, 0x3fc90fda
	v_mul_f32_e32 v6, 0x3fc90fda, v2
	v_fma_f32 v7, v2, s0, -v6
	v_fmac_f32_e32 v7, 0x33a22168, v2
	v_fmac_f32_e32 v7, 0x3fc90fda, v1
	v_lshrrev_b32_e32 v1, 30, v5
	v_add_f32_e32 v2, v6, v7
	v_add_u32_e32 v1, v13, v1
.LBB14_920:
	s_andn2_saveexec_b64 s[0:1], s[22:23]
	s_cbranch_execz .LBB14_922
; %bb.921:
	s_mov_b32 s2, 0x3f22f983
	v_mul_f32_e64 v1, |v3|, s2
	v_rndne_f32_e32 v5, v1
	s_mov_b32 s2, 0xbfc90fda
	v_cvt_i32_f32_e32 v1, v5
	v_fma_f32 v2, v5, s2, |v3|
	v_fmac_f32_e32 v2, 0xb3a22168, v5
	v_fmac_f32_e32 v2, 0xa7c234c4, v5
.LBB14_922:
	s_or_b64 exec, exec, s[0:1]
	v_mul_f32_e32 v5, v2, v2
	v_mov_b32_e32 v6, 0x3c0881c4
	v_fmac_f32_e32 v6, 0xb94c1982, v5
	v_mov_b32_e32 v7, 0xbe2aaa9d
	v_fmac_f32_e32 v7, v5, v6
	v_mul_f32_e32 v6, v5, v7
	v_fmac_f32_e32 v2, v2, v6
	v_mov_b32_e32 v6, 0xbab64f3b
	v_fmac_f32_e32 v6, 0x37d75334, v5
	v_mov_b32_e32 v7, 0x3d2aabf7
	;; [unrolled: 2-line block ×3, first 2 shown]
	v_fmac_f32_e32 v6, v5, v7
	v_fma_f32 v5, v5, v6, 1.0
	v_and_b32_e32 v6, 1, v1
	v_lshlrev_b32_e32 v1, 30, v1
	v_and_b32_e32 v1, 0x80000000, v1
	v_xor_b32_e32 v0, v0, v3
	v_xor_b32_e32 v0, v0, v1
	v_mul_lo_u32 v1, v4, s12
	v_cmp_eq_u32_e32 vcc, 0, v6
	v_cndmask_b32_e32 v2, v5, v2, vcc
	s_movk_i32 s0, 0x1f8
	v_xor_b32_e32 v0, v0, v2
	v_mov_b32_e32 v2, 0x7fc00000
	v_cmp_class_f32_e64 vcc, v3, s0
	v_cndmask_b32_e32 v2, v2, v0, vcc
	v_ashrrev_i32_e32 v3, 31, v1
	v_mov_b32_e32 v4, s9
	s_and_b32 s26, s33, 0xff
	v_add_co_u32_e32 v0, vcc, s8, v1
	s_cmp_lt_i32 s26, 11
	v_addc_co_u32_e32 v1, vcc, v4, v3, vcc
	s_cbranch_scc1 .LBB14_942
; %bb.923:
	s_and_b32 s27, 0xffff, s26
	s_mov_b64 s[4:5], -1
	s_cmp_gt_i32 s27, 25
	s_mov_b64 s[0:1], s[16:17]
	s_cbranch_scc0 .LBB14_960
; %bb.924:
	s_mov_b64 s[2:3], -1
	s_cmp_gt_i32 s27, 28
	s_mov_b64 s[0:1], s[16:17]
	s_cbranch_scc0 .LBB14_944
; %bb.925:
	s_cmp_gt_i32 s27, 43
	s_mov_b64 s[0:1], s[16:17]
	s_cbranch_scc0 .LBB14_936
; %bb.926:
	;; [unrolled: 4-line block ×3, first 2 shown]
	s_cmp_eq_u32 s27, 46
	s_mov_b64 s[0:1], -1
	s_cbranch_scc0 .LBB14_929
; %bb.928:
	v_bfe_u32 v3, v2, 16, 1
	s_movk_i32 s0, 0x7fff
	v_add3_u32 v3, v2, v3, s0
	v_cmp_o_f32_e32 vcc, v2, v2
	v_mov_b32_e32 v4, 0x7fc0
	v_cndmask_b32_sdwa v3, v4, v3, vcc dst_sel:DWORD dst_unused:UNUSED_PAD src0_sel:DWORD src1_sel:WORD_1
	global_store_dword v[0:1], v3, off
	s_mov_b64 s[0:1], 0
.LBB14_929:
	s_mov_b64 s[2:3], 0
.LBB14_930:
	s_and_b64 vcc, exec, s[2:3]
	s_cbranch_vccz .LBB14_935
; %bb.931:
	s_cmp_eq_u32 s27, 44
	s_mov_b64 s[0:1], -1
	s_cbranch_scc0 .LBB14_935
; %bb.932:
	v_bfe_u32 v3, v2, 23, 8
	s_movk_i32 s0, 0xff
	v_cmp_ne_u32_e32 vcc, s0, v3
	v_mov_b32_e32 v4, 0xff
	s_and_saveexec_b64 s[2:3], vcc
; %bb.933:
	s_mov_b32 s0, 0x3fffff
	v_and_b32_e32 v5, 0x400000, v2
	v_and_or_b32 v3, v2, s0, v3
	v_cmp_ne_u32_e32 vcc, 0, v5
	v_cmp_ne_u32_e64 s[0:1], 0, v3
	s_and_b64 s[0:1], vcc, s[0:1]
	v_lshrrev_b32_e32 v4, 23, v2
	v_cndmask_b32_e64 v3, 0, 1, s[0:1]
	v_add_u32_e32 v4, v4, v3
; %bb.934:
	s_or_b64 exec, exec, s[2:3]
	s_mov_b64 s[0:1], 0
	global_store_byte v[0:1], v4, off
.LBB14_935:
	s_mov_b64 s[2:3], 0
.LBB14_936:
	s_and_b64 vcc, exec, s[2:3]
	s_cbranch_vccz .LBB14_943
; %bb.937:
	s_cmp_eq_u32 s27, 29
	s_mov_b64 s[0:1], -1
	s_cbranch_scc0 .LBB14_943
; %bb.938:
	v_trunc_f32_e32 v3, v2
	v_mul_f32_e32 v4, 0x2f800000, v3
	v_floor_f32_e32 v5, v4
	v_fmac_f32_e32 v3, 0xcf800000, v5
	v_cvt_u32_f32_e32 v4, v5
	v_cvt_u32_f32_e32 v3, v3
	s_mov_b64 s[0:1], 0
	s_mov_b64 s[2:3], 0
	global_store_dwordx2 v[0:1], v[3:4], off
	s_branch .LBB14_944
.LBB14_939:
	s_or_b64 exec, exec, s[18:19]
	s_and_saveexec_b64 s[0:1], s[16:17]
	s_cbranch_execnz .LBB14_1002
.LBB14_940:
	s_or_b64 exec, exec, s[0:1]
	s_and_saveexec_b64 s[0:1], s[4:5]
	s_xor_b64 s[0:1], exec, s[0:1]
	s_cbranch_execz .LBB14_1003
.LBB14_941:
	s_waitcnt vmcnt(0)
	v_cmp_neq_f32_e32 vcc, 0, v2
	v_cndmask_b32_e64 v3, 0, 1, vcc
	global_store_byte v[0:1], v3, off
	s_or_b64 exec, exec, s[0:1]
	s_and_saveexec_b64 s[0:1], s[2:3]
	s_xor_b64 s[0:1], exec, s[0:1]
	s_cbranch_execz .LBB14_1041
	s_branch .LBB14_1004
.LBB14_942:
	s_mov_b64 s[4:5], 0
	s_mov_b64 s[2:3], -1
	s_mov_b64 s[0:1], s[16:17]
	s_branch .LBB14_1001
.LBB14_943:
	s_mov_b64 s[2:3], 0
.LBB14_944:
	s_and_b64 vcc, exec, s[2:3]
	s_cbranch_vccz .LBB14_959
; %bb.945:
	s_cmp_lt_i32 s27, 27
	s_mov_b64 s[2:3], -1
	s_cbranch_scc1 .LBB14_951
; %bb.946:
	v_cvt_u32_f32_e32 v3, v2
	s_cmp_gt_i32 s27, 27
	s_cbranch_scc0 .LBB14_948
; %bb.947:
	s_mov_b64 s[2:3], 0
	global_store_dword v[0:1], v3, off
.LBB14_948:
	s_andn2_b64 vcc, exec, s[2:3]
	s_cbranch_vccnz .LBB14_950
; %bb.949:
	global_store_short v[0:1], v3, off
.LBB14_950:
	s_mov_b64 s[2:3], 0
.LBB14_951:
	s_andn2_b64 vcc, exec, s[2:3]
	s_cbranch_vccnz .LBB14_959
; %bb.952:
	v_and_b32_e32 v3, 0x7fffffff, v2
	s_mov_b32 s2, 0x43800000
	v_cmp_gt_u32_e32 vcc, s2, v3
	v_mov_b32_e32 v4, 0x80
	s_and_saveexec_b64 s[2:3], vcc
	s_cbranch_execz .LBB14_958
; %bb.953:
	s_mov_b32 s4, 0x3bffffff
	v_cmp_lt_u32_e32 vcc, s4, v3
	s_mov_b64 s[4:5], 0
                                        ; implicit-def: $vgpr3
	s_and_saveexec_b64 s[22:23], vcc
	s_xor_b64 s[22:23], exec, s[22:23]
	s_cbranch_execz .LBB14_1056
; %bb.954:
	v_bfe_u32 v3, v2, 20, 1
	s_mov_b32 s24, 0x487ffff
	v_add3_u32 v3, v2, v3, s24
	s_mov_b64 s[4:5], exec
	v_lshrrev_b32_e32 v3, 20, v3
	s_andn2_saveexec_b64 s[22:23], s[22:23]
	s_cbranch_execnz .LBB14_1057
.LBB14_955:
	s_or_b64 exec, exec, s[22:23]
	v_mov_b32_e32 v4, 0
	s_and_saveexec_b64 s[22:23], s[4:5]
.LBB14_956:
	v_lshrrev_b32_e32 v4, 24, v2
	s_movk_i32 s4, 0x80
	v_and_or_b32 v4, v4, s4, v3
.LBB14_957:
	s_or_b64 exec, exec, s[22:23]
.LBB14_958:
	s_or_b64 exec, exec, s[2:3]
	global_store_byte v[0:1], v4, off
.LBB14_959:
	s_mov_b64 s[4:5], 0
.LBB14_960:
	s_mov_b64 s[2:3], 0
	s_and_b64 vcc, exec, s[4:5]
	s_cbranch_vccz .LBB14_1000
; %bb.961:
	s_cmp_gt_i32 s27, 22
	s_mov_b64 s[4:5], -1
	s_cbranch_scc0 .LBB14_993
; %bb.962:
	s_cmp_lt_i32 s27, 24
	s_cbranch_scc1 .LBB14_982
; %bb.963:
	s_cmp_gt_i32 s27, 24
	s_cbranch_scc0 .LBB14_971
; %bb.964:
	v_and_b32_e32 v3, 0x7fffffff, v2
	s_mov_b32 s4, 0x47800000
	v_cmp_gt_u32_e32 vcc, s4, v3
	v_mov_b32_e32 v4, 0x80
	s_and_saveexec_b64 s[4:5], vcc
	s_cbranch_execz .LBB14_970
; %bb.965:
	s_mov_b32 s22, 0x37ffffff
	v_cmp_lt_u32_e32 vcc, s22, v3
	s_mov_b64 s[22:23], 0
                                        ; implicit-def: $vgpr3
	s_and_saveexec_b64 s[24:25], vcc
	s_xor_b64 s[24:25], exec, s[24:25]
	s_cbranch_execz .LBB14_1185
; %bb.966:
	v_bfe_u32 v3, v2, 21, 1
	s_mov_b32 s28, 0x88fffff
	v_add3_u32 v3, v2, v3, s28
	s_mov_b64 s[22:23], exec
	v_lshrrev_b32_e32 v3, 21, v3
	s_andn2_saveexec_b64 s[24:25], s[24:25]
	s_cbranch_execnz .LBB14_1186
.LBB14_967:
	s_or_b64 exec, exec, s[24:25]
	v_mov_b32_e32 v4, 0
	s_and_saveexec_b64 s[24:25], s[22:23]
.LBB14_968:
	v_lshrrev_b32_e32 v4, 24, v2
	s_movk_i32 s22, 0x80
	v_and_or_b32 v4, v4, s22, v3
.LBB14_969:
	s_or_b64 exec, exec, s[24:25]
.LBB14_970:
	s_or_b64 exec, exec, s[4:5]
	s_mov_b64 s[4:5], 0
	global_store_byte v[0:1], v4, off
.LBB14_971:
	s_and_b64 vcc, exec, s[4:5]
	s_cbranch_vccz .LBB14_981
; %bb.972:
	v_and_b32_e32 v4, 0x7fffffff, v2
	s_mov_b32 s4, 0x43f00000
	v_cmp_gt_u32_e32 vcc, s4, v4
                                        ; implicit-def: $vgpr3
	s_and_saveexec_b64 s[4:5], vcc
	s_xor_b64 s[4:5], exec, s[4:5]
	s_cbranch_execz .LBB14_978
; %bb.973:
	s_mov_b32 s22, 0x3c7fffff
	v_cmp_lt_u32_e32 vcc, s22, v4
                                        ; implicit-def: $vgpr3
	s_and_saveexec_b64 s[22:23], vcc
	s_xor_b64 s[22:23], exec, s[22:23]
; %bb.974:
	v_bfe_u32 v3, v2, 20, 1
	s_mov_b32 s24, 0x407ffff
	v_add3_u32 v3, v2, v3, s24
	v_lshrrev_b32_e32 v4, 20, v3
	v_and_b32_e32 v3, 0xff00000, v3
	s_mov_b32 s24, 0x7f00000
	v_mov_b32_e32 v5, 0x7e
	v_cmp_ne_u32_e32 vcc, s24, v3
	v_cndmask_b32_e32 v3, v5, v4, vcc
; %bb.975:
	s_andn2_saveexec_b64 s[22:23], s[22:23]
; %bb.976:
	s_mov_b32 s24, 0x46800000
	v_add_f32_e64 v3, |v2|, s24
; %bb.977:
	s_or_b64 exec, exec, s[22:23]
                                        ; implicit-def: $vgpr4
.LBB14_978:
	s_andn2_saveexec_b64 s[4:5], s[4:5]
; %bb.979:
	s_mov_b32 s22, 0x7f800000
	v_mov_b32_e32 v3, 0x7e
	v_mov_b32_e32 v5, 0x7f
	v_cmp_lt_u32_e32 vcc, s22, v4
	v_cndmask_b32_e32 v3, v3, v5, vcc
; %bb.980:
	s_or_b64 exec, exec, s[4:5]
	v_lshrrev_b32_e32 v4, 24, v2
	s_movk_i32 s4, 0x80
	v_and_or_b32 v3, v4, s4, v3
	global_store_byte v[0:1], v3, off
.LBB14_981:
	s_mov_b64 s[4:5], 0
.LBB14_982:
	s_andn2_b64 vcc, exec, s[4:5]
	s_cbranch_vccnz .LBB14_992
; %bb.983:
	v_and_b32_e32 v4, 0x7fffffff, v2
	s_mov_b32 s4, 0x47800000
	v_cmp_gt_u32_e32 vcc, s4, v4
                                        ; implicit-def: $vgpr3
	s_and_saveexec_b64 s[4:5], vcc
	s_xor_b64 s[4:5], exec, s[4:5]
	s_cbranch_execz .LBB14_989
; %bb.984:
	s_mov_b32 s22, 0x387fffff
	v_cmp_lt_u32_e32 vcc, s22, v4
                                        ; implicit-def: $vgpr3
	s_and_saveexec_b64 s[22:23], vcc
	s_xor_b64 s[22:23], exec, s[22:23]
; %bb.985:
	v_bfe_u32 v3, v2, 21, 1
	s_mov_b32 s24, 0x80fffff
	v_add3_u32 v3, v2, v3, s24
	v_lshrrev_b32_e32 v3, 21, v3
; %bb.986:
	s_andn2_saveexec_b64 s[22:23], s[22:23]
; %bb.987:
	s_mov_b32 s24, 0x43000000
	v_add_f32_e64 v3, |v2|, s24
; %bb.988:
	s_or_b64 exec, exec, s[22:23]
                                        ; implicit-def: $vgpr4
.LBB14_989:
	s_andn2_saveexec_b64 s[4:5], s[4:5]
; %bb.990:
	s_mov_b32 s22, 0x7f800000
	v_mov_b32_e32 v3, 0x7c
	v_mov_b32_e32 v5, 0x7f
	v_cmp_lt_u32_e32 vcc, s22, v4
	v_cndmask_b32_e32 v3, v3, v5, vcc
; %bb.991:
	s_or_b64 exec, exec, s[4:5]
	v_lshrrev_b32_e32 v4, 24, v2
	s_movk_i32 s4, 0x80
	v_and_or_b32 v3, v4, s4, v3
	global_store_byte v[0:1], v3, off
.LBB14_992:
	s_mov_b64 s[4:5], 0
.LBB14_993:
	s_andn2_b64 vcc, exec, s[4:5]
	s_mov_b64 s[4:5], 0
	s_cbranch_vccnz .LBB14_1001
; %bb.994:
	s_cmp_gt_i32 s27, 14
	s_mov_b64 s[22:23], -1
	s_cbranch_scc0 .LBB14_998
; %bb.995:
	s_cmp_eq_u32 s27, 15
	s_mov_b64 s[0:1], -1
	s_cbranch_scc0 .LBB14_997
; %bb.996:
	v_bfe_u32 v3, v2, 16, 1
	s_movk_i32 s0, 0x7fff
	v_add3_u32 v3, v2, v3, s0
	v_cmp_o_f32_e32 vcc, v2, v2
	v_mov_b32_e32 v4, 0x7fc0
	v_cndmask_b32_sdwa v3, v4, v3, vcc dst_sel:DWORD dst_unused:UNUSED_PAD src0_sel:DWORD src1_sel:WORD_1
	global_store_short v[0:1], v3, off
	s_mov_b64 s[0:1], 0
.LBB14_997:
	s_mov_b64 s[22:23], 0
.LBB14_998:
	s_and_b64 vcc, exec, s[22:23]
	s_cbranch_vccz .LBB14_1001
; %bb.999:
	s_cmp_lg_u32 s27, 11
	s_cselect_b64 s[22:23], -1, 0
	s_andn2_b64 s[0:1], s[0:1], exec
	s_and_b64 s[22:23], s[22:23], exec
	s_mov_b64 s[4:5], -1
	s_or_b64 s[0:1], s[0:1], s[22:23]
	s_branch .LBB14_1001
.LBB14_1000:
	s_mov_b64 s[4:5], 0
.LBB14_1001:
	s_andn2_b64 s[16:17], s[16:17], exec
	s_and_b64 s[0:1], s[0:1], exec
	s_and_b64 s[2:3], s[2:3], exec
	;; [unrolled: 1-line block ×3, first 2 shown]
	s_or_b64 s[16:17], s[16:17], s[0:1]
	s_or_b64 exec, exec, s[18:19]
	s_and_saveexec_b64 s[0:1], s[16:17]
	s_cbranch_execz .LBB14_940
.LBB14_1002:
	s_or_b64 s[20:21], s[20:21], exec
	s_andn2_b64 s[4:5], s[4:5], exec
	s_trap 2
	s_or_b64 exec, exec, s[0:1]
	s_and_saveexec_b64 s[0:1], s[4:5]
	s_xor_b64 s[0:1], exec, s[0:1]
	s_cbranch_execnz .LBB14_941
.LBB14_1003:
	s_or_b64 exec, exec, s[0:1]
	s_and_saveexec_b64 s[0:1], s[2:3]
	s_xor_b64 s[0:1], exec, s[0:1]
	s_cbranch_execz .LBB14_1041
.LBB14_1004:
	s_sext_i32_i16 s4, s26
	s_cmp_lt_i32 s4, 5
	s_mov_b64 s[2:3], -1
	s_cbranch_scc1 .LBB14_1025
; %bb.1005:
	s_cmp_lt_i32 s4, 8
	s_cbranch_scc1 .LBB14_1015
; %bb.1006:
	s_cmp_lt_i32 s4, 9
	s_cbranch_scc1 .LBB14_1012
; %bb.1007:
	s_cmp_gt_i32 s4, 9
	s_cbranch_scc0 .LBB14_1009
; %bb.1008:
	s_waitcnt vmcnt(0)
	v_cvt_f64_f32_e32 v[3:4], v2
	v_mov_b32_e32 v5, 0
	v_mov_b32_e32 v6, v5
	s_mov_b64 s[2:3], 0
	global_store_dwordx4 v[0:1], v[3:6], off
.LBB14_1009:
	s_andn2_b64 vcc, exec, s[2:3]
	s_cbranch_vccnz .LBB14_1011
; %bb.1010:
	s_waitcnt vmcnt(0)
	v_mov_b32_e32 v3, 0
	global_store_dwordx2 v[0:1], v[2:3], off
.LBB14_1011:
	s_mov_b64 s[2:3], 0
.LBB14_1012:
	s_andn2_b64 vcc, exec, s[2:3]
	s_cbranch_vccnz .LBB14_1014
; %bb.1013:
	s_waitcnt vmcnt(0)
	v_cvt_f16_f32_e32 v3, v2
	global_store_dword v[0:1], v3, off
.LBB14_1014:
	s_mov_b64 s[2:3], 0
.LBB14_1015:
	s_andn2_b64 vcc, exec, s[2:3]
	s_cbranch_vccnz .LBB14_1024
; %bb.1016:
	s_sext_i32_i16 s4, s26
	s_cmp_lt_i32 s4, 6
	s_mov_b64 s[2:3], -1
	s_cbranch_scc1 .LBB14_1022
; %bb.1017:
	s_cmp_gt_i32 s4, 6
	s_cbranch_scc0 .LBB14_1019
; %bb.1018:
	s_waitcnt vmcnt(0)
	v_cvt_f64_f32_e32 v[3:4], v2
	s_mov_b64 s[2:3], 0
	global_store_dwordx2 v[0:1], v[3:4], off
.LBB14_1019:
	s_andn2_b64 vcc, exec, s[2:3]
	s_cbranch_vccnz .LBB14_1021
; %bb.1020:
	s_waitcnt vmcnt(0)
	global_store_dword v[0:1], v2, off
.LBB14_1021:
	s_mov_b64 s[2:3], 0
.LBB14_1022:
	s_andn2_b64 vcc, exec, s[2:3]
	s_cbranch_vccnz .LBB14_1024
; %bb.1023:
	s_waitcnt vmcnt(0)
	v_cvt_f16_f32_e32 v3, v2
	global_store_short v[0:1], v3, off
.LBB14_1024:
	s_mov_b64 s[2:3], 0
.LBB14_1025:
	s_andn2_b64 vcc, exec, s[2:3]
	s_cbranch_vccnz .LBB14_1041
; %bb.1026:
	s_sext_i32_i16 s4, s26
	s_cmp_lt_i32 s4, 2
	s_mov_b64 s[2:3], -1
	s_cbranch_scc1 .LBB14_1036
; %bb.1027:
	s_cmp_lt_i32 s4, 3
	s_cbranch_scc1 .LBB14_1033
; %bb.1028:
	s_cmp_gt_i32 s4, 3
	s_cbranch_scc0 .LBB14_1030
; %bb.1029:
	s_waitcnt vmcnt(0)
	v_trunc_f32_e32 v3, v2
	s_mov_b32 s2, 0x2f800000
	v_mul_f32_e64 v4, |v3|, s2
	v_floor_f32_e32 v4, v4
	s_mov_b32 s2, 0xcf800000
	v_cvt_u32_f32_e32 v5, v4
	v_fma_f32 v4, v4, s2, |v3|
	v_cvt_u32_f32_e32 v4, v4
	v_ashrrev_i32_e32 v6, 31, v3
	v_xor_b32_e32 v5, v5, v6
	s_mov_b64 s[2:3], 0
	v_xor_b32_e32 v3, v4, v6
	v_sub_co_u32_e32 v3, vcc, v3, v6
	v_subb_co_u32_e32 v4, vcc, v5, v6, vcc
	global_store_dwordx2 v[0:1], v[3:4], off
.LBB14_1030:
	s_andn2_b64 vcc, exec, s[2:3]
	s_cbranch_vccnz .LBB14_1032
; %bb.1031:
	s_waitcnt vmcnt(0)
	v_cvt_i32_f32_e32 v3, v2
	global_store_dword v[0:1], v3, off
.LBB14_1032:
	s_mov_b64 s[2:3], 0
.LBB14_1033:
	s_andn2_b64 vcc, exec, s[2:3]
	s_cbranch_vccnz .LBB14_1035
; %bb.1034:
	s_waitcnt vmcnt(0)
	v_cvt_i32_f32_e32 v3, v2
	global_store_short v[0:1], v3, off
.LBB14_1035:
	s_mov_b64 s[2:3], 0
.LBB14_1036:
	s_andn2_b64 vcc, exec, s[2:3]
	s_cbranch_vccnz .LBB14_1041
; %bb.1037:
	s_sext_i32_i16 s2, s26
	s_cmp_gt_i32 s2, 0
	s_mov_b64 s[2:3], -1
	s_cbranch_scc0 .LBB14_1039
; %bb.1038:
	s_waitcnt vmcnt(0)
	v_cvt_i32_f32_e32 v3, v2
	s_mov_b64 s[2:3], 0
	global_store_byte v[0:1], v3, off
.LBB14_1039:
	s_andn2_b64 vcc, exec, s[2:3]
	s_cbranch_vccnz .LBB14_1041
; %bb.1040:
	s_waitcnt vmcnt(0)
	v_trunc_f32_e32 v2, v2
	s_mov_b32 s2, 0x2f800000
	v_mul_f32_e64 v3, |v2|, s2
	v_floor_f32_e32 v3, v3
	s_mov_b32 s2, 0xcf800000
	v_fma_f32 v3, v3, s2, |v2|
	v_cvt_u32_f32_e32 v3, v3
	v_ashrrev_i32_e32 v2, 31, v2
	v_xor_b32_e32 v3, v3, v2
	v_sub_u32_e32 v2, v3, v2
	global_store_byte v[0:1], v2, off
.LBB14_1041:
	s_or_b64 exec, exec, s[0:1]
	s_and_b64 s[16:17], s[20:21], exec
                                        ; implicit-def: $vgpr4
.LBB14_1042:
	s_or_saveexec_b64 s[6:7], s[6:7]
	s_mov_b64 s[0:1], 0
                                        ; implicit-def: $sgpr20
                                        ; implicit-def: $vgpr0_vgpr1
                                        ; implicit-def: $vgpr2
	s_xor_b64 exec, exec, s[6:7]
	s_cbranch_execz .LBB14_2006
; %bb.1043:
	v_mul_lo_u32 v5, s13, v4
	v_mov_b32_e32 v1, s11
	s_and_b32 s22, 0xffff, s42
	s_cmp_lt_i32 s22, 11
	s_waitcnt vmcnt(0)
	v_ashrrev_i32_e32 v2, 31, v5
	v_add_co_u32_e32 v0, vcc, s10, v5
	v_addc_co_u32_e32 v1, vcc, v1, v2, vcc
	s_cbranch_scc1 .LBB14_1050
; %bb.1044:
	s_cmp_gt_i32 s22, 25
	s_mov_b64 s[2:3], 0
	s_cbranch_scc0 .LBB14_1052
; %bb.1045:
	s_cmp_gt_i32 s22, 28
	s_cbranch_scc0 .LBB14_1053
; %bb.1046:
	s_cmp_gt_i32 s22, 43
	;; [unrolled: 3-line block ×3, first 2 shown]
	s_cbranch_scc0 .LBB14_1055
; %bb.1048:
	s_cmp_eq_u32 s22, 46
	s_cbranch_scc0 .LBB14_1058
; %bb.1049:
	global_load_dword v2, v[0:1], off
	s_mov_b64 s[4:5], -1
	s_waitcnt vmcnt(0)
	v_lshlrev_b32_e32 v2, 16, v2
	s_branch .LBB14_1059
.LBB14_1050:
	s_mov_b64 s[4:5], 0
                                        ; implicit-def: $vgpr2
	s_mov_b64 s[18:19], s[16:17]
	s_cbranch_execnz .LBB14_1122
.LBB14_1051:
	s_andn2_b64 vcc, exec, s[4:5]
	s_cbranch_vccz .LBB14_1167
	s_branch .LBB14_2004
.LBB14_1052:
	s_mov_b64 s[4:5], 0
                                        ; implicit-def: $vgpr2
	s_cbranch_execnz .LBB14_1087
	s_branch .LBB14_1118
.LBB14_1053:
	s_mov_b64 s[14:15], -1
	s_mov_b64 s[4:5], 0
                                        ; implicit-def: $vgpr2
	s_branch .LBB14_1068
.LBB14_1054:
	s_mov_b64 s[4:5], 0
                                        ; implicit-def: $vgpr2
	s_cbranch_execnz .LBB14_1064
	s_branch .LBB14_1067
.LBB14_1055:
	s_mov_b64 s[14:15], -1
	s_mov_b64 s[4:5], 0
                                        ; implicit-def: $vgpr2
	s_branch .LBB14_1059
.LBB14_1056:
	s_andn2_saveexec_b64 s[22:23], s[22:23]
	s_cbranch_execz .LBB14_955
.LBB14_1057:
	s_mov_b32 s24, 0x46000000
	v_add_f32_e64 v3, |v2|, s24
	v_and_b32_e32 v3, 0xff, v3
	v_cmp_ne_u32_e32 vcc, 0, v3
	s_andn2_b64 s[4:5], s[4:5], exec
	s_and_b64 s[24:25], vcc, exec
	s_or_b64 s[4:5], s[4:5], s[24:25]
	s_or_b64 exec, exec, s[22:23]
	v_mov_b32_e32 v4, 0
	s_and_saveexec_b64 s[22:23], s[4:5]
	s_cbranch_execnz .LBB14_956
	s_branch .LBB14_957
.LBB14_1058:
	s_mov_b64 s[0:1], -1
                                        ; implicit-def: $vgpr2
	s_mov_b64 s[4:5], 0
.LBB14_1059:
	s_and_b64 vcc, exec, s[14:15]
	s_cbranch_vccz .LBB14_1062
; %bb.1060:
	s_cmp_eq_u32 s22, 44
	s_cbranch_scc0 .LBB14_1063
; %bb.1061:
	global_load_ubyte v2, v[0:1], off
	s_movk_i32 s4, 0xff
	v_mov_b32_e32 v3, 0x7f800001
	v_mov_b32_e32 v6, 0x400000
	s_mov_b64 s[0:1], 0
	s_waitcnt vmcnt(0)
	v_lshlrev_b32_e32 v7, 23, v2
	v_cmp_ne_u32_e32 vcc, s4, v2
	v_cndmask_b32_e32 v3, v3, v7, vcc
	v_cmp_ne_u32_e32 vcc, 0, v2
	v_cndmask_b32_e32 v2, v6, v3, vcc
	s_mov_b64 s[4:5], -1
.LBB14_1062:
	s_branch .LBB14_1067
.LBB14_1063:
	s_mov_b64 s[0:1], -1
                                        ; implicit-def: $vgpr2
	s_branch .LBB14_1067
.LBB14_1064:
	s_cmp_eq_u32 s22, 29
	s_cbranch_scc0 .LBB14_1066
; %bb.1065:
	global_load_dwordx2 v[2:3], v[0:1], off
	s_mov_b64 s[0:1], 0
	s_mov_b64 s[4:5], -1
	s_mov_b64 s[14:15], 0
	s_waitcnt vmcnt(0)
	v_ffbh_u32_e32 v6, v3
	v_min_u32_e32 v6, 32, v6
	v_lshlrev_b64 v[2:3], v6, v[2:3]
	v_min_u32_e32 v2, 1, v2
	v_or_b32_e32 v2, v3, v2
	v_cvt_f32_u32_e32 v2, v2
	v_sub_u32_e32 v3, 32, v6
	v_ldexp_f32 v2, v2, v3
	s_branch .LBB14_1068
.LBB14_1066:
	s_mov_b64 s[0:1], -1
                                        ; implicit-def: $vgpr2
.LBB14_1067:
	s_mov_b64 s[14:15], 0
.LBB14_1068:
	s_and_b64 vcc, exec, s[14:15]
	s_cbranch_vccz .LBB14_1086
; %bb.1069:
	s_cmp_lt_i32 s22, 27
	s_cbranch_scc1 .LBB14_1072
; %bb.1070:
	s_cmp_gt_i32 s22, 27
	s_cbranch_scc0 .LBB14_1073
; %bb.1071:
	global_load_dword v2, v[0:1], off
	s_mov_b64 s[4:5], 0
	s_waitcnt vmcnt(0)
	v_cvt_f32_u32_e32 v2, v2
	s_branch .LBB14_1074
.LBB14_1072:
	s_mov_b64 s[4:5], -1
                                        ; implicit-def: $vgpr2
	s_branch .LBB14_1077
.LBB14_1073:
	s_mov_b64 s[4:5], -1
                                        ; implicit-def: $vgpr2
.LBB14_1074:
	s_andn2_b64 vcc, exec, s[4:5]
	s_cbranch_vccnz .LBB14_1076
; %bb.1075:
	global_load_ushort v2, v[0:1], off
	s_waitcnt vmcnt(0)
	v_cvt_f32_u32_e32 v2, v2
.LBB14_1076:
	s_mov_b64 s[4:5], 0
.LBB14_1077:
	s_andn2_b64 vcc, exec, s[4:5]
	s_cbranch_vccnz .LBB14_1085
; %bb.1078:
	global_load_ubyte v3, v[0:1], off
	s_movk_i32 s4, 0x7f
	s_waitcnt vmcnt(0)
	v_cmp_lt_i16_e32 vcc, s4, v3
	s_mov_b64 s[4:5], 0
	s_and_saveexec_b64 s[14:15], vcc
	s_xor_b64 s[14:15], exec, s[14:15]
	s_cbranch_execz .LBB14_1098
; %bb.1079:
	s_movk_i32 s4, 0x80
	v_cmp_eq_u16_e32 vcc, s4, v3
	s_mov_b64 s[4:5], -1
	s_and_saveexec_b64 s[18:19], vcc
; %bb.1080:
	s_xor_b64 s[4:5], exec, -1
; %bb.1081:
	s_or_b64 exec, exec, s[18:19]
	s_and_b64 s[4:5], s[4:5], exec
	s_or_saveexec_b64 s[14:15], s[14:15]
	v_mov_b32_e32 v2, 0x7f800001
	s_xor_b64 exec, exec, s[14:15]
	s_cbranch_execnz .LBB14_1099
.LBB14_1082:
	s_or_b64 exec, exec, s[14:15]
	s_and_saveexec_b64 s[14:15], s[4:5]
	s_cbranch_execz .LBB14_1084
.LBB14_1083:
	v_lshlrev_b32_e32 v2, 24, v3
	v_and_b32_e32 v3, 0xffff, v3
	v_and_b32_e32 v6, 7, v3
	v_ffbh_u32_e32 v8, v6
	v_min_u32_e32 v8, 32, v8
	v_subrev_u32_e32 v9, 28, v8
	v_bfe_u32 v7, v3, 3, 4
	v_lshlrev_b32_e32 v3, v9, v3
	v_sub_u32_e32 v8, 29, v8
	v_and_b32_e32 v3, 7, v3
	v_cmp_eq_u32_e32 vcc, 0, v7
	v_cndmask_b32_e32 v7, v7, v8, vcc
	v_cndmask_b32_e32 v3, v6, v3, vcc
	v_mov_b32_e32 v6, 0x3b800000
	v_lshlrev_b32_e32 v3, 20, v3
	v_and_b32_e32 v2, 0x80000000, v2
	v_lshl_add_u32 v6, v7, 23, v6
	v_or3_b32 v2, v2, v6, v3
.LBB14_1084:
	s_or_b64 exec, exec, s[14:15]
.LBB14_1085:
	s_mov_b64 s[4:5], -1
.LBB14_1086:
	s_branch .LBB14_1118
.LBB14_1087:
	s_cmp_gt_i32 s22, 22
	s_cbranch_scc0 .LBB14_1097
; %bb.1088:
	s_cmp_lt_i32 s22, 24
	s_cbranch_scc1 .LBB14_1100
; %bb.1089:
	s_cmp_gt_i32 s22, 24
	s_cbranch_scc0 .LBB14_1101
; %bb.1090:
	global_load_ubyte v3, v[0:1], off
	s_movk_i32 s2, 0x7f
	s_waitcnt vmcnt(0)
	v_cmp_lt_i16_e32 vcc, s2, v3
	s_mov_b64 s[2:3], 0
	s_and_saveexec_b64 s[4:5], vcc
	s_xor_b64 s[4:5], exec, s[4:5]
	s_cbranch_execz .LBB14_1112
; %bb.1091:
	s_movk_i32 s2, 0x80
	v_cmp_eq_u16_e32 vcc, s2, v3
	s_mov_b64 s[2:3], -1
	s_and_saveexec_b64 s[14:15], vcc
; %bb.1092:
	s_xor_b64 s[2:3], exec, -1
; %bb.1093:
	s_or_b64 exec, exec, s[14:15]
	s_and_b64 s[2:3], s[2:3], exec
	s_or_saveexec_b64 s[4:5], s[4:5]
	v_mov_b32_e32 v2, 0x7f800001
	s_xor_b64 exec, exec, s[4:5]
	s_cbranch_execnz .LBB14_1113
.LBB14_1094:
	s_or_b64 exec, exec, s[4:5]
	s_and_saveexec_b64 s[4:5], s[2:3]
	s_cbranch_execz .LBB14_1096
.LBB14_1095:
	v_lshlrev_b32_e32 v2, 24, v3
	v_and_b32_e32 v3, 0xffff, v3
	v_and_b32_e32 v6, 3, v3
	v_ffbh_u32_e32 v8, v6
	v_min_u32_e32 v8, 32, v8
	v_subrev_u32_e32 v9, 29, v8
	v_bfe_u32 v7, v3, 2, 5
	v_lshlrev_b32_e32 v3, v9, v3
	v_sub_u32_e32 v8, 30, v8
	v_and_b32_e32 v3, 3, v3
	v_cmp_eq_u32_e32 vcc, 0, v7
	v_cndmask_b32_e32 v7, v7, v8, vcc
	v_cndmask_b32_e32 v3, v6, v3, vcc
	v_mov_b32_e32 v6, 0x37800000
	v_lshlrev_b32_e32 v3, 21, v3
	v_and_b32_e32 v2, 0x80000000, v2
	v_lshl_add_u32 v6, v7, 23, v6
	v_or3_b32 v2, v2, v6, v3
.LBB14_1096:
	s_or_b64 exec, exec, s[4:5]
	s_mov_b64 s[2:3], 0
	s_branch .LBB14_1102
.LBB14_1097:
                                        ; implicit-def: $vgpr2
	s_mov_b64 s[2:3], 0
	s_branch .LBB14_1108
.LBB14_1098:
	s_or_saveexec_b64 s[14:15], s[14:15]
	v_mov_b32_e32 v2, 0x7f800001
	s_xor_b64 exec, exec, s[14:15]
	s_cbranch_execz .LBB14_1082
.LBB14_1099:
	v_cmp_ne_u16_e32 vcc, 0, v3
	s_andn2_b64 s[4:5], s[4:5], exec
	s_and_b64 s[18:19], vcc, exec
	v_mov_b32_e32 v2, 0
	s_or_b64 s[4:5], s[4:5], s[18:19]
	s_or_b64 exec, exec, s[14:15]
	s_and_saveexec_b64 s[14:15], s[4:5]
	s_cbranch_execnz .LBB14_1083
	s_branch .LBB14_1084
.LBB14_1100:
	s_mov_b64 s[2:3], -1
                                        ; implicit-def: $vgpr2
	s_branch .LBB14_1105
.LBB14_1101:
	s_mov_b64 s[2:3], -1
                                        ; implicit-def: $vgpr2
.LBB14_1102:
	s_and_b64 vcc, exec, s[2:3]
	s_cbranch_vccz .LBB14_1104
; %bb.1103:
	global_load_ubyte v2, v[0:1], off
	s_mov_b32 s2, 0x7f800000
	s_waitcnt vmcnt(0)
	v_lshlrev_b32_e32 v2, 24, v2
	v_and_b32_e32 v3, 0x7f000000, v2
	v_ffbh_u32_e32 v6, v3
	v_min_u32_e32 v6, 32, v6
	v_sub_u32_e64 v6, v6, 4 clamp
	v_lshlrev_b32_e32 v8, v6, v3
	v_lshlrev_b32_e32 v6, 23, v6
	v_lshrrev_b32_e32 v8, 4, v8
	v_add_u32_e32 v7, 0x1000000, v3
	v_sub_u32_e32 v6, v8, v6
	v_ashrrev_i32_e32 v7, 8, v7
	v_add_u32_e32 v6, 0x3c000000, v6
	v_and_or_b32 v6, v7, s2, v6
	v_cmp_ne_u32_e32 vcc, 0, v3
	v_cndmask_b32_e32 v3, 0, v6, vcc
	s_brev_b32 s2, 1
	v_and_or_b32 v2, v2, s2, v3
.LBB14_1104:
	s_mov_b64 s[2:3], 0
.LBB14_1105:
	s_andn2_b64 vcc, exec, s[2:3]
	s_cbranch_vccnz .LBB14_1107
; %bb.1106:
	global_load_ubyte v2, v[0:1], off
	s_movk_i32 s2, 0x7f00
	s_brev_b32 s3, 16
	s_waitcnt vmcnt(0)
	v_lshlrev_b16_e32 v3, 8, v2
	v_lshlrev_b32_e32 v2, 25, v2
	v_lshrrev_b32_e32 v6, 4, v2
	v_and_or_b32 v7, v3, s2, 0.5
	v_or_b32_e32 v6, 0x70000000, v6
	v_add_f32_e32 v7, -0.5, v7
	v_mul_f32_e32 v6, 0x7800000, v6
	v_cmp_gt_u32_e32 vcc, s3, v2
	v_bfe_i32 v3, v3, 0, 16
	v_cndmask_b32_e32 v2, v6, v7, vcc
	s_brev_b32 s2, 1
	v_and_or_b32 v2, v3, s2, v2
.LBB14_1107:
	s_mov_b64 s[4:5], -1
	s_mov_b64 s[2:3], 0
	s_cbranch_execnz .LBB14_1118
.LBB14_1108:
	s_cmp_gt_i32 s22, 14
	s_cbranch_scc0 .LBB14_1111
; %bb.1109:
	s_cmp_eq_u32 s22, 15
	s_cbranch_scc0 .LBB14_1114
; %bb.1110:
	global_load_ushort v2, v[0:1], off
	s_mov_b64 s[0:1], 0
	s_mov_b64 s[4:5], -1
	s_waitcnt vmcnt(0)
	v_lshlrev_b32_e32 v2, 16, v2
	s_branch .LBB14_1115
.LBB14_1111:
	s_mov_b64 s[14:15], -1
                                        ; implicit-def: $vgpr2
	s_branch .LBB14_1116
.LBB14_1112:
	s_or_saveexec_b64 s[4:5], s[4:5]
	v_mov_b32_e32 v2, 0x7f800001
	s_xor_b64 exec, exec, s[4:5]
	s_cbranch_execz .LBB14_1094
.LBB14_1113:
	v_cmp_ne_u16_e32 vcc, 0, v3
	s_andn2_b64 s[2:3], s[2:3], exec
	s_and_b64 s[14:15], vcc, exec
	v_mov_b32_e32 v2, 0
	s_or_b64 s[2:3], s[2:3], s[14:15]
	s_or_b64 exec, exec, s[4:5]
	s_and_saveexec_b64 s[4:5], s[2:3]
	s_cbranch_execnz .LBB14_1095
	s_branch .LBB14_1096
.LBB14_1114:
	s_mov_b64 s[0:1], -1
                                        ; implicit-def: $vgpr2
.LBB14_1115:
	s_mov_b64 s[14:15], 0
.LBB14_1116:
	s_and_b64 vcc, exec, s[14:15]
	s_cbranch_vccz .LBB14_1118
; %bb.1117:
	s_cmp_lg_u32 s22, 11
	s_mov_b64 s[2:3], -1
	s_cselect_b64 s[0:1], -1, 0
.LBB14_1118:
	s_and_b64 vcc, exec, s[0:1]
	s_mov_b64 s[18:19], s[16:17]
	s_cbranch_vccnz .LBB14_1183
; %bb.1119:
	s_andn2_b64 vcc, exec, s[2:3]
	s_cbranch_vccnz .LBB14_1121
.LBB14_1120:
	global_load_ubyte v2, v[0:1], off
	s_mov_b64 s[4:5], -1
	s_waitcnt vmcnt(0)
	v_cmp_ne_u16_e32 vcc, 0, v2
	v_cndmask_b32_e64 v2, 0, 1.0, vcc
.LBB14_1121:
	s_branch .LBB14_1051
.LBB14_1122:
	s_cmp_lt_i32 s22, 5
	s_cbranch_scc1 .LBB14_1127
; %bb.1123:
	s_cmp_lt_i32 s22, 8
	s_cbranch_scc1 .LBB14_1128
; %bb.1124:
	;; [unrolled: 3-line block ×3, first 2 shown]
	s_cmp_gt_i32 s22, 9
	s_cbranch_scc0 .LBB14_1130
; %bb.1126:
	global_load_dwordx2 v[2:3], v[0:1], off
	s_mov_b64 s[0:1], 0
	s_waitcnt vmcnt(0)
	v_cvt_f32_f64_e32 v2, v[2:3]
	s_branch .LBB14_1131
.LBB14_1127:
                                        ; implicit-def: $vgpr2
	s_branch .LBB14_1148
.LBB14_1128:
                                        ; implicit-def: $vgpr2
	s_branch .LBB14_1137
.LBB14_1129:
	s_mov_b64 s[0:1], -1
                                        ; implicit-def: $vgpr2
	s_branch .LBB14_1134
.LBB14_1130:
	s_mov_b64 s[0:1], -1
                                        ; implicit-def: $vgpr2
.LBB14_1131:
	s_andn2_b64 vcc, exec, s[0:1]
	s_cbranch_vccnz .LBB14_1133
; %bb.1132:
	global_load_dword v2, v[0:1], off
.LBB14_1133:
	s_mov_b64 s[0:1], 0
.LBB14_1134:
	s_andn2_b64 vcc, exec, s[0:1]
	s_cbranch_vccnz .LBB14_1136
; %bb.1135:
	global_load_dword v2, v[0:1], off
	s_waitcnt vmcnt(0)
	v_cvt_f32_f16_e32 v2, v2
.LBB14_1136:
	s_cbranch_execnz .LBB14_1147
.LBB14_1137:
	s_cmp_lt_i32 s22, 6
	s_cbranch_scc1 .LBB14_1140
; %bb.1138:
	s_cmp_gt_i32 s22, 6
	s_cbranch_scc0 .LBB14_1141
; %bb.1139:
	global_load_dwordx2 v[2:3], v[0:1], off
	s_mov_b64 s[0:1], 0
	s_waitcnt vmcnt(0)
	v_cvt_f32_f64_e32 v2, v[2:3]
	s_branch .LBB14_1142
.LBB14_1140:
	s_mov_b64 s[0:1], -1
                                        ; implicit-def: $vgpr2
	s_branch .LBB14_1145
.LBB14_1141:
	s_mov_b64 s[0:1], -1
                                        ; implicit-def: $vgpr2
.LBB14_1142:
	s_andn2_b64 vcc, exec, s[0:1]
	s_cbranch_vccnz .LBB14_1144
; %bb.1143:
	global_load_dword v2, v[0:1], off
.LBB14_1144:
	s_mov_b64 s[0:1], 0
.LBB14_1145:
	s_andn2_b64 vcc, exec, s[0:1]
	s_cbranch_vccnz .LBB14_1147
; %bb.1146:
	global_load_ushort v2, v[0:1], off
	s_waitcnt vmcnt(0)
	v_cvt_f32_f16_e32 v2, v2
.LBB14_1147:
	s_cbranch_execnz .LBB14_1166
.LBB14_1148:
	s_cmp_lt_i32 s22, 2
	s_cbranch_scc1 .LBB14_1152
; %bb.1149:
	s_cmp_lt_i32 s22, 3
	s_cbranch_scc1 .LBB14_1153
; %bb.1150:
	s_cmp_gt_i32 s22, 3
	s_cbranch_scc0 .LBB14_1154
; %bb.1151:
	global_load_dwordx2 v[2:3], v[0:1], off
	s_mov_b64 s[0:1], 0
	s_waitcnt vmcnt(0)
	v_xor_b32_e32 v7, v2, v3
	v_ffbh_i32_e32 v6, v3
	v_ashrrev_i32_e32 v7, 31, v7
	v_add_u32_e32 v6, -1, v6
	v_add_u32_e32 v7, 32, v7
	v_min_u32_e32 v6, v6, v7
	v_lshlrev_b64 v[2:3], v6, v[2:3]
	v_min_u32_e32 v2, 1, v2
	v_or_b32_e32 v2, v3, v2
	v_cvt_f32_i32_e32 v2, v2
	v_sub_u32_e32 v3, 32, v6
	v_ldexp_f32 v2, v2, v3
	s_branch .LBB14_1155
.LBB14_1152:
                                        ; implicit-def: $vgpr2
	s_branch .LBB14_1161
.LBB14_1153:
	s_mov_b64 s[0:1], -1
                                        ; implicit-def: $vgpr2
	s_branch .LBB14_1158
.LBB14_1154:
	s_mov_b64 s[0:1], -1
                                        ; implicit-def: $vgpr2
.LBB14_1155:
	s_andn2_b64 vcc, exec, s[0:1]
	s_cbranch_vccnz .LBB14_1157
; %bb.1156:
	global_load_dword v2, v[0:1], off
	s_waitcnt vmcnt(0)
	v_cvt_f32_i32_e32 v2, v2
.LBB14_1157:
	s_mov_b64 s[0:1], 0
.LBB14_1158:
	s_andn2_b64 vcc, exec, s[0:1]
	s_cbranch_vccnz .LBB14_1160
; %bb.1159:
	global_load_sshort v2, v[0:1], off
	s_waitcnt vmcnt(0)
	v_cvt_f32_i32_e32 v2, v2
.LBB14_1160:
	s_cbranch_execnz .LBB14_1166
.LBB14_1161:
	s_cmp_gt_i32 s22, 0
	s_cbranch_scc0 .LBB14_1163
; %bb.1162:
	global_load_sbyte v2, v[0:1], off
	s_mov_b64 s[0:1], 0
	s_waitcnt vmcnt(0)
	v_cvt_f32_i32_e32 v2, v2
	s_branch .LBB14_1164
.LBB14_1163:
	s_mov_b64 s[0:1], -1
                                        ; implicit-def: $vgpr2
.LBB14_1164:
	s_andn2_b64 vcc, exec, s[0:1]
	s_cbranch_vccnz .LBB14_1166
; %bb.1165:
	global_load_ubyte v0, v[0:1], off
	s_waitcnt vmcnt(0)
	v_cvt_f32_ubyte0_e32 v2, v0
.LBB14_1166:
.LBB14_1167:
	s_brev_b32 s0, 18
	s_waitcnt vmcnt(0)
	v_and_b32_e32 v3, 0x7fffffff, v2
	v_cmp_nlt_f32_e64 s[0:1], |v2|, s0
                                        ; implicit-def: $vgpr8
                                        ; implicit-def: $vgpr9
	s_and_saveexec_b64 s[2:3], s[0:1]
	s_xor_b64 s[14:15], exec, s[2:3]
	s_cbranch_execz .LBB14_1169
; %bb.1168:
	v_and_b32_e32 v0, 0x7fffff, v3
	v_or_b32_e32 v14, 0x800000, v0
	s_mov_b32 s0, 0xfe5163ab
	v_mad_u64_u32 v[0:1], s[0:1], v14, s0, 0
	v_mov_b32_e32 v7, 0
	s_mov_b32 s0, 0x3c439041
	v_mov_b32_e32 v6, v1
	v_mad_u64_u32 v[8:9], s[0:1], v14, s0, v[6:7]
	s_mov_b32 s0, 0xdb629599
	v_lshrrev_b32_e32 v1, 23, v3
	v_mov_b32_e32 v6, v9
	v_mad_u64_u32 v[9:10], s[0:1], v14, s0, v[6:7]
	s_mov_b32 s0, 0xf534ddc0
	v_add_u32_e32 v1, 0xffffff88, v1
	v_mov_b32_e32 v6, v10
	v_mad_u64_u32 v[10:11], s[0:1], v14, s0, v[6:7]
	s_mov_b32 s0, 0xfc2757d1
	v_not_b32_e32 v13, 63
	v_mov_b32_e32 v6, v11
	v_mad_u64_u32 v[11:12], s[0:1], v14, s0, v[6:7]
	v_cmp_lt_u32_e32 vcc, 63, v1
	v_cndmask_b32_e32 v6, 0, v13, vcc
	v_add_u32_e32 v1, v6, v1
	v_mov_b32_e32 v6, v12
	s_mov_b32 s0, 0x4e441529
	v_mad_u64_u32 v[12:13], s[0:1], v14, s0, v[6:7]
	v_not_b32_e32 v15, 31
	v_cmp_lt_u32_e64 s[0:1], 31, v1
	v_cndmask_b32_e64 v6, 0, v15, s[0:1]
	v_add_u32_e32 v1, v6, v1
	v_mov_b32_e32 v6, v13
	s_mov_b32 s2, 0xa2f9836e
	v_mad_u64_u32 v[6:7], s[2:3], v14, s2, v[6:7]
	v_cmp_lt_u32_e64 s[2:3], 31, v1
	v_cndmask_b32_e64 v13, 0, v15, s[2:3]
	v_add_u32_e32 v1, v13, v1
	v_cndmask_b32_e32 v13, v12, v10, vcc
	v_cndmask_b32_e32 v6, v6, v11, vcc
	;; [unrolled: 1-line block ×3, first 2 shown]
	v_cndmask_b32_e64 v14, v6, v13, s[0:1]
	v_cndmask_b32_e64 v6, v7, v6, s[0:1]
	v_cndmask_b32_e32 v7, v11, v9, vcc
	v_cndmask_b32_e64 v11, v13, v7, s[0:1]
	v_cndmask_b32_e64 v6, v6, v14, s[2:3]
	;; [unrolled: 1-line block ×3, first 2 shown]
	v_sub_u32_e32 v13, 32, v1
	v_alignbit_b32 v14, v6, v12, v13
	v_cmp_eq_u32_e64 s[4:5], 0, v1
	v_cndmask_b32_e64 v1, v14, v6, s[4:5]
	v_cndmask_b32_e32 v6, v10, v8, vcc
	v_cndmask_b32_e64 v7, v7, v6, s[0:1]
	v_cndmask_b32_e64 v8, v11, v7, s[2:3]
	v_alignbit_b32 v10, v12, v8, v13
	v_cndmask_b32_e32 v0, v9, v0, vcc
	v_cndmask_b32_e64 v10, v10, v12, s[4:5]
	v_bfe_u32 v14, v1, 29, 1
	v_cndmask_b32_e64 v0, v6, v0, s[0:1]
	v_alignbit_b32 v11, v1, v10, 30
	v_sub_u32_e32 v15, 0, v14
	v_cndmask_b32_e64 v0, v7, v0, s[2:3]
	v_xor_b32_e32 v11, v11, v15
	v_alignbit_b32 v6, v8, v0, v13
	v_cndmask_b32_e64 v6, v6, v8, s[4:5]
	v_ffbh_u32_e32 v8, v11
	v_alignbit_b32 v7, v10, v6, 30
	v_min_u32_e32 v8, 32, v8
	v_alignbit_b32 v0, v6, v0, 30
	v_xor_b32_e32 v7, v7, v15
	v_sub_u32_e32 v9, 31, v8
	v_xor_b32_e32 v0, v0, v15
	v_alignbit_b32 v10, v11, v7, v9
	v_alignbit_b32 v0, v7, v0, v9
	;; [unrolled: 1-line block ×3, first 2 shown]
	v_ffbh_u32_e32 v7, v6
	v_min_u32_e32 v7, 32, v7
	v_lshrrev_b32_e32 v12, 29, v1
	v_not_b32_e32 v9, v7
	v_alignbit_b32 v0, v6, v0, v9
	v_lshlrev_b32_e32 v6, 31, v12
	v_or_b32_e32 v9, 0x33000000, v6
	v_add_lshl_u32 v7, v7, v8, 23
	v_lshrrev_b32_e32 v0, 9, v0
	v_sub_u32_e32 v7, v9, v7
	v_or_b32_e32 v6, 0.5, v6
	v_lshlrev_b32_e32 v8, 23, v8
	v_or_b32_e32 v0, v7, v0
	v_lshrrev_b32_e32 v7, 9, v10
	v_sub_u32_e32 v6, v6, v8
	v_or_b32_e32 v6, v7, v6
	s_mov_b32 s0, 0x3fc90fda
	v_mul_f32_e32 v7, 0x3fc90fda, v6
	v_fma_f32 v8, v6, s0, -v7
	v_fmac_f32_e32 v8, 0x33a22168, v6
	v_fmac_f32_e32 v8, 0x3fc90fda, v0
	v_lshrrev_b32_e32 v0, 30, v1
	v_add_f32_e32 v9, v7, v8
	v_add_u32_e32 v8, v14, v0
.LBB14_1169:
	s_andn2_saveexec_b64 s[0:1], s[14:15]
	s_cbranch_execz .LBB14_1171
; %bb.1170:
	s_mov_b32 s2, 0x3f22f983
	v_mul_f32_e64 v0, |v2|, s2
	v_rndne_f32_e32 v0, v0
	s_mov_b32 s2, 0xbfc90fda
	v_cvt_i32_f32_e32 v8, v0
	v_fma_f32 v9, v0, s2, |v2|
	v_fmac_f32_e32 v9, 0xb3a22168, v0
	v_fmac_f32_e32 v9, 0xa7c234c4, v0
.LBB14_1171:
	s_or_b64 exec, exec, s[0:1]
	s_lshl_b32 s13, s13, 7
	v_add_u32_e32 v6, s13, v5
	v_ashrrev_i32_e32 v1, 31, v6
	v_mov_b32_e32 v5, s11
	v_add_co_u32_e32 v0, vcc, s10, v6
	s_cmp_lt_i32 s22, 11
	v_addc_co_u32_e32 v1, vcc, v5, v1, vcc
	s_cbranch_scc1 .LBB14_1178
; %bb.1172:
	s_cmp_gt_i32 s22, 25
	s_mov_b64 s[2:3], 0
	s_cbranch_scc0 .LBB14_1180
; %bb.1173:
	s_cmp_gt_i32 s22, 28
	s_cbranch_scc0 .LBB14_1181
; %bb.1174:
	s_cmp_gt_i32 s22, 43
	;; [unrolled: 3-line block ×3, first 2 shown]
	s_cbranch_scc0 .LBB14_1184
; %bb.1176:
	s_cmp_eq_u32 s22, 46
	s_mov_b64 s[14:15], 0
	s_cbranch_scc0 .LBB14_1187
; %bb.1177:
	global_load_dword v5, v[0:1], off
	s_mov_b64 s[0:1], 0
	s_mov_b64 s[4:5], -1
	s_waitcnt vmcnt(0)
	v_lshlrev_b32_e32 v5, 16, v5
	s_branch .LBB14_1188
.LBB14_1178:
	s_mov_b64 s[4:5], 0
                                        ; implicit-def: $vgpr5
	s_cbranch_execnz .LBB14_1253
.LBB14_1179:
	s_andn2_b64 vcc, exec, s[4:5]
	s_cbranch_vccnz .LBB14_2004
	s_branch .LBB14_1300
.LBB14_1180:
	s_mov_b64 s[4:5], 0
	s_mov_b64 s[0:1], 0
                                        ; implicit-def: $vgpr5
	s_cbranch_execnz .LBB14_1217
	s_branch .LBB14_1249
.LBB14_1181:
	s_mov_b64 s[14:15], -1
	s_mov_b64 s[4:5], 0
	s_mov_b64 s[0:1], 0
                                        ; implicit-def: $vgpr5
	s_branch .LBB14_1198
.LBB14_1182:
	s_mov_b64 s[14:15], -1
	s_mov_b64 s[4:5], 0
	s_mov_b64 s[0:1], 0
                                        ; implicit-def: $vgpr5
	s_branch .LBB14_1193
.LBB14_1183:
	s_or_b64 s[18:19], s[16:17], exec
	s_trap 2
	s_cbranch_execz .LBB14_1120
	s_branch .LBB14_1121
.LBB14_1184:
	s_mov_b64 s[14:15], -1
	s_mov_b64 s[4:5], 0
	s_mov_b64 s[0:1], 0
                                        ; implicit-def: $vgpr5
	s_branch .LBB14_1188
.LBB14_1185:
	s_andn2_saveexec_b64 s[24:25], s[24:25]
	s_cbranch_execz .LBB14_967
.LBB14_1186:
	s_mov_b32 s28, 0x42800000
	v_add_f32_e64 v3, |v2|, s28
	v_and_b32_e32 v3, 0xff, v3
	v_cmp_ne_u32_e32 vcc, 0, v3
	s_andn2_b64 s[22:23], s[22:23], exec
	s_and_b64 s[28:29], vcc, exec
	s_or_b64 s[22:23], s[22:23], s[28:29]
	s_or_b64 exec, exec, s[24:25]
	v_mov_b32_e32 v4, 0
	s_and_saveexec_b64 s[24:25], s[22:23]
	s_cbranch_execnz .LBB14_968
	s_branch .LBB14_969
.LBB14_1187:
	s_mov_b64 s[0:1], -1
                                        ; implicit-def: $vgpr5
	s_mov_b64 s[4:5], 0
.LBB14_1188:
	s_and_b64 vcc, exec, s[14:15]
	s_cbranch_vccz .LBB14_1192
; %bb.1189:
	s_cmp_eq_u32 s22, 44
	s_cbranch_scc0 .LBB14_1191
; %bb.1190:
	global_load_ubyte v5, v[0:1], off
	s_movk_i32 s4, 0xff
	v_mov_b32_e32 v7, 0x7f800001
	v_mov_b32_e32 v10, 0x400000
	s_mov_b64 s[0:1], 0
	s_waitcnt vmcnt(0)
	v_lshlrev_b32_e32 v11, 23, v5
	v_cmp_ne_u32_e32 vcc, s4, v5
	v_cndmask_b32_e32 v7, v7, v11, vcc
	v_cmp_ne_u32_e32 vcc, 0, v5
	v_cndmask_b32_e32 v5, v10, v7, vcc
	s_mov_b64 s[4:5], -1
	s_branch .LBB14_1192
.LBB14_1191:
	s_mov_b64 s[0:1], -1
                                        ; implicit-def: $vgpr5
.LBB14_1192:
	s_mov_b64 s[14:15], 0
.LBB14_1193:
	s_and_b64 vcc, exec, s[14:15]
	s_cbranch_vccz .LBB14_1197
; %bb.1194:
	s_cmp_eq_u32 s22, 29
	s_cbranch_scc0 .LBB14_1196
; %bb.1195:
	global_load_dwordx2 v[10:11], v[0:1], off
	s_mov_b64 s[0:1], 0
	s_mov_b64 s[4:5], -1
	s_mov_b64 s[14:15], 0
	s_waitcnt vmcnt(0)
	v_ffbh_u32_e32 v5, v11
	v_min_u32_e32 v5, 32, v5
	v_lshlrev_b64 v[10:11], v5, v[10:11]
	v_sub_u32_e32 v5, 32, v5
	v_min_u32_e32 v7, 1, v10
	v_or_b32_e32 v7, v11, v7
	v_cvt_f32_u32_e32 v7, v7
	v_ldexp_f32 v5, v7, v5
	s_branch .LBB14_1198
.LBB14_1196:
	s_mov_b64 s[0:1], -1
                                        ; implicit-def: $vgpr5
.LBB14_1197:
	s_mov_b64 s[14:15], 0
.LBB14_1198:
	s_and_b64 vcc, exec, s[14:15]
	s_cbranch_vccz .LBB14_1216
; %bb.1199:
	s_cmp_lt_i32 s22, 27
	s_cbranch_scc1 .LBB14_1202
; %bb.1200:
	s_cmp_gt_i32 s22, 27
	s_cbranch_scc0 .LBB14_1203
; %bb.1201:
	global_load_dword v5, v[0:1], off
	s_mov_b64 s[4:5], 0
	s_waitcnt vmcnt(0)
	v_cvt_f32_u32_e32 v5, v5
	s_branch .LBB14_1204
.LBB14_1202:
	s_mov_b64 s[4:5], -1
                                        ; implicit-def: $vgpr5
	s_branch .LBB14_1207
.LBB14_1203:
	s_mov_b64 s[4:5], -1
                                        ; implicit-def: $vgpr5
.LBB14_1204:
	s_andn2_b64 vcc, exec, s[4:5]
	s_cbranch_vccnz .LBB14_1206
; %bb.1205:
	global_load_ushort v5, v[0:1], off
	s_waitcnt vmcnt(0)
	v_cvt_f32_u32_e32 v5, v5
.LBB14_1206:
	s_mov_b64 s[4:5], 0
.LBB14_1207:
	s_andn2_b64 vcc, exec, s[4:5]
	s_cbranch_vccnz .LBB14_1215
; %bb.1208:
	global_load_ubyte v7, v[0:1], off
	s_movk_i32 s4, 0x7f
	s_waitcnt vmcnt(0)
	v_cmp_lt_i16_e32 vcc, s4, v7
	s_mov_b64 s[4:5], 0
	s_and_saveexec_b64 s[14:15], vcc
	s_xor_b64 s[14:15], exec, s[14:15]
	s_cbranch_execz .LBB14_1228
; %bb.1209:
	s_movk_i32 s4, 0x80
	v_cmp_eq_u16_e32 vcc, s4, v7
	s_mov_b64 s[4:5], -1
	s_and_saveexec_b64 s[20:21], vcc
; %bb.1210:
	s_xor_b64 s[4:5], exec, -1
; %bb.1211:
	s_or_b64 exec, exec, s[20:21]
	s_and_b64 s[4:5], s[4:5], exec
	s_or_saveexec_b64 s[14:15], s[14:15]
	v_mov_b32_e32 v5, 0x7f800001
	s_xor_b64 exec, exec, s[14:15]
	s_cbranch_execnz .LBB14_1229
.LBB14_1212:
	s_or_b64 exec, exec, s[14:15]
	s_and_saveexec_b64 s[14:15], s[4:5]
	s_cbranch_execz .LBB14_1214
.LBB14_1213:
	v_lshlrev_b32_e32 v5, 24, v7
	v_and_b32_e32 v7, 0xffff, v7
	v_and_b32_e32 v10, 7, v7
	v_ffbh_u32_e32 v12, v10
	v_min_u32_e32 v12, 32, v12
	v_subrev_u32_e32 v13, 28, v12
	v_bfe_u32 v11, v7, 3, 4
	v_lshlrev_b32_e32 v7, v13, v7
	v_sub_u32_e32 v12, 29, v12
	v_and_b32_e32 v7, 7, v7
	v_cmp_eq_u32_e32 vcc, 0, v11
	v_cndmask_b32_e32 v11, v11, v12, vcc
	v_cndmask_b32_e32 v7, v10, v7, vcc
	v_mov_b32_e32 v10, 0x3b800000
	v_lshlrev_b32_e32 v7, 20, v7
	v_and_b32_e32 v5, 0x80000000, v5
	v_lshl_add_u32 v10, v11, 23, v10
	v_or3_b32 v5, v5, v10, v7
.LBB14_1214:
	s_or_b64 exec, exec, s[14:15]
.LBB14_1215:
	s_mov_b64 s[4:5], -1
.LBB14_1216:
	s_branch .LBB14_1249
.LBB14_1217:
	s_cmp_gt_i32 s22, 22
	s_cbranch_scc0 .LBB14_1227
; %bb.1218:
	s_cmp_lt_i32 s22, 24
	s_cbranch_scc1 .LBB14_1230
; %bb.1219:
	s_cmp_gt_i32 s22, 24
	s_cbranch_scc0 .LBB14_1231
; %bb.1220:
	global_load_ubyte v7, v[0:1], off
	s_movk_i32 s2, 0x7f
	s_waitcnt vmcnt(0)
	v_cmp_lt_i16_e32 vcc, s2, v7
	s_mov_b64 s[2:3], 0
	s_and_saveexec_b64 s[4:5], vcc
	s_xor_b64 s[4:5], exec, s[4:5]
	s_cbranch_execz .LBB14_1243
; %bb.1221:
	s_movk_i32 s2, 0x80
	v_cmp_eq_u16_e32 vcc, s2, v7
	s_mov_b64 s[2:3], -1
	s_and_saveexec_b64 s[14:15], vcc
; %bb.1222:
	s_xor_b64 s[2:3], exec, -1
; %bb.1223:
	s_or_b64 exec, exec, s[14:15]
	s_and_b64 s[2:3], s[2:3], exec
	s_or_saveexec_b64 s[4:5], s[4:5]
	v_mov_b32_e32 v5, 0x7f800001
	s_xor_b64 exec, exec, s[4:5]
	s_cbranch_execnz .LBB14_1244
.LBB14_1224:
	s_or_b64 exec, exec, s[4:5]
	s_and_saveexec_b64 s[4:5], s[2:3]
	s_cbranch_execz .LBB14_1226
.LBB14_1225:
	v_lshlrev_b32_e32 v5, 24, v7
	v_and_b32_e32 v7, 0xffff, v7
	v_and_b32_e32 v10, 3, v7
	v_ffbh_u32_e32 v12, v10
	v_min_u32_e32 v12, 32, v12
	v_subrev_u32_e32 v13, 29, v12
	v_bfe_u32 v11, v7, 2, 5
	v_lshlrev_b32_e32 v7, v13, v7
	v_sub_u32_e32 v12, 30, v12
	v_and_b32_e32 v7, 3, v7
	v_cmp_eq_u32_e32 vcc, 0, v11
	v_cndmask_b32_e32 v11, v11, v12, vcc
	v_cndmask_b32_e32 v7, v10, v7, vcc
	v_mov_b32_e32 v10, 0x37800000
	v_lshlrev_b32_e32 v7, 21, v7
	v_and_b32_e32 v5, 0x80000000, v5
	v_lshl_add_u32 v10, v11, 23, v10
	v_or3_b32 v5, v5, v10, v7
.LBB14_1226:
	s_or_b64 exec, exec, s[4:5]
	s_mov_b64 s[2:3], 0
	s_branch .LBB14_1232
.LBB14_1227:
	s_mov_b64 s[2:3], -1
                                        ; implicit-def: $vgpr5
	s_branch .LBB14_1238
.LBB14_1228:
	s_or_saveexec_b64 s[14:15], s[14:15]
	v_mov_b32_e32 v5, 0x7f800001
	s_xor_b64 exec, exec, s[14:15]
	s_cbranch_execz .LBB14_1212
.LBB14_1229:
	v_cmp_ne_u16_e32 vcc, 0, v7
	s_andn2_b64 s[4:5], s[4:5], exec
	s_and_b64 s[20:21], vcc, exec
	v_mov_b32_e32 v5, 0
	s_or_b64 s[4:5], s[4:5], s[20:21]
	s_or_b64 exec, exec, s[14:15]
	s_and_saveexec_b64 s[14:15], s[4:5]
	s_cbranch_execnz .LBB14_1213
	s_branch .LBB14_1214
.LBB14_1230:
	s_mov_b64 s[2:3], -1
                                        ; implicit-def: $vgpr5
	s_branch .LBB14_1235
.LBB14_1231:
	s_mov_b64 s[2:3], -1
                                        ; implicit-def: $vgpr5
.LBB14_1232:
	s_and_b64 vcc, exec, s[2:3]
	s_cbranch_vccz .LBB14_1234
; %bb.1233:
	global_load_ubyte v5, v[0:1], off
	s_mov_b32 s2, 0x7f800000
	s_waitcnt vmcnt(0)
	v_lshlrev_b32_e32 v5, 24, v5
	v_and_b32_e32 v7, 0x7f000000, v5
	v_ffbh_u32_e32 v10, v7
	v_min_u32_e32 v10, 32, v10
	v_sub_u32_e64 v10, v10, 4 clamp
	v_lshlrev_b32_e32 v12, v10, v7
	v_lshlrev_b32_e32 v10, 23, v10
	v_lshrrev_b32_e32 v12, 4, v12
	v_add_u32_e32 v11, 0x1000000, v7
	v_sub_u32_e32 v10, v12, v10
	v_ashrrev_i32_e32 v11, 8, v11
	v_add_u32_e32 v10, 0x3c000000, v10
	v_and_or_b32 v10, v11, s2, v10
	v_cmp_ne_u32_e32 vcc, 0, v7
	v_cndmask_b32_e32 v7, 0, v10, vcc
	s_brev_b32 s2, 1
	v_and_or_b32 v5, v5, s2, v7
.LBB14_1234:
	s_mov_b64 s[2:3], 0
.LBB14_1235:
	s_andn2_b64 vcc, exec, s[2:3]
	s_cbranch_vccnz .LBB14_1237
; %bb.1236:
	global_load_ubyte v5, v[0:1], off
	s_movk_i32 s2, 0x7f00
	s_brev_b32 s3, 16
	s_waitcnt vmcnt(0)
	v_lshlrev_b16_e32 v7, 8, v5
	v_lshlrev_b32_e32 v5, 25, v5
	v_lshrrev_b32_e32 v10, 4, v5
	v_and_or_b32 v11, v7, s2, 0.5
	v_or_b32_e32 v10, 0x70000000, v10
	v_add_f32_e32 v11, -0.5, v11
	v_mul_f32_e32 v10, 0x7800000, v10
	v_cmp_gt_u32_e32 vcc, s3, v5
	v_bfe_i32 v7, v7, 0, 16
	v_cndmask_b32_e32 v5, v10, v11, vcc
	s_brev_b32 s2, 1
	v_and_or_b32 v5, v7, s2, v5
.LBB14_1237:
	s_mov_b64 s[2:3], 0
	s_mov_b64 s[4:5], -1
.LBB14_1238:
	s_andn2_b64 vcc, exec, s[2:3]
	s_mov_b64 s[2:3], 0
	s_cbranch_vccnz .LBB14_1249
; %bb.1239:
	s_cmp_gt_i32 s22, 14
	s_cbranch_scc0 .LBB14_1242
; %bb.1240:
	s_cmp_eq_u32 s22, 15
	s_cbranch_scc0 .LBB14_1245
; %bb.1241:
	global_load_ushort v5, v[0:1], off
	s_mov_b64 s[0:1], 0
	s_mov_b64 s[4:5], -1
	s_waitcnt vmcnt(0)
	v_lshlrev_b32_e32 v5, 16, v5
	s_branch .LBB14_1246
.LBB14_1242:
	s_mov_b64 s[14:15], -1
                                        ; implicit-def: $vgpr5
	s_branch .LBB14_1247
.LBB14_1243:
	s_or_saveexec_b64 s[4:5], s[4:5]
	v_mov_b32_e32 v5, 0x7f800001
	s_xor_b64 exec, exec, s[4:5]
	s_cbranch_execz .LBB14_1224
.LBB14_1244:
	v_cmp_ne_u16_e32 vcc, 0, v7
	s_andn2_b64 s[2:3], s[2:3], exec
	s_and_b64 s[14:15], vcc, exec
	v_mov_b32_e32 v5, 0
	s_or_b64 s[2:3], s[2:3], s[14:15]
	s_or_b64 exec, exec, s[4:5]
	s_and_saveexec_b64 s[4:5], s[2:3]
	s_cbranch_execnz .LBB14_1225
	s_branch .LBB14_1226
.LBB14_1245:
	s_mov_b64 s[0:1], -1
                                        ; implicit-def: $vgpr5
.LBB14_1246:
	s_mov_b64 s[14:15], 0
.LBB14_1247:
	s_and_b64 vcc, exec, s[14:15]
	s_cbranch_vccz .LBB14_1249
; %bb.1248:
	s_cmp_lg_u32 s22, 11
	s_mov_b64 s[2:3], -1
	s_cselect_b64 s[0:1], -1, 0
.LBB14_1249:
	s_and_b64 vcc, exec, s[0:1]
	s_cbranch_vccnz .LBB14_1316
; %bb.1250:
	s_andn2_b64 vcc, exec, s[2:3]
	s_cbranch_vccnz .LBB14_1252
.LBB14_1251:
	global_load_ubyte v5, v[0:1], off
	s_mov_b64 s[4:5], -1
	s_waitcnt vmcnt(0)
	v_cmp_ne_u16_e32 vcc, 0, v5
	v_cndmask_b32_e64 v5, 0, 1.0, vcc
.LBB14_1252:
	s_branch .LBB14_1179
.LBB14_1253:
	s_cmp_lt_i32 s22, 5
	s_cbranch_scc1 .LBB14_1258
; %bb.1254:
	s_cmp_lt_i32 s22, 8
	s_cbranch_scc1 .LBB14_1259
; %bb.1255:
	;; [unrolled: 3-line block ×3, first 2 shown]
	s_cmp_gt_i32 s22, 9
	s_cbranch_scc0 .LBB14_1261
; %bb.1257:
	global_load_dwordx2 v[10:11], v[0:1], off
	s_mov_b64 s[0:1], 0
	s_waitcnt vmcnt(0)
	v_cvt_f32_f64_e32 v5, v[10:11]
	s_branch .LBB14_1262
.LBB14_1258:
                                        ; implicit-def: $vgpr5
	s_branch .LBB14_1280
.LBB14_1259:
	s_mov_b64 s[0:1], -1
                                        ; implicit-def: $vgpr5
	s_branch .LBB14_1268
.LBB14_1260:
	s_mov_b64 s[0:1], -1
                                        ; implicit-def: $vgpr5
	s_branch .LBB14_1265
.LBB14_1261:
	s_mov_b64 s[0:1], -1
                                        ; implicit-def: $vgpr5
.LBB14_1262:
	s_andn2_b64 vcc, exec, s[0:1]
	s_cbranch_vccnz .LBB14_1264
; %bb.1263:
	global_load_dword v5, v[0:1], off
.LBB14_1264:
	s_mov_b64 s[0:1], 0
.LBB14_1265:
	s_andn2_b64 vcc, exec, s[0:1]
	s_cbranch_vccnz .LBB14_1267
; %bb.1266:
	global_load_dword v5, v[0:1], off
	s_waitcnt vmcnt(0)
	v_cvt_f32_f16_e32 v5, v5
.LBB14_1267:
	s_mov_b64 s[0:1], 0
.LBB14_1268:
	s_andn2_b64 vcc, exec, s[0:1]
	s_cbranch_vccnz .LBB14_1279
; %bb.1269:
	s_cmp_lt_i32 s22, 6
	s_cbranch_scc1 .LBB14_1272
; %bb.1270:
	s_cmp_gt_i32 s22, 6
	s_cbranch_scc0 .LBB14_1273
; %bb.1271:
	global_load_dwordx2 v[10:11], v[0:1], off
	s_mov_b64 s[0:1], 0
	s_waitcnt vmcnt(0)
	v_cvt_f32_f64_e32 v5, v[10:11]
	s_branch .LBB14_1274
.LBB14_1272:
	s_mov_b64 s[0:1], -1
                                        ; implicit-def: $vgpr5
	s_branch .LBB14_1277
.LBB14_1273:
	s_mov_b64 s[0:1], -1
                                        ; implicit-def: $vgpr5
.LBB14_1274:
	s_andn2_b64 vcc, exec, s[0:1]
	s_cbranch_vccnz .LBB14_1276
; %bb.1275:
	global_load_dword v5, v[0:1], off
.LBB14_1276:
	s_mov_b64 s[0:1], 0
.LBB14_1277:
	s_andn2_b64 vcc, exec, s[0:1]
	s_cbranch_vccnz .LBB14_1279
; %bb.1278:
	global_load_ushort v5, v[0:1], off
	s_waitcnt vmcnt(0)
	v_cvt_f32_f16_e32 v5, v5
.LBB14_1279:
	s_cbranch_execnz .LBB14_1299
.LBB14_1280:
	s_cmp_lt_i32 s22, 2
	s_cbranch_scc1 .LBB14_1284
; %bb.1281:
	s_cmp_lt_i32 s22, 3
	s_cbranch_scc1 .LBB14_1285
; %bb.1282:
	s_cmp_gt_i32 s22, 3
	s_cbranch_scc0 .LBB14_1286
; %bb.1283:
	global_load_dwordx2 v[10:11], v[0:1], off
	s_mov_b64 s[0:1], 0
	s_waitcnt vmcnt(0)
	v_xor_b32_e32 v7, v10, v11
	v_ffbh_i32_e32 v5, v11
	v_ashrrev_i32_e32 v7, 31, v7
	v_add_u32_e32 v5, -1, v5
	v_add_u32_e32 v7, 32, v7
	v_min_u32_e32 v5, v5, v7
	v_lshlrev_b64 v[10:11], v5, v[10:11]
	v_sub_u32_e32 v5, 32, v5
	v_min_u32_e32 v7, 1, v10
	v_or_b32_e32 v7, v11, v7
	v_cvt_f32_i32_e32 v7, v7
	v_ldexp_f32 v5, v7, v5
	s_branch .LBB14_1287
.LBB14_1284:
	s_mov_b64 s[0:1], -1
                                        ; implicit-def: $vgpr5
	s_branch .LBB14_1293
.LBB14_1285:
	s_mov_b64 s[0:1], -1
                                        ; implicit-def: $vgpr5
	s_branch .LBB14_1290
.LBB14_1286:
	s_mov_b64 s[0:1], -1
                                        ; implicit-def: $vgpr5
.LBB14_1287:
	s_andn2_b64 vcc, exec, s[0:1]
	s_cbranch_vccnz .LBB14_1289
; %bb.1288:
	global_load_dword v5, v[0:1], off
	s_waitcnt vmcnt(0)
	v_cvt_f32_i32_e32 v5, v5
.LBB14_1289:
	s_mov_b64 s[0:1], 0
.LBB14_1290:
	s_andn2_b64 vcc, exec, s[0:1]
	s_cbranch_vccnz .LBB14_1292
; %bb.1291:
	global_load_sshort v5, v[0:1], off
	s_waitcnt vmcnt(0)
	v_cvt_f32_i32_e32 v5, v5
.LBB14_1292:
	s_mov_b64 s[0:1], 0
.LBB14_1293:
	s_andn2_b64 vcc, exec, s[0:1]
	s_cbranch_vccnz .LBB14_1299
; %bb.1294:
	s_cmp_gt_i32 s22, 0
	s_cbranch_scc0 .LBB14_1296
; %bb.1295:
	global_load_sbyte v5, v[0:1], off
	s_mov_b64 s[0:1], 0
	s_waitcnt vmcnt(0)
	v_cvt_f32_i32_e32 v5, v5
	s_branch .LBB14_1297
.LBB14_1296:
	s_mov_b64 s[0:1], -1
                                        ; implicit-def: $vgpr5
.LBB14_1297:
	s_andn2_b64 vcc, exec, s[0:1]
	s_cbranch_vccnz .LBB14_1299
; %bb.1298:
	global_load_ubyte v0, v[0:1], off
	s_waitcnt vmcnt(0)
	v_cvt_f32_ubyte0_e32 v5, v0
.LBB14_1299:
.LBB14_1300:
	s_brev_b32 s0, 18
	s_waitcnt vmcnt(0)
	v_and_b32_e32 v10, 0x7fffffff, v5
	v_cmp_nlt_f32_e64 s[0:1], |v5|, s0
                                        ; implicit-def: $vgpr11
                                        ; implicit-def: $vgpr12
	s_and_saveexec_b64 s[2:3], s[0:1]
	s_xor_b64 s[14:15], exec, s[2:3]
	s_cbranch_execz .LBB14_1302
; %bb.1301:
	v_and_b32_e32 v0, 0x7fffff, v10
	v_or_b32_e32 v7, 0x800000, v0
	s_mov_b32 s0, 0xfe5163ab
	v_mad_u64_u32 v[0:1], s[0:1], v7, s0, 0
	v_mov_b32_e32 v12, 0
	s_mov_b32 s0, 0x3c439041
	v_mov_b32_e32 v11, v1
	v_mad_u64_u32 v[13:14], s[0:1], v7, s0, v[11:12]
	s_mov_b32 s0, 0xdb629599
	v_lshrrev_b32_e32 v1, 23, v10
	v_mov_b32_e32 v11, v14
	v_mad_u64_u32 v[14:15], s[0:1], v7, s0, v[11:12]
	s_mov_b32 s0, 0xf534ddc0
	v_add_u32_e32 v1, 0xffffff88, v1
	v_mov_b32_e32 v11, v15
	v_mad_u64_u32 v[15:16], s[0:1], v7, s0, v[11:12]
	s_mov_b32 s0, 0xfc2757d1
	v_not_b32_e32 v18, 63
	v_mov_b32_e32 v11, v16
	v_mad_u64_u32 v[16:17], s[0:1], v7, s0, v[11:12]
	v_cmp_lt_u32_e32 vcc, 63, v1
	v_cndmask_b32_e32 v11, 0, v18, vcc
	v_add_u32_e32 v1, v11, v1
	v_mov_b32_e32 v11, v17
	s_mov_b32 s0, 0x4e441529
	v_mad_u64_u32 v[17:18], s[0:1], v7, s0, v[11:12]
	v_not_b32_e32 v19, 31
	v_cmp_lt_u32_e64 s[0:1], 31, v1
	v_cndmask_b32_e64 v11, 0, v19, s[0:1]
	v_add_u32_e32 v1, v11, v1
	v_mov_b32_e32 v11, v18
	s_mov_b32 s2, 0xa2f9836e
	v_mad_u64_u32 v[11:12], s[2:3], v7, s2, v[11:12]
	v_cmp_lt_u32_e64 s[2:3], 31, v1
	v_cndmask_b32_e64 v7, 0, v19, s[2:3]
	v_add_u32_e32 v1, v7, v1
	v_cndmask_b32_e32 v7, v17, v15, vcc
	v_cndmask_b32_e32 v11, v11, v16, vcc
	;; [unrolled: 1-line block ×3, first 2 shown]
	v_cndmask_b32_e64 v18, v11, v7, s[0:1]
	v_cndmask_b32_e64 v11, v12, v11, s[0:1]
	v_cndmask_b32_e32 v12, v16, v14, vcc
	v_cndmask_b32_e64 v7, v7, v12, s[0:1]
	v_cndmask_b32_e64 v11, v11, v18, s[2:3]
	;; [unrolled: 1-line block ×3, first 2 shown]
	v_sub_u32_e32 v17, 32, v1
	v_alignbit_b32 v18, v11, v16, v17
	v_cmp_eq_u32_e64 s[4:5], 0, v1
	v_cndmask_b32_e64 v1, v18, v11, s[4:5]
	v_cndmask_b32_e32 v11, v15, v13, vcc
	v_cndmask_b32_e64 v12, v12, v11, s[0:1]
	v_cndmask_b32_e64 v7, v7, v12, s[2:3]
	v_alignbit_b32 v13, v16, v7, v17
	v_cndmask_b32_e32 v0, v14, v0, vcc
	v_cndmask_b32_e64 v13, v13, v16, s[4:5]
	v_bfe_u32 v18, v1, 29, 1
	v_cndmask_b32_e64 v0, v11, v0, s[0:1]
	v_alignbit_b32 v15, v1, v13, 30
	v_sub_u32_e32 v19, 0, v18
	v_cndmask_b32_e64 v0, v12, v0, s[2:3]
	v_xor_b32_e32 v15, v15, v19
	v_alignbit_b32 v11, v7, v0, v17
	v_cndmask_b32_e64 v7, v11, v7, s[4:5]
	v_ffbh_u32_e32 v12, v15
	v_alignbit_b32 v11, v13, v7, 30
	v_min_u32_e32 v12, 32, v12
	v_alignbit_b32 v0, v7, v0, 30
	v_xor_b32_e32 v11, v11, v19
	v_sub_u32_e32 v13, 31, v12
	v_xor_b32_e32 v0, v0, v19
	v_alignbit_b32 v14, v15, v11, v13
	v_alignbit_b32 v0, v11, v0, v13
	;; [unrolled: 1-line block ×3, first 2 shown]
	v_ffbh_u32_e32 v11, v7
	v_min_u32_e32 v11, 32, v11
	v_lshrrev_b32_e32 v16, 29, v1
	v_not_b32_e32 v13, v11
	v_alignbit_b32 v0, v7, v0, v13
	v_lshlrev_b32_e32 v7, 31, v16
	v_or_b32_e32 v13, 0x33000000, v7
	v_add_lshl_u32 v11, v11, v12, 23
	v_lshrrev_b32_e32 v0, 9, v0
	v_sub_u32_e32 v11, v13, v11
	v_or_b32_e32 v7, 0.5, v7
	v_lshlrev_b32_e32 v12, 23, v12
	v_or_b32_e32 v0, v11, v0
	v_lshrrev_b32_e32 v11, 9, v14
	v_sub_u32_e32 v7, v7, v12
	v_or_b32_e32 v7, v11, v7
	s_mov_b32 s0, 0x3fc90fda
	v_mul_f32_e32 v11, 0x3fc90fda, v7
	v_fma_f32 v12, v7, s0, -v11
	v_fmac_f32_e32 v12, 0x33a22168, v7
	v_fmac_f32_e32 v12, 0x3fc90fda, v0
	v_lshrrev_b32_e32 v0, 30, v1
	v_add_f32_e32 v12, v11, v12
	v_add_u32_e32 v11, v18, v0
.LBB14_1302:
	s_andn2_saveexec_b64 s[0:1], s[14:15]
	s_cbranch_execz .LBB14_1304
; %bb.1303:
	s_mov_b32 s2, 0x3f22f983
	v_mul_f32_e64 v0, |v5|, s2
	v_rndne_f32_e32 v0, v0
	s_mov_b32 s2, 0xbfc90fda
	v_cvt_i32_f32_e32 v11, v0
	v_fma_f32 v12, v0, s2, |v5|
	v_fmac_f32_e32 v12, 0xb3a22168, v0
	v_fmac_f32_e32 v12, 0xa7c234c4, v0
.LBB14_1304:
	s_or_b64 exec, exec, s[0:1]
	v_add_u32_e32 v7, s13, v6
	v_ashrrev_i32_e32 v1, 31, v7
	v_mov_b32_e32 v6, s11
	v_add_co_u32_e32 v0, vcc, s10, v7
	s_cmp_lt_i32 s22, 11
	v_addc_co_u32_e32 v1, vcc, v6, v1, vcc
	s_cbranch_scc1 .LBB14_1311
; %bb.1305:
	s_cmp_gt_i32 s22, 25
	s_mov_b64 s[2:3], 0
	s_cbranch_scc0 .LBB14_1313
; %bb.1306:
	s_cmp_gt_i32 s22, 28
	s_cbranch_scc0 .LBB14_1314
; %bb.1307:
	s_cmp_gt_i32 s22, 43
	;; [unrolled: 3-line block ×3, first 2 shown]
	s_cbranch_scc0 .LBB14_1317
; %bb.1309:
	s_cmp_eq_u32 s22, 46
	s_mov_b64 s[14:15], 0
	s_cbranch_scc0 .LBB14_1318
; %bb.1310:
	global_load_dword v6, v[0:1], off
	s_mov_b64 s[0:1], 0
	s_mov_b64 s[4:5], -1
	s_waitcnt vmcnt(0)
	v_lshlrev_b32_e32 v6, 16, v6
	s_branch .LBB14_1319
.LBB14_1311:
	s_mov_b64 s[4:5], 0
                                        ; implicit-def: $vgpr6
	s_cbranch_execnz .LBB14_1385
.LBB14_1312:
	s_andn2_b64 vcc, exec, s[4:5]
	s_cbranch_vccnz .LBB14_2004
	s_branch .LBB14_1433
.LBB14_1313:
	s_mov_b64 s[14:15], -1
	s_mov_b64 s[4:5], 0
	s_mov_b64 s[0:1], 0
                                        ; implicit-def: $vgpr6
	s_branch .LBB14_1348
.LBB14_1314:
	s_mov_b64 s[14:15], -1
	s_mov_b64 s[4:5], 0
	s_mov_b64 s[0:1], 0
                                        ; implicit-def: $vgpr6
	s_branch .LBB14_1329
.LBB14_1315:
	s_mov_b64 s[14:15], -1
	s_mov_b64 s[4:5], 0
	s_mov_b64 s[0:1], 0
                                        ; implicit-def: $vgpr6
	s_branch .LBB14_1324
.LBB14_1316:
	s_trap 2
	s_or_b64 s[18:19], s[18:19], exec
	s_cbranch_execz .LBB14_1251
	s_branch .LBB14_1252
.LBB14_1317:
	s_mov_b64 s[14:15], -1
	s_mov_b64 s[4:5], 0
	s_mov_b64 s[0:1], 0
                                        ; implicit-def: $vgpr6
	s_branch .LBB14_1319
.LBB14_1318:
	s_mov_b64 s[0:1], -1
                                        ; implicit-def: $vgpr6
	s_mov_b64 s[4:5], 0
.LBB14_1319:
	s_and_b64 vcc, exec, s[14:15]
	s_cbranch_vccz .LBB14_1323
; %bb.1320:
	s_cmp_eq_u32 s22, 44
	s_cbranch_scc0 .LBB14_1322
; %bb.1321:
	global_load_ubyte v6, v[0:1], off
	s_movk_i32 s4, 0xff
	v_mov_b32_e32 v13, 0x7f800001
	v_mov_b32_e32 v14, 0x400000
	s_mov_b64 s[0:1], 0
	s_waitcnt vmcnt(0)
	v_lshlrev_b32_e32 v15, 23, v6
	v_cmp_ne_u32_e32 vcc, s4, v6
	v_cndmask_b32_e32 v13, v13, v15, vcc
	v_cmp_ne_u32_e32 vcc, 0, v6
	v_cndmask_b32_e32 v6, v14, v13, vcc
	s_mov_b64 s[4:5], -1
	s_branch .LBB14_1323
.LBB14_1322:
	s_mov_b64 s[0:1], -1
                                        ; implicit-def: $vgpr6
.LBB14_1323:
	s_mov_b64 s[14:15], 0
.LBB14_1324:
	s_and_b64 vcc, exec, s[14:15]
	s_cbranch_vccz .LBB14_1328
; %bb.1325:
	s_cmp_eq_u32 s22, 29
	s_cbranch_scc0 .LBB14_1327
; %bb.1326:
	global_load_dwordx2 v[13:14], v[0:1], off
	s_mov_b64 s[0:1], 0
	s_mov_b64 s[4:5], -1
	s_mov_b64 s[14:15], 0
	s_waitcnt vmcnt(0)
	v_ffbh_u32_e32 v6, v14
	v_min_u32_e32 v6, 32, v6
	v_lshlrev_b64 v[13:14], v6, v[13:14]
	v_sub_u32_e32 v6, 32, v6
	v_min_u32_e32 v13, 1, v13
	v_or_b32_e32 v13, v14, v13
	v_cvt_f32_u32_e32 v13, v13
	v_ldexp_f32 v6, v13, v6
	s_branch .LBB14_1329
.LBB14_1327:
	s_mov_b64 s[0:1], -1
                                        ; implicit-def: $vgpr6
.LBB14_1328:
	s_mov_b64 s[14:15], 0
.LBB14_1329:
	s_and_b64 vcc, exec, s[14:15]
	s_cbranch_vccz .LBB14_1347
; %bb.1330:
	s_cmp_lt_i32 s22, 27
	s_cbranch_scc1 .LBB14_1333
; %bb.1331:
	s_cmp_gt_i32 s22, 27
	s_cbranch_scc0 .LBB14_1334
; %bb.1332:
	global_load_dword v6, v[0:1], off
	s_mov_b64 s[4:5], 0
	s_waitcnt vmcnt(0)
	v_cvt_f32_u32_e32 v6, v6
	s_branch .LBB14_1335
.LBB14_1333:
	s_mov_b64 s[4:5], -1
                                        ; implicit-def: $vgpr6
	s_branch .LBB14_1338
.LBB14_1334:
	s_mov_b64 s[4:5], -1
                                        ; implicit-def: $vgpr6
.LBB14_1335:
	s_andn2_b64 vcc, exec, s[4:5]
	s_cbranch_vccnz .LBB14_1337
; %bb.1336:
	global_load_ushort v6, v[0:1], off
	s_waitcnt vmcnt(0)
	v_cvt_f32_u32_e32 v6, v6
.LBB14_1337:
	s_mov_b64 s[4:5], 0
.LBB14_1338:
	s_andn2_b64 vcc, exec, s[4:5]
	s_cbranch_vccnz .LBB14_1346
; %bb.1339:
	global_load_ubyte v13, v[0:1], off
	s_movk_i32 s4, 0x7f
	s_waitcnt vmcnt(0)
	v_cmp_lt_i16_e32 vcc, s4, v13
	s_mov_b64 s[4:5], 0
	s_and_saveexec_b64 s[14:15], vcc
	s_xor_b64 s[14:15], exec, s[14:15]
	s_cbranch_execz .LBB14_1360
; %bb.1340:
	s_movk_i32 s4, 0x80
	v_cmp_eq_u16_e32 vcc, s4, v13
	s_mov_b64 s[4:5], -1
	s_and_saveexec_b64 s[20:21], vcc
; %bb.1341:
	s_xor_b64 s[4:5], exec, -1
; %bb.1342:
	s_or_b64 exec, exec, s[20:21]
	s_and_b64 s[4:5], s[4:5], exec
	s_or_saveexec_b64 s[14:15], s[14:15]
	v_mov_b32_e32 v6, 0x7f800001
	s_xor_b64 exec, exec, s[14:15]
	s_cbranch_execnz .LBB14_1361
.LBB14_1343:
	s_or_b64 exec, exec, s[14:15]
	s_and_saveexec_b64 s[14:15], s[4:5]
	s_cbranch_execz .LBB14_1345
.LBB14_1344:
	v_lshlrev_b32_e32 v6, 24, v13
	v_and_b32_e32 v13, 0xffff, v13
	v_and_b32_e32 v14, 7, v13
	v_ffbh_u32_e32 v16, v14
	v_min_u32_e32 v16, 32, v16
	v_subrev_u32_e32 v17, 28, v16
	v_bfe_u32 v15, v13, 3, 4
	v_lshlrev_b32_e32 v13, v17, v13
	v_sub_u32_e32 v16, 29, v16
	v_and_b32_e32 v13, 7, v13
	v_cmp_eq_u32_e32 vcc, 0, v15
	v_cndmask_b32_e32 v15, v15, v16, vcc
	v_cndmask_b32_e32 v13, v14, v13, vcc
	v_mov_b32_e32 v14, 0x3b800000
	v_lshlrev_b32_e32 v13, 20, v13
	v_and_b32_e32 v6, 0x80000000, v6
	v_lshl_add_u32 v14, v15, 23, v14
	v_or3_b32 v6, v6, v14, v13
.LBB14_1345:
	s_or_b64 exec, exec, s[14:15]
.LBB14_1346:
	s_mov_b64 s[4:5], -1
.LBB14_1347:
	s_mov_b64 s[14:15], 0
.LBB14_1348:
	s_and_b64 vcc, exec, s[14:15]
	s_cbranch_vccz .LBB14_1381
; %bb.1349:
	s_cmp_gt_i32 s22, 22
	s_cbranch_scc0 .LBB14_1359
; %bb.1350:
	s_cmp_lt_i32 s22, 24
	s_cbranch_scc1 .LBB14_1362
; %bb.1351:
	s_cmp_gt_i32 s22, 24
	s_cbranch_scc0 .LBB14_1363
; %bb.1352:
	global_load_ubyte v13, v[0:1], off
	s_movk_i32 s2, 0x7f
	s_waitcnt vmcnt(0)
	v_cmp_lt_i16_e32 vcc, s2, v13
	s_mov_b64 s[2:3], 0
	s_and_saveexec_b64 s[4:5], vcc
	s_xor_b64 s[4:5], exec, s[4:5]
	s_cbranch_execz .LBB14_1375
; %bb.1353:
	s_movk_i32 s2, 0x80
	v_cmp_eq_u16_e32 vcc, s2, v13
	s_mov_b64 s[2:3], -1
	s_and_saveexec_b64 s[14:15], vcc
; %bb.1354:
	s_xor_b64 s[2:3], exec, -1
; %bb.1355:
	s_or_b64 exec, exec, s[14:15]
	s_and_b64 s[2:3], s[2:3], exec
	s_or_saveexec_b64 s[4:5], s[4:5]
	v_mov_b32_e32 v6, 0x7f800001
	s_xor_b64 exec, exec, s[4:5]
	s_cbranch_execnz .LBB14_1376
.LBB14_1356:
	s_or_b64 exec, exec, s[4:5]
	s_and_saveexec_b64 s[4:5], s[2:3]
	s_cbranch_execz .LBB14_1358
.LBB14_1357:
	v_lshlrev_b32_e32 v6, 24, v13
	v_and_b32_e32 v13, 0xffff, v13
	v_and_b32_e32 v14, 3, v13
	v_ffbh_u32_e32 v16, v14
	v_min_u32_e32 v16, 32, v16
	v_subrev_u32_e32 v17, 29, v16
	v_bfe_u32 v15, v13, 2, 5
	v_lshlrev_b32_e32 v13, v17, v13
	v_sub_u32_e32 v16, 30, v16
	v_and_b32_e32 v13, 3, v13
	v_cmp_eq_u32_e32 vcc, 0, v15
	v_cndmask_b32_e32 v15, v15, v16, vcc
	v_cndmask_b32_e32 v13, v14, v13, vcc
	v_mov_b32_e32 v14, 0x37800000
	v_lshlrev_b32_e32 v13, 21, v13
	v_and_b32_e32 v6, 0x80000000, v6
	v_lshl_add_u32 v14, v15, 23, v14
	v_or3_b32 v6, v6, v14, v13
.LBB14_1358:
	s_or_b64 exec, exec, s[4:5]
	s_mov_b64 s[2:3], 0
	s_branch .LBB14_1364
.LBB14_1359:
	s_mov_b64 s[2:3], -1
                                        ; implicit-def: $vgpr6
	s_branch .LBB14_1370
.LBB14_1360:
	s_or_saveexec_b64 s[14:15], s[14:15]
	v_mov_b32_e32 v6, 0x7f800001
	s_xor_b64 exec, exec, s[14:15]
	s_cbranch_execz .LBB14_1343
.LBB14_1361:
	v_cmp_ne_u16_e32 vcc, 0, v13
	s_andn2_b64 s[4:5], s[4:5], exec
	s_and_b64 s[20:21], vcc, exec
	v_mov_b32_e32 v6, 0
	s_or_b64 s[4:5], s[4:5], s[20:21]
	s_or_b64 exec, exec, s[14:15]
	s_and_saveexec_b64 s[14:15], s[4:5]
	s_cbranch_execnz .LBB14_1344
	s_branch .LBB14_1345
.LBB14_1362:
	s_mov_b64 s[2:3], -1
                                        ; implicit-def: $vgpr6
	s_branch .LBB14_1367
.LBB14_1363:
	s_mov_b64 s[2:3], -1
                                        ; implicit-def: $vgpr6
.LBB14_1364:
	s_and_b64 vcc, exec, s[2:3]
	s_cbranch_vccz .LBB14_1366
; %bb.1365:
	global_load_ubyte v6, v[0:1], off
	s_mov_b32 s2, 0x7f800000
	s_waitcnt vmcnt(0)
	v_lshlrev_b32_e32 v6, 24, v6
	v_and_b32_e32 v13, 0x7f000000, v6
	v_ffbh_u32_e32 v14, v13
	v_min_u32_e32 v14, 32, v14
	v_sub_u32_e64 v14, v14, 4 clamp
	v_lshlrev_b32_e32 v16, v14, v13
	v_lshlrev_b32_e32 v14, 23, v14
	v_lshrrev_b32_e32 v16, 4, v16
	v_add_u32_e32 v15, 0x1000000, v13
	v_sub_u32_e32 v14, v16, v14
	v_ashrrev_i32_e32 v15, 8, v15
	v_add_u32_e32 v14, 0x3c000000, v14
	v_and_or_b32 v14, v15, s2, v14
	v_cmp_ne_u32_e32 vcc, 0, v13
	v_cndmask_b32_e32 v13, 0, v14, vcc
	s_brev_b32 s2, 1
	v_and_or_b32 v6, v6, s2, v13
.LBB14_1366:
	s_mov_b64 s[2:3], 0
.LBB14_1367:
	s_andn2_b64 vcc, exec, s[2:3]
	s_cbranch_vccnz .LBB14_1369
; %bb.1368:
	global_load_ubyte v6, v[0:1], off
	s_movk_i32 s2, 0x7f00
	s_brev_b32 s3, 16
	s_waitcnt vmcnt(0)
	v_lshlrev_b16_e32 v13, 8, v6
	v_lshlrev_b32_e32 v6, 25, v6
	v_lshrrev_b32_e32 v14, 4, v6
	v_and_or_b32 v15, v13, s2, 0.5
	v_or_b32_e32 v14, 0x70000000, v14
	v_add_f32_e32 v15, -0.5, v15
	v_mul_f32_e32 v14, 0x7800000, v14
	v_cmp_gt_u32_e32 vcc, s3, v6
	v_bfe_i32 v13, v13, 0, 16
	v_cndmask_b32_e32 v6, v14, v15, vcc
	s_brev_b32 s2, 1
	v_and_or_b32 v6, v13, s2, v6
.LBB14_1369:
	s_mov_b64 s[2:3], 0
	s_mov_b64 s[4:5], -1
.LBB14_1370:
	s_andn2_b64 vcc, exec, s[2:3]
	s_mov_b64 s[2:3], 0
	s_cbranch_vccnz .LBB14_1381
; %bb.1371:
	s_cmp_gt_i32 s22, 14
	s_cbranch_scc0 .LBB14_1374
; %bb.1372:
	s_cmp_eq_u32 s22, 15
	s_cbranch_scc0 .LBB14_1377
; %bb.1373:
	global_load_ushort v6, v[0:1], off
	s_mov_b64 s[0:1], 0
	s_mov_b64 s[4:5], -1
	s_waitcnt vmcnt(0)
	v_lshlrev_b32_e32 v6, 16, v6
	s_branch .LBB14_1378
.LBB14_1374:
	s_mov_b64 s[14:15], -1
                                        ; implicit-def: $vgpr6
	s_branch .LBB14_1379
.LBB14_1375:
	s_or_saveexec_b64 s[4:5], s[4:5]
	v_mov_b32_e32 v6, 0x7f800001
	s_xor_b64 exec, exec, s[4:5]
	s_cbranch_execz .LBB14_1356
.LBB14_1376:
	v_cmp_ne_u16_e32 vcc, 0, v13
	s_andn2_b64 s[2:3], s[2:3], exec
	s_and_b64 s[14:15], vcc, exec
	v_mov_b32_e32 v6, 0
	s_or_b64 s[2:3], s[2:3], s[14:15]
	s_or_b64 exec, exec, s[4:5]
	s_and_saveexec_b64 s[4:5], s[2:3]
	s_cbranch_execnz .LBB14_1357
	s_branch .LBB14_1358
.LBB14_1377:
	s_mov_b64 s[0:1], -1
                                        ; implicit-def: $vgpr6
.LBB14_1378:
	s_mov_b64 s[14:15], 0
.LBB14_1379:
	s_and_b64 vcc, exec, s[14:15]
	s_cbranch_vccz .LBB14_1381
; %bb.1380:
	s_cmp_lg_u32 s22, 11
	s_mov_b64 s[2:3], -1
	s_cselect_b64 s[0:1], -1, 0
.LBB14_1381:
	s_and_b64 vcc, exec, s[0:1]
	s_cbranch_vccnz .LBB14_1448
; %bb.1382:
	s_andn2_b64 vcc, exec, s[2:3]
	s_cbranch_vccnz .LBB14_1384
.LBB14_1383:
	global_load_ubyte v6, v[0:1], off
	s_mov_b64 s[4:5], -1
	s_waitcnt vmcnt(0)
	v_cmp_ne_u16_e32 vcc, 0, v6
	v_cndmask_b32_e64 v6, 0, 1.0, vcc
.LBB14_1384:
	s_branch .LBB14_1312
.LBB14_1385:
	s_cmp_lt_i32 s22, 5
	s_cbranch_scc1 .LBB14_1390
; %bb.1386:
	s_cmp_lt_i32 s22, 8
	s_cbranch_scc1 .LBB14_1391
; %bb.1387:
	;; [unrolled: 3-line block ×3, first 2 shown]
	s_cmp_gt_i32 s22, 9
	s_cbranch_scc0 .LBB14_1393
; %bb.1389:
	global_load_dwordx2 v[13:14], v[0:1], off
	s_mov_b64 s[0:1], 0
	s_waitcnt vmcnt(0)
	v_cvt_f32_f64_e32 v6, v[13:14]
	s_branch .LBB14_1394
.LBB14_1390:
	s_mov_b64 s[0:1], -1
                                        ; implicit-def: $vgpr6
	s_branch .LBB14_1412
.LBB14_1391:
	s_mov_b64 s[0:1], -1
                                        ; implicit-def: $vgpr6
	s_branch .LBB14_1400
.LBB14_1392:
	s_mov_b64 s[0:1], -1
                                        ; implicit-def: $vgpr6
	s_branch .LBB14_1397
.LBB14_1393:
	s_mov_b64 s[0:1], -1
                                        ; implicit-def: $vgpr6
.LBB14_1394:
	s_andn2_b64 vcc, exec, s[0:1]
	s_cbranch_vccnz .LBB14_1396
; %bb.1395:
	global_load_dword v6, v[0:1], off
.LBB14_1396:
	s_mov_b64 s[0:1], 0
.LBB14_1397:
	s_andn2_b64 vcc, exec, s[0:1]
	s_cbranch_vccnz .LBB14_1399
; %bb.1398:
	global_load_dword v6, v[0:1], off
	s_waitcnt vmcnt(0)
	v_cvt_f32_f16_e32 v6, v6
.LBB14_1399:
	s_mov_b64 s[0:1], 0
.LBB14_1400:
	s_andn2_b64 vcc, exec, s[0:1]
	s_cbranch_vccnz .LBB14_1411
; %bb.1401:
	s_cmp_lt_i32 s22, 6
	s_cbranch_scc1 .LBB14_1404
; %bb.1402:
	s_cmp_gt_i32 s22, 6
	s_cbranch_scc0 .LBB14_1405
; %bb.1403:
	global_load_dwordx2 v[13:14], v[0:1], off
	s_mov_b64 s[0:1], 0
	s_waitcnt vmcnt(0)
	v_cvt_f32_f64_e32 v6, v[13:14]
	s_branch .LBB14_1406
.LBB14_1404:
	s_mov_b64 s[0:1], -1
                                        ; implicit-def: $vgpr6
	s_branch .LBB14_1409
.LBB14_1405:
	s_mov_b64 s[0:1], -1
                                        ; implicit-def: $vgpr6
.LBB14_1406:
	s_andn2_b64 vcc, exec, s[0:1]
	s_cbranch_vccnz .LBB14_1408
; %bb.1407:
	global_load_dword v6, v[0:1], off
.LBB14_1408:
	s_mov_b64 s[0:1], 0
.LBB14_1409:
	s_andn2_b64 vcc, exec, s[0:1]
	s_cbranch_vccnz .LBB14_1411
; %bb.1410:
	global_load_ushort v6, v[0:1], off
	s_waitcnt vmcnt(0)
	v_cvt_f32_f16_e32 v6, v6
.LBB14_1411:
	s_mov_b64 s[0:1], 0
.LBB14_1412:
	s_andn2_b64 vcc, exec, s[0:1]
	s_cbranch_vccnz .LBB14_1432
; %bb.1413:
	s_cmp_lt_i32 s22, 2
	s_cbranch_scc1 .LBB14_1417
; %bb.1414:
	s_cmp_lt_i32 s22, 3
	s_cbranch_scc1 .LBB14_1418
; %bb.1415:
	s_cmp_gt_i32 s22, 3
	s_cbranch_scc0 .LBB14_1419
; %bb.1416:
	global_load_dwordx2 v[13:14], v[0:1], off
	s_mov_b64 s[0:1], 0
	s_waitcnt vmcnt(0)
	v_xor_b32_e32 v15, v13, v14
	v_ffbh_i32_e32 v6, v14
	v_ashrrev_i32_e32 v15, 31, v15
	v_add_u32_e32 v6, -1, v6
	v_add_u32_e32 v15, 32, v15
	v_min_u32_e32 v6, v6, v15
	v_lshlrev_b64 v[13:14], v6, v[13:14]
	v_sub_u32_e32 v6, 32, v6
	v_min_u32_e32 v13, 1, v13
	v_or_b32_e32 v13, v14, v13
	v_cvt_f32_i32_e32 v13, v13
	v_ldexp_f32 v6, v13, v6
	s_branch .LBB14_1420
.LBB14_1417:
	s_mov_b64 s[0:1], -1
                                        ; implicit-def: $vgpr6
	s_branch .LBB14_1426
.LBB14_1418:
	s_mov_b64 s[0:1], -1
                                        ; implicit-def: $vgpr6
	s_branch .LBB14_1423
.LBB14_1419:
	s_mov_b64 s[0:1], -1
                                        ; implicit-def: $vgpr6
.LBB14_1420:
	s_andn2_b64 vcc, exec, s[0:1]
	s_cbranch_vccnz .LBB14_1422
; %bb.1421:
	global_load_dword v6, v[0:1], off
	s_waitcnt vmcnt(0)
	v_cvt_f32_i32_e32 v6, v6
.LBB14_1422:
	s_mov_b64 s[0:1], 0
.LBB14_1423:
	s_andn2_b64 vcc, exec, s[0:1]
	s_cbranch_vccnz .LBB14_1425
; %bb.1424:
	global_load_sshort v6, v[0:1], off
	s_waitcnt vmcnt(0)
	v_cvt_f32_i32_e32 v6, v6
.LBB14_1425:
	s_mov_b64 s[0:1], 0
.LBB14_1426:
	s_andn2_b64 vcc, exec, s[0:1]
	s_cbranch_vccnz .LBB14_1432
; %bb.1427:
	s_cmp_gt_i32 s22, 0
	s_cbranch_scc0 .LBB14_1429
; %bb.1428:
	global_load_sbyte v6, v[0:1], off
	s_mov_b64 s[0:1], 0
	s_waitcnt vmcnt(0)
	v_cvt_f32_i32_e32 v6, v6
	s_branch .LBB14_1430
.LBB14_1429:
	s_mov_b64 s[0:1], -1
                                        ; implicit-def: $vgpr6
.LBB14_1430:
	s_andn2_b64 vcc, exec, s[0:1]
	s_cbranch_vccnz .LBB14_1432
; %bb.1431:
	global_load_ubyte v0, v[0:1], off
	s_waitcnt vmcnt(0)
	v_cvt_f32_ubyte0_e32 v6, v0
.LBB14_1432:
.LBB14_1433:
	s_brev_b32 s0, 18
	s_waitcnt vmcnt(0)
	v_and_b32_e32 v13, 0x7fffffff, v6
	v_cmp_nlt_f32_e64 s[0:1], |v6|, s0
                                        ; implicit-def: $vgpr14
                                        ; implicit-def: $vgpr15
	s_and_saveexec_b64 s[2:3], s[0:1]
	s_xor_b64 s[14:15], exec, s[2:3]
	s_cbranch_execz .LBB14_1435
; %bb.1434:
	v_and_b32_e32 v0, 0x7fffff, v13
	v_or_b32_e32 v22, 0x800000, v0
	s_mov_b32 s0, 0xfe5163ab
	v_mad_u64_u32 v[0:1], s[0:1], v22, s0, 0
	v_mov_b32_e32 v15, 0
	s_mov_b32 s0, 0x3c439041
	v_mov_b32_e32 v14, v1
	v_mad_u64_u32 v[16:17], s[0:1], v22, s0, v[14:15]
	s_mov_b32 s0, 0xdb629599
	v_lshrrev_b32_e32 v1, 23, v13
	v_mov_b32_e32 v14, v17
	v_mad_u64_u32 v[17:18], s[0:1], v22, s0, v[14:15]
	s_mov_b32 s0, 0xf534ddc0
	v_add_u32_e32 v1, 0xffffff88, v1
	v_mov_b32_e32 v14, v18
	v_mad_u64_u32 v[18:19], s[0:1], v22, s0, v[14:15]
	s_mov_b32 s0, 0xfc2757d1
	v_not_b32_e32 v21, 63
	v_mov_b32_e32 v14, v19
	v_mad_u64_u32 v[19:20], s[0:1], v22, s0, v[14:15]
	v_cmp_lt_u32_e32 vcc, 63, v1
	v_cndmask_b32_e32 v14, 0, v21, vcc
	v_add_u32_e32 v1, v14, v1
	v_mov_b32_e32 v14, v20
	s_mov_b32 s0, 0x4e441529
	v_mad_u64_u32 v[20:21], s[0:1], v22, s0, v[14:15]
	v_not_b32_e32 v23, 31
	v_cmp_lt_u32_e64 s[0:1], 31, v1
	v_cndmask_b32_e64 v14, 0, v23, s[0:1]
	v_add_u32_e32 v1, v14, v1
	v_mov_b32_e32 v14, v21
	s_mov_b32 s2, 0xa2f9836e
	v_mad_u64_u32 v[14:15], s[2:3], v22, s2, v[14:15]
	v_cmp_lt_u32_e64 s[2:3], 31, v1
	v_cndmask_b32_e64 v21, 0, v23, s[2:3]
	v_add_u32_e32 v1, v21, v1
	v_cndmask_b32_e32 v21, v20, v18, vcc
	v_cndmask_b32_e32 v14, v14, v19, vcc
	;; [unrolled: 1-line block ×3, first 2 shown]
	v_cndmask_b32_e64 v22, v14, v21, s[0:1]
	v_cndmask_b32_e64 v14, v15, v14, s[0:1]
	v_cndmask_b32_e32 v15, v19, v17, vcc
	v_cndmask_b32_e64 v19, v21, v15, s[0:1]
	v_cndmask_b32_e64 v14, v14, v22, s[2:3]
	;; [unrolled: 1-line block ×3, first 2 shown]
	v_sub_u32_e32 v21, 32, v1
	v_alignbit_b32 v22, v14, v20, v21
	v_cmp_eq_u32_e64 s[4:5], 0, v1
	v_cndmask_b32_e64 v1, v22, v14, s[4:5]
	v_cndmask_b32_e32 v14, v18, v16, vcc
	v_cndmask_b32_e64 v15, v15, v14, s[0:1]
	v_cndmask_b32_e64 v16, v19, v15, s[2:3]
	v_alignbit_b32 v18, v20, v16, v21
	v_cndmask_b32_e32 v0, v17, v0, vcc
	v_cndmask_b32_e64 v18, v18, v20, s[4:5]
	v_bfe_u32 v22, v1, 29, 1
	v_cndmask_b32_e64 v0, v14, v0, s[0:1]
	v_alignbit_b32 v19, v1, v18, 30
	v_sub_u32_e32 v23, 0, v22
	v_cndmask_b32_e64 v0, v15, v0, s[2:3]
	v_xor_b32_e32 v19, v19, v23
	v_alignbit_b32 v14, v16, v0, v21
	v_cndmask_b32_e64 v14, v14, v16, s[4:5]
	v_ffbh_u32_e32 v16, v19
	v_alignbit_b32 v15, v18, v14, 30
	v_min_u32_e32 v16, 32, v16
	v_alignbit_b32 v0, v14, v0, 30
	v_xor_b32_e32 v15, v15, v23
	v_sub_u32_e32 v17, 31, v16
	v_xor_b32_e32 v0, v0, v23
	v_alignbit_b32 v18, v19, v15, v17
	v_alignbit_b32 v0, v15, v0, v17
	;; [unrolled: 1-line block ×3, first 2 shown]
	v_ffbh_u32_e32 v15, v14
	v_min_u32_e32 v15, 32, v15
	v_lshrrev_b32_e32 v20, 29, v1
	v_not_b32_e32 v17, v15
	v_alignbit_b32 v0, v14, v0, v17
	v_lshlrev_b32_e32 v14, 31, v20
	v_or_b32_e32 v17, 0x33000000, v14
	v_add_lshl_u32 v15, v15, v16, 23
	v_lshrrev_b32_e32 v0, 9, v0
	v_sub_u32_e32 v15, v17, v15
	v_or_b32_e32 v14, 0.5, v14
	v_lshlrev_b32_e32 v16, 23, v16
	v_or_b32_e32 v0, v15, v0
	v_lshrrev_b32_e32 v15, 9, v18
	v_sub_u32_e32 v14, v14, v16
	v_or_b32_e32 v14, v15, v14
	s_mov_b32 s0, 0x3fc90fda
	v_mul_f32_e32 v15, 0x3fc90fda, v14
	v_fma_f32 v16, v14, s0, -v15
	v_fmac_f32_e32 v16, 0x33a22168, v14
	v_fmac_f32_e32 v16, 0x3fc90fda, v0
	v_lshrrev_b32_e32 v0, 30, v1
	v_add_f32_e32 v15, v15, v16
	v_add_u32_e32 v14, v22, v0
.LBB14_1435:
	s_andn2_saveexec_b64 s[0:1], s[14:15]
	s_cbranch_execz .LBB14_1437
; %bb.1436:
	s_mov_b32 s2, 0x3f22f983
	v_mul_f32_e64 v0, |v6|, s2
	v_rndne_f32_e32 v0, v0
	s_mov_b32 s2, 0xbfc90fda
	v_cvt_i32_f32_e32 v14, v0
	v_fma_f32 v15, v0, s2, |v6|
	v_fmac_f32_e32 v15, 0xb3a22168, v0
	v_fmac_f32_e32 v15, 0xa7c234c4, v0
.LBB14_1437:
	s_or_b64 exec, exec, s[0:1]
	v_add_u32_e32 v0, s13, v7
	v_ashrrev_i32_e32 v1, 31, v0
	v_mov_b32_e32 v7, s11
	v_add_co_u32_e32 v0, vcc, s10, v0
	s_cmp_lt_i32 s22, 11
	v_addc_co_u32_e32 v1, vcc, v7, v1, vcc
	s_cbranch_scc1 .LBB14_1444
; %bb.1438:
	s_cmp_gt_i32 s22, 25
	s_mov_b64 s[2:3], 0
	s_cbranch_scc0 .LBB14_1445
; %bb.1439:
	s_cmp_gt_i32 s22, 28
	s_cbranch_scc0 .LBB14_1446
; %bb.1440:
	s_cmp_gt_i32 s22, 43
	;; [unrolled: 3-line block ×3, first 2 shown]
	s_cbranch_scc0 .LBB14_1449
; %bb.1442:
	s_cmp_eq_u32 s22, 46
	s_mov_b64 s[10:11], 0
	s_cbranch_scc0 .LBB14_1450
; %bb.1443:
	global_load_dword v7, v[0:1], off
	s_mov_b64 s[0:1], 0
	s_mov_b64 s[4:5], -1
	s_waitcnt vmcnt(0)
	v_lshlrev_b32_e32 v7, 16, v7
	s_branch .LBB14_1451
.LBB14_1444:
	s_mov_b64 s[0:1], -1
	s_mov_b64 s[4:5], 0
                                        ; implicit-def: $vgpr7
	s_branch .LBB14_1517
.LBB14_1445:
	s_mov_b64 s[10:11], -1
	s_mov_b64 s[4:5], 0
	s_mov_b64 s[0:1], 0
                                        ; implicit-def: $vgpr7
	s_branch .LBB14_1480
.LBB14_1446:
	s_mov_b64 s[10:11], -1
	s_mov_b64 s[4:5], 0
	s_mov_b64 s[0:1], 0
                                        ; implicit-def: $vgpr7
	s_branch .LBB14_1461
.LBB14_1447:
	s_mov_b64 s[10:11], -1
	s_mov_b64 s[4:5], 0
	s_mov_b64 s[0:1], 0
                                        ; implicit-def: $vgpr7
	s_branch .LBB14_1456
.LBB14_1448:
	s_trap 2
	s_or_b64 s[18:19], s[18:19], exec
	s_cbranch_execz .LBB14_1383
	s_branch .LBB14_1384
.LBB14_1449:
	s_mov_b64 s[10:11], -1
	s_mov_b64 s[4:5], 0
	s_mov_b64 s[0:1], 0
                                        ; implicit-def: $vgpr7
	s_branch .LBB14_1451
.LBB14_1450:
	s_mov_b64 s[0:1], -1
                                        ; implicit-def: $vgpr7
	s_mov_b64 s[4:5], 0
.LBB14_1451:
	s_and_b64 vcc, exec, s[10:11]
	s_cbranch_vccz .LBB14_1455
; %bb.1452:
	s_cmp_eq_u32 s22, 44
	s_cbranch_scc0 .LBB14_1454
; %bb.1453:
	global_load_ubyte v7, v[0:1], off
	s_movk_i32 s4, 0xff
	v_mov_b32_e32 v16, 0x7f800001
	v_mov_b32_e32 v17, 0x400000
	s_mov_b64 s[0:1], 0
	s_waitcnt vmcnt(0)
	v_lshlrev_b32_e32 v18, 23, v7
	v_cmp_ne_u32_e32 vcc, s4, v7
	v_cndmask_b32_e32 v16, v16, v18, vcc
	v_cmp_ne_u32_e32 vcc, 0, v7
	v_cndmask_b32_e32 v7, v17, v16, vcc
	s_mov_b64 s[4:5], -1
	s_branch .LBB14_1455
.LBB14_1454:
	s_mov_b64 s[0:1], -1
                                        ; implicit-def: $vgpr7
.LBB14_1455:
	s_mov_b64 s[10:11], 0
.LBB14_1456:
	s_and_b64 vcc, exec, s[10:11]
	s_cbranch_vccz .LBB14_1460
; %bb.1457:
	s_cmp_eq_u32 s22, 29
	s_cbranch_scc0 .LBB14_1459
; %bb.1458:
	global_load_dwordx2 v[16:17], v[0:1], off
	s_mov_b64 s[0:1], 0
	s_mov_b64 s[4:5], -1
	s_mov_b64 s[10:11], 0
	s_waitcnt vmcnt(0)
	v_ffbh_u32_e32 v7, v17
	v_min_u32_e32 v7, 32, v7
	v_lshlrev_b64 v[16:17], v7, v[16:17]
	v_sub_u32_e32 v7, 32, v7
	v_min_u32_e32 v16, 1, v16
	v_or_b32_e32 v16, v17, v16
	v_cvt_f32_u32_e32 v16, v16
	v_ldexp_f32 v7, v16, v7
	s_branch .LBB14_1461
.LBB14_1459:
	s_mov_b64 s[0:1], -1
                                        ; implicit-def: $vgpr7
.LBB14_1460:
	s_mov_b64 s[10:11], 0
.LBB14_1461:
	s_and_b64 vcc, exec, s[10:11]
	s_cbranch_vccz .LBB14_1479
; %bb.1462:
	s_cmp_lt_i32 s22, 27
	s_cbranch_scc1 .LBB14_1465
; %bb.1463:
	s_cmp_gt_i32 s22, 27
	s_cbranch_scc0 .LBB14_1466
; %bb.1464:
	global_load_dword v7, v[0:1], off
	s_mov_b64 s[4:5], 0
	s_waitcnt vmcnt(0)
	v_cvt_f32_u32_e32 v7, v7
	s_branch .LBB14_1467
.LBB14_1465:
	s_mov_b64 s[4:5], -1
                                        ; implicit-def: $vgpr7
	s_branch .LBB14_1470
.LBB14_1466:
	s_mov_b64 s[4:5], -1
                                        ; implicit-def: $vgpr7
.LBB14_1467:
	s_andn2_b64 vcc, exec, s[4:5]
	s_cbranch_vccnz .LBB14_1469
; %bb.1468:
	global_load_ushort v7, v[0:1], off
	s_waitcnt vmcnt(0)
	v_cvt_f32_u32_e32 v7, v7
.LBB14_1469:
	s_mov_b64 s[4:5], 0
.LBB14_1470:
	s_andn2_b64 vcc, exec, s[4:5]
	s_cbranch_vccnz .LBB14_1478
; %bb.1471:
	global_load_ubyte v16, v[0:1], off
	s_movk_i32 s4, 0x7f
	s_waitcnt vmcnt(0)
	v_cmp_lt_i16_e32 vcc, s4, v16
	s_mov_b64 s[4:5], 0
	s_and_saveexec_b64 s[10:11], vcc
	s_xor_b64 s[10:11], exec, s[10:11]
	s_cbranch_execz .LBB14_1492
; %bb.1472:
	s_movk_i32 s4, 0x80
	v_cmp_eq_u16_e32 vcc, s4, v16
	s_mov_b64 s[4:5], -1
	s_and_saveexec_b64 s[14:15], vcc
; %bb.1473:
	s_xor_b64 s[4:5], exec, -1
; %bb.1474:
	s_or_b64 exec, exec, s[14:15]
	s_and_b64 s[4:5], s[4:5], exec
	s_or_saveexec_b64 s[10:11], s[10:11]
	v_mov_b32_e32 v7, 0x7f800001
	s_xor_b64 exec, exec, s[10:11]
	s_cbranch_execnz .LBB14_1493
.LBB14_1475:
	s_or_b64 exec, exec, s[10:11]
	s_and_saveexec_b64 s[10:11], s[4:5]
	s_cbranch_execz .LBB14_1477
.LBB14_1476:
	v_lshlrev_b32_e32 v7, 24, v16
	v_and_b32_e32 v16, 0xffff, v16
	v_and_b32_e32 v17, 7, v16
	v_ffbh_u32_e32 v19, v17
	v_min_u32_e32 v19, 32, v19
	v_subrev_u32_e32 v20, 28, v19
	v_bfe_u32 v18, v16, 3, 4
	v_lshlrev_b32_e32 v16, v20, v16
	v_sub_u32_e32 v19, 29, v19
	v_and_b32_e32 v16, 7, v16
	v_cmp_eq_u32_e32 vcc, 0, v18
	v_cndmask_b32_e32 v18, v18, v19, vcc
	v_cndmask_b32_e32 v16, v17, v16, vcc
	v_mov_b32_e32 v17, 0x3b800000
	v_lshlrev_b32_e32 v16, 20, v16
	v_and_b32_e32 v7, 0x80000000, v7
	v_lshl_add_u32 v17, v18, 23, v17
	v_or3_b32 v7, v7, v17, v16
.LBB14_1477:
	s_or_b64 exec, exec, s[10:11]
.LBB14_1478:
	s_mov_b64 s[4:5], -1
.LBB14_1479:
	s_mov_b64 s[10:11], 0
.LBB14_1480:
	s_and_b64 vcc, exec, s[10:11]
	s_cbranch_vccz .LBB14_1513
; %bb.1481:
	s_cmp_gt_i32 s22, 22
	s_cbranch_scc0 .LBB14_1491
; %bb.1482:
	s_cmp_lt_i32 s22, 24
	s_cbranch_scc1 .LBB14_1494
; %bb.1483:
	s_cmp_gt_i32 s22, 24
	s_cbranch_scc0 .LBB14_1495
; %bb.1484:
	global_load_ubyte v16, v[0:1], off
	s_movk_i32 s2, 0x7f
	s_waitcnt vmcnt(0)
	v_cmp_lt_i16_e32 vcc, s2, v16
	s_mov_b64 s[2:3], 0
	s_and_saveexec_b64 s[4:5], vcc
	s_xor_b64 s[4:5], exec, s[4:5]
	s_cbranch_execz .LBB14_1507
; %bb.1485:
	s_movk_i32 s2, 0x80
	v_cmp_eq_u16_e32 vcc, s2, v16
	s_mov_b64 s[2:3], -1
	s_and_saveexec_b64 s[10:11], vcc
; %bb.1486:
	s_xor_b64 s[2:3], exec, -1
; %bb.1487:
	s_or_b64 exec, exec, s[10:11]
	s_and_b64 s[2:3], s[2:3], exec
	s_or_saveexec_b64 s[4:5], s[4:5]
	v_mov_b32_e32 v7, 0x7f800001
	s_xor_b64 exec, exec, s[4:5]
	s_cbranch_execnz .LBB14_1508
.LBB14_1488:
	s_or_b64 exec, exec, s[4:5]
	s_and_saveexec_b64 s[4:5], s[2:3]
	s_cbranch_execz .LBB14_1490
.LBB14_1489:
	v_lshlrev_b32_e32 v7, 24, v16
	v_and_b32_e32 v16, 0xffff, v16
	v_and_b32_e32 v17, 3, v16
	v_ffbh_u32_e32 v19, v17
	v_min_u32_e32 v19, 32, v19
	v_subrev_u32_e32 v20, 29, v19
	v_bfe_u32 v18, v16, 2, 5
	v_lshlrev_b32_e32 v16, v20, v16
	v_sub_u32_e32 v19, 30, v19
	v_and_b32_e32 v16, 3, v16
	v_cmp_eq_u32_e32 vcc, 0, v18
	v_cndmask_b32_e32 v18, v18, v19, vcc
	v_cndmask_b32_e32 v16, v17, v16, vcc
	v_mov_b32_e32 v17, 0x37800000
	v_lshlrev_b32_e32 v16, 21, v16
	v_and_b32_e32 v7, 0x80000000, v7
	v_lshl_add_u32 v17, v18, 23, v17
	v_or3_b32 v7, v7, v17, v16
.LBB14_1490:
	s_or_b64 exec, exec, s[4:5]
	s_mov_b64 s[2:3], 0
	s_branch .LBB14_1496
.LBB14_1491:
	s_mov_b64 s[2:3], -1
                                        ; implicit-def: $vgpr7
	s_branch .LBB14_1502
.LBB14_1492:
	s_or_saveexec_b64 s[10:11], s[10:11]
	v_mov_b32_e32 v7, 0x7f800001
	s_xor_b64 exec, exec, s[10:11]
	s_cbranch_execz .LBB14_1475
.LBB14_1493:
	v_cmp_ne_u16_e32 vcc, 0, v16
	s_andn2_b64 s[4:5], s[4:5], exec
	s_and_b64 s[14:15], vcc, exec
	v_mov_b32_e32 v7, 0
	s_or_b64 s[4:5], s[4:5], s[14:15]
	s_or_b64 exec, exec, s[10:11]
	s_and_saveexec_b64 s[10:11], s[4:5]
	s_cbranch_execnz .LBB14_1476
	s_branch .LBB14_1477
.LBB14_1494:
	s_mov_b64 s[2:3], -1
                                        ; implicit-def: $vgpr7
	s_branch .LBB14_1499
.LBB14_1495:
	s_mov_b64 s[2:3], -1
                                        ; implicit-def: $vgpr7
.LBB14_1496:
	s_and_b64 vcc, exec, s[2:3]
	s_cbranch_vccz .LBB14_1498
; %bb.1497:
	global_load_ubyte v7, v[0:1], off
	s_mov_b32 s2, 0x7f800000
	s_waitcnt vmcnt(0)
	v_lshlrev_b32_e32 v7, 24, v7
	v_and_b32_e32 v16, 0x7f000000, v7
	v_ffbh_u32_e32 v17, v16
	v_min_u32_e32 v17, 32, v17
	v_sub_u32_e64 v17, v17, 4 clamp
	v_lshlrev_b32_e32 v19, v17, v16
	v_lshlrev_b32_e32 v17, 23, v17
	v_lshrrev_b32_e32 v19, 4, v19
	v_add_u32_e32 v18, 0x1000000, v16
	v_sub_u32_e32 v17, v19, v17
	v_ashrrev_i32_e32 v18, 8, v18
	v_add_u32_e32 v17, 0x3c000000, v17
	v_and_or_b32 v17, v18, s2, v17
	v_cmp_ne_u32_e32 vcc, 0, v16
	v_cndmask_b32_e32 v16, 0, v17, vcc
	s_brev_b32 s2, 1
	v_and_or_b32 v7, v7, s2, v16
.LBB14_1498:
	s_mov_b64 s[2:3], 0
.LBB14_1499:
	s_andn2_b64 vcc, exec, s[2:3]
	s_cbranch_vccnz .LBB14_1501
; %bb.1500:
	global_load_ubyte v7, v[0:1], off
	s_movk_i32 s2, 0x7f00
	s_brev_b32 s3, 16
	s_waitcnt vmcnt(0)
	v_lshlrev_b16_e32 v16, 8, v7
	v_lshlrev_b32_e32 v7, 25, v7
	v_lshrrev_b32_e32 v17, 4, v7
	v_and_or_b32 v18, v16, s2, 0.5
	v_or_b32_e32 v17, 0x70000000, v17
	v_add_f32_e32 v18, -0.5, v18
	v_mul_f32_e32 v17, 0x7800000, v17
	v_cmp_gt_u32_e32 vcc, s3, v7
	v_bfe_i32 v16, v16, 0, 16
	v_cndmask_b32_e32 v7, v17, v18, vcc
	s_brev_b32 s2, 1
	v_and_or_b32 v7, v16, s2, v7
.LBB14_1501:
	s_mov_b64 s[2:3], 0
	s_mov_b64 s[4:5], -1
.LBB14_1502:
	s_andn2_b64 vcc, exec, s[2:3]
	s_mov_b64 s[2:3], 0
	s_cbranch_vccnz .LBB14_1513
; %bb.1503:
	s_cmp_gt_i32 s22, 14
	s_cbranch_scc0 .LBB14_1506
; %bb.1504:
	s_cmp_eq_u32 s22, 15
	s_cbranch_scc0 .LBB14_1509
; %bb.1505:
	global_load_ushort v7, v[0:1], off
	s_mov_b64 s[0:1], 0
	s_mov_b64 s[4:5], -1
	s_waitcnt vmcnt(0)
	v_lshlrev_b32_e32 v7, 16, v7
	s_branch .LBB14_1510
.LBB14_1506:
	s_mov_b64 s[10:11], -1
                                        ; implicit-def: $vgpr7
	s_branch .LBB14_1511
.LBB14_1507:
	s_or_saveexec_b64 s[4:5], s[4:5]
	v_mov_b32_e32 v7, 0x7f800001
	s_xor_b64 exec, exec, s[4:5]
	s_cbranch_execz .LBB14_1488
.LBB14_1508:
	v_cmp_ne_u16_e32 vcc, 0, v16
	s_andn2_b64 s[2:3], s[2:3], exec
	s_and_b64 s[10:11], vcc, exec
	v_mov_b32_e32 v7, 0
	s_or_b64 s[2:3], s[2:3], s[10:11]
	s_or_b64 exec, exec, s[4:5]
	s_and_saveexec_b64 s[4:5], s[2:3]
	s_cbranch_execnz .LBB14_1489
	s_branch .LBB14_1490
.LBB14_1509:
	s_mov_b64 s[0:1], -1
                                        ; implicit-def: $vgpr7
.LBB14_1510:
	s_mov_b64 s[10:11], 0
.LBB14_1511:
	s_and_b64 vcc, exec, s[10:11]
	s_cbranch_vccz .LBB14_1513
; %bb.1512:
	s_cmp_lg_u32 s22, 11
	s_mov_b64 s[2:3], -1
	s_cselect_b64 s[0:1], -1, 0
.LBB14_1513:
	s_and_b64 vcc, exec, s[0:1]
	s_cbranch_vccnz .LBB14_2050
; %bb.1514:
	s_andn2_b64 vcc, exec, s[2:3]
	s_cbranch_vccnz .LBB14_1516
.LBB14_1515:
	global_load_ubyte v7, v[0:1], off
	s_mov_b64 s[4:5], -1
	s_waitcnt vmcnt(0)
	v_cmp_ne_u16_e32 vcc, 0, v7
	v_cndmask_b32_e64 v7, 0, 1.0, vcc
.LBB14_1516:
	s_mov_b64 s[0:1], 0
.LBB14_1517:
	s_and_b64 vcc, exec, s[0:1]
	s_cbranch_vccz .LBB14_1566
; %bb.1518:
	s_cmp_lt_i32 s22, 5
	s_cbranch_scc1 .LBB14_1523
; %bb.1519:
	s_cmp_lt_i32 s22, 8
	s_cbranch_scc1 .LBB14_1524
	;; [unrolled: 3-line block ×3, first 2 shown]
; %bb.1521:
	s_cmp_gt_i32 s22, 9
	s_cbranch_scc0 .LBB14_1526
; %bb.1522:
	global_load_dwordx2 v[16:17], v[0:1], off
	s_mov_b64 s[0:1], 0
	s_waitcnt vmcnt(0)
	v_cvt_f32_f64_e32 v7, v[16:17]
	s_branch .LBB14_1527
.LBB14_1523:
	s_mov_b64 s[0:1], -1
                                        ; implicit-def: $vgpr7
	s_branch .LBB14_1545
.LBB14_1524:
	s_mov_b64 s[0:1], -1
                                        ; implicit-def: $vgpr7
	s_branch .LBB14_1533
.LBB14_1525:
	s_mov_b64 s[0:1], -1
                                        ; implicit-def: $vgpr7
	s_branch .LBB14_1530
.LBB14_1526:
	s_mov_b64 s[0:1], -1
                                        ; implicit-def: $vgpr7
.LBB14_1527:
	s_andn2_b64 vcc, exec, s[0:1]
	s_cbranch_vccnz .LBB14_1529
; %bb.1528:
	global_load_dword v7, v[0:1], off
.LBB14_1529:
	s_mov_b64 s[0:1], 0
.LBB14_1530:
	s_andn2_b64 vcc, exec, s[0:1]
	s_cbranch_vccnz .LBB14_1532
; %bb.1531:
	global_load_dword v7, v[0:1], off
	s_waitcnt vmcnt(0)
	v_cvt_f32_f16_e32 v7, v7
.LBB14_1532:
	s_mov_b64 s[0:1], 0
.LBB14_1533:
	s_andn2_b64 vcc, exec, s[0:1]
	s_cbranch_vccnz .LBB14_1544
; %bb.1534:
	s_cmp_lt_i32 s22, 6
	s_cbranch_scc1 .LBB14_1537
; %bb.1535:
	s_cmp_gt_i32 s22, 6
	s_cbranch_scc0 .LBB14_1538
; %bb.1536:
	global_load_dwordx2 v[16:17], v[0:1], off
	s_mov_b64 s[0:1], 0
	s_waitcnt vmcnt(0)
	v_cvt_f32_f64_e32 v7, v[16:17]
	s_branch .LBB14_1539
.LBB14_1537:
	s_mov_b64 s[0:1], -1
                                        ; implicit-def: $vgpr7
	s_branch .LBB14_1542
.LBB14_1538:
	s_mov_b64 s[0:1], -1
                                        ; implicit-def: $vgpr7
.LBB14_1539:
	s_andn2_b64 vcc, exec, s[0:1]
	s_cbranch_vccnz .LBB14_1541
; %bb.1540:
	global_load_dword v7, v[0:1], off
.LBB14_1541:
	s_mov_b64 s[0:1], 0
.LBB14_1542:
	s_andn2_b64 vcc, exec, s[0:1]
	s_cbranch_vccnz .LBB14_1544
; %bb.1543:
	global_load_ushort v7, v[0:1], off
	s_waitcnt vmcnt(0)
	v_cvt_f32_f16_e32 v7, v7
.LBB14_1544:
	s_mov_b64 s[0:1], 0
.LBB14_1545:
	s_andn2_b64 vcc, exec, s[0:1]
	s_cbranch_vccnz .LBB14_1565
; %bb.1546:
	s_cmp_lt_i32 s22, 2
	s_cbranch_scc1 .LBB14_1550
; %bb.1547:
	s_cmp_lt_i32 s22, 3
	s_cbranch_scc1 .LBB14_1551
; %bb.1548:
	s_cmp_gt_i32 s22, 3
	s_cbranch_scc0 .LBB14_1552
; %bb.1549:
	global_load_dwordx2 v[16:17], v[0:1], off
	s_mov_b64 s[0:1], 0
	s_waitcnt vmcnt(0)
	v_xor_b32_e32 v18, v16, v17
	v_ffbh_i32_e32 v7, v17
	v_ashrrev_i32_e32 v18, 31, v18
	v_add_u32_e32 v7, -1, v7
	v_add_u32_e32 v18, 32, v18
	v_min_u32_e32 v7, v7, v18
	v_lshlrev_b64 v[16:17], v7, v[16:17]
	v_sub_u32_e32 v7, 32, v7
	v_min_u32_e32 v16, 1, v16
	v_or_b32_e32 v16, v17, v16
	v_cvt_f32_i32_e32 v16, v16
	v_ldexp_f32 v7, v16, v7
	s_branch .LBB14_1553
.LBB14_1550:
	s_mov_b64 s[0:1], -1
                                        ; implicit-def: $vgpr7
	s_branch .LBB14_1559
.LBB14_1551:
	s_mov_b64 s[0:1], -1
                                        ; implicit-def: $vgpr7
	s_branch .LBB14_1556
.LBB14_1552:
	s_mov_b64 s[0:1], -1
                                        ; implicit-def: $vgpr7
.LBB14_1553:
	s_andn2_b64 vcc, exec, s[0:1]
	s_cbranch_vccnz .LBB14_1555
; %bb.1554:
	global_load_dword v7, v[0:1], off
	s_waitcnt vmcnt(0)
	v_cvt_f32_i32_e32 v7, v7
.LBB14_1555:
	s_mov_b64 s[0:1], 0
.LBB14_1556:
	s_andn2_b64 vcc, exec, s[0:1]
	s_cbranch_vccnz .LBB14_1558
; %bb.1557:
	global_load_sshort v7, v[0:1], off
	s_waitcnt vmcnt(0)
	v_cvt_f32_i32_e32 v7, v7
.LBB14_1558:
	s_mov_b64 s[0:1], 0
.LBB14_1559:
	s_andn2_b64 vcc, exec, s[0:1]
	s_cbranch_vccnz .LBB14_1565
; %bb.1560:
	s_cmp_gt_i32 s22, 0
	s_cbranch_scc0 .LBB14_1562
; %bb.1561:
	global_load_sbyte v7, v[0:1], off
	s_mov_b64 s[0:1], 0
	s_waitcnt vmcnt(0)
	v_cvt_f32_i32_e32 v7, v7
	s_branch .LBB14_1563
.LBB14_1562:
	s_mov_b64 s[0:1], -1
                                        ; implicit-def: $vgpr7
.LBB14_1563:
	s_andn2_b64 vcc, exec, s[0:1]
	s_cbranch_vccnz .LBB14_1565
; %bb.1564:
	global_load_ubyte v0, v[0:1], off
	s_waitcnt vmcnt(0)
	v_cvt_f32_ubyte0_e32 v7, v0
.LBB14_1565:
	s_mov_b64 s[4:5], -1
.LBB14_1566:
	s_andn2_b64 vcc, exec, s[4:5]
	s_cbranch_vccnz .LBB14_2004
; %bb.1567:
	s_brev_b32 s0, 18
	s_waitcnt vmcnt(0)
	v_and_b32_e32 v16, 0x7fffffff, v7
	v_cmp_nlt_f32_e64 s[0:1], |v7|, s0
                                        ; implicit-def: $vgpr17
                                        ; implicit-def: $vgpr18
	s_and_saveexec_b64 s[2:3], s[0:1]
	s_xor_b64 s[10:11], exec, s[2:3]
	s_cbranch_execz .LBB14_1569
; %bb.1568:
	v_and_b32_e32 v0, 0x7fffff, v16
	v_or_b32_e32 v25, 0x800000, v0
	s_mov_b32 s0, 0xfe5163ab
	v_mad_u64_u32 v[0:1], s[0:1], v25, s0, 0
	v_mov_b32_e32 v18, 0
	s_mov_b32 s0, 0x3c439041
	v_mov_b32_e32 v17, v1
	v_mad_u64_u32 v[19:20], s[0:1], v25, s0, v[17:18]
	s_mov_b32 s0, 0xdb629599
	v_lshrrev_b32_e32 v1, 23, v16
	v_mov_b32_e32 v17, v20
	v_mad_u64_u32 v[20:21], s[0:1], v25, s0, v[17:18]
	s_mov_b32 s0, 0xf534ddc0
	v_add_u32_e32 v1, 0xffffff88, v1
	v_mov_b32_e32 v17, v21
	v_mad_u64_u32 v[21:22], s[0:1], v25, s0, v[17:18]
	s_mov_b32 s0, 0xfc2757d1
	v_not_b32_e32 v24, 63
	v_mov_b32_e32 v17, v22
	v_mad_u64_u32 v[22:23], s[0:1], v25, s0, v[17:18]
	v_cmp_lt_u32_e32 vcc, 63, v1
	v_cndmask_b32_e32 v17, 0, v24, vcc
	v_add_u32_e32 v1, v17, v1
	v_mov_b32_e32 v17, v23
	s_mov_b32 s0, 0x4e441529
	v_mad_u64_u32 v[23:24], s[0:1], v25, s0, v[17:18]
	v_not_b32_e32 v26, 31
	v_cmp_lt_u32_e64 s[0:1], 31, v1
	v_cndmask_b32_e64 v17, 0, v26, s[0:1]
	v_add_u32_e32 v1, v17, v1
	v_mov_b32_e32 v17, v24
	s_mov_b32 s2, 0xa2f9836e
	v_mad_u64_u32 v[17:18], s[2:3], v25, s2, v[17:18]
	v_cmp_lt_u32_e64 s[2:3], 31, v1
	v_cndmask_b32_e64 v24, 0, v26, s[2:3]
	v_add_u32_e32 v1, v24, v1
	v_cndmask_b32_e32 v24, v23, v21, vcc
	v_cndmask_b32_e32 v17, v17, v22, vcc
	v_cndmask_b32_e32 v18, v18, v23, vcc
	v_cndmask_b32_e64 v25, v17, v24, s[0:1]
	v_cndmask_b32_e64 v17, v18, v17, s[0:1]
	v_cndmask_b32_e32 v18, v22, v20, vcc
	v_cndmask_b32_e64 v22, v24, v18, s[0:1]
	v_cndmask_b32_e64 v17, v17, v25, s[2:3]
	;; [unrolled: 1-line block ×3, first 2 shown]
	v_sub_u32_e32 v24, 32, v1
	v_alignbit_b32 v25, v17, v23, v24
	v_cmp_eq_u32_e64 s[4:5], 0, v1
	v_cndmask_b32_e64 v1, v25, v17, s[4:5]
	v_cndmask_b32_e32 v17, v21, v19, vcc
	v_cndmask_b32_e64 v18, v18, v17, s[0:1]
	v_cndmask_b32_e64 v19, v22, v18, s[2:3]
	v_alignbit_b32 v21, v23, v19, v24
	v_cndmask_b32_e32 v0, v20, v0, vcc
	v_cndmask_b32_e64 v21, v21, v23, s[4:5]
	v_bfe_u32 v25, v1, 29, 1
	v_cndmask_b32_e64 v0, v17, v0, s[0:1]
	v_alignbit_b32 v22, v1, v21, 30
	v_sub_u32_e32 v26, 0, v25
	v_cndmask_b32_e64 v0, v18, v0, s[2:3]
	v_xor_b32_e32 v22, v22, v26
	v_alignbit_b32 v17, v19, v0, v24
	v_cndmask_b32_e64 v17, v17, v19, s[4:5]
	v_ffbh_u32_e32 v19, v22
	v_alignbit_b32 v18, v21, v17, 30
	v_min_u32_e32 v19, 32, v19
	v_alignbit_b32 v0, v17, v0, 30
	v_xor_b32_e32 v18, v18, v26
	v_sub_u32_e32 v20, 31, v19
	v_xor_b32_e32 v0, v0, v26
	v_alignbit_b32 v21, v22, v18, v20
	v_alignbit_b32 v0, v18, v0, v20
	;; [unrolled: 1-line block ×3, first 2 shown]
	v_ffbh_u32_e32 v18, v17
	v_min_u32_e32 v18, 32, v18
	v_lshrrev_b32_e32 v23, 29, v1
	v_not_b32_e32 v20, v18
	v_alignbit_b32 v0, v17, v0, v20
	v_lshlrev_b32_e32 v17, 31, v23
	v_or_b32_e32 v20, 0x33000000, v17
	v_add_lshl_u32 v18, v18, v19, 23
	v_lshrrev_b32_e32 v0, 9, v0
	v_sub_u32_e32 v18, v20, v18
	v_or_b32_e32 v17, 0.5, v17
	v_lshlrev_b32_e32 v19, 23, v19
	v_or_b32_e32 v0, v18, v0
	v_lshrrev_b32_e32 v18, 9, v21
	v_sub_u32_e32 v17, v17, v19
	v_or_b32_e32 v17, v18, v17
	s_mov_b32 s0, 0x3fc90fda
	v_mul_f32_e32 v18, 0x3fc90fda, v17
	v_fma_f32 v19, v17, s0, -v18
	v_fmac_f32_e32 v19, 0x33a22168, v17
	v_fmac_f32_e32 v19, 0x3fc90fda, v0
	v_lshrrev_b32_e32 v0, 30, v1
	v_add_f32_e32 v18, v18, v19
	v_add_u32_e32 v17, v25, v0
.LBB14_1569:
	s_andn2_saveexec_b64 s[0:1], s[10:11]
	s_cbranch_execz .LBB14_1571
; %bb.1570:
	s_mov_b32 s2, 0x3f22f983
	v_mul_f32_e64 v0, |v7|, s2
	v_rndne_f32_e32 v0, v0
	s_mov_b32 s2, 0xbfc90fda
	v_cvt_i32_f32_e32 v17, v0
	v_fma_f32 v18, v0, s2, |v7|
	v_fmac_f32_e32 v18, 0xb3a22168, v0
	v_fmac_f32_e32 v18, 0xa7c234c4, v0
.LBB14_1571:
	s_or_b64 exec, exec, s[0:1]
	v_mul_f32_e32 v0, v9, v9
	v_mov_b32_e32 v1, 0x3c0881c4
	v_fmac_f32_e32 v1, 0xb94c1982, v0
	v_mov_b32_e32 v19, 0xbe2aaa9d
	v_fmac_f32_e32 v19, v0, v1
	v_mul_f32_e32 v1, v0, v19
	v_fmac_f32_e32 v9, v9, v1
	v_mov_b32_e32 v1, 0xbab64f3b
	v_fmac_f32_e32 v1, 0x37d75334, v0
	v_mov_b32_e32 v19, 0x3d2aabf7
	;; [unrolled: 2-line block ×3, first 2 shown]
	v_fmac_f32_e32 v1, v0, v19
	v_fma_f32 v0, v0, v1, 1.0
	v_and_b32_e32 v1, 1, v8
	v_cmp_eq_u32_e32 vcc, 0, v1
	v_lshlrev_b32_e32 v1, 30, v8
	v_mul_lo_u32 v4, s12, v4
	v_and_b32_e32 v1, 0x80000000, v1
	v_xor_b32_e32 v3, v3, v2
	v_cndmask_b32_e32 v0, v0, v9, vcc
	v_xor_b32_e32 v1, v3, v1
	s_movk_i32 s0, 0x1f8
	v_xor_b32_e32 v0, v1, v0
	v_mov_b32_e32 v1, 0x7fc00000
	v_cmp_class_f32_e64 vcc, v2, s0
	v_cndmask_b32_e32 v2, v1, v0, vcc
	v_ashrrev_i32_e32 v1, 31, v4
	v_mov_b32_e32 v3, s9
	s_and_b32 s20, s33, 0xff
	v_add_co_u32_e32 v0, vcc, s8, v4
	s_cmp_lt_i32 s20, 11
	v_addc_co_u32_e32 v1, vcc, v3, v1, vcc
	s_cbranch_scc1 .LBB14_1649
; %bb.1572:
	s_and_b32 s13, 0xffff, s20
	s_mov_b64 s[10:11], -1
	s_mov_b64 s[2:3], 0
	s_cmp_gt_i32 s13, 25
	s_mov_b64 s[4:5], 0
	s_mov_b64 s[0:1], 0
	s_cbranch_scc0 .LBB14_1605
; %bb.1573:
	s_cmp_gt_i32 s13, 28
	s_cbranch_scc0 .LBB14_1588
; %bb.1574:
	s_cmp_gt_i32 s13, 43
	;; [unrolled: 3-line block ×3, first 2 shown]
	s_cbranch_scc0 .LBB14_1578
; %bb.1576:
	s_mov_b64 s[0:1], -1
	s_mov_b64 s[10:11], 0
	s_cmp_eq_u32 s13, 46
	s_cbranch_scc0 .LBB14_1578
; %bb.1577:
	v_bfe_u32 v3, v2, 16, 1
	s_movk_i32 s0, 0x7fff
	v_add3_u32 v3, v2, v3, s0
	v_cmp_o_f32_e32 vcc, v2, v2
	v_mov_b32_e32 v8, 0x7fc0
	v_cndmask_b32_sdwa v3, v8, v3, vcc dst_sel:DWORD dst_unused:UNUSED_PAD src0_sel:DWORD src1_sel:WORD_1
	global_store_dword v[0:1], v3, off
	s_mov_b64 s[0:1], 0
	s_mov_b64 s[4:5], -1
.LBB14_1578:
	s_and_b64 vcc, exec, s[10:11]
	s_cbranch_vccz .LBB14_1583
; %bb.1579:
	s_cmp_eq_u32 s13, 44
	s_mov_b64 s[0:1], -1
	s_cbranch_scc0 .LBB14_1583
; %bb.1580:
	v_bfe_u32 v3, v2, 23, 8
	s_movk_i32 s0, 0xff
	v_cmp_ne_u32_e32 vcc, s0, v3
	v_mov_b32_e32 v8, 0xff
	s_and_saveexec_b64 s[4:5], vcc
; %bb.1581:
	s_mov_b32 s0, 0x3fffff
	v_and_b32_e32 v9, 0x400000, v2
	v_and_or_b32 v3, v2, s0, v3
	v_cmp_ne_u32_e32 vcc, 0, v9
	v_cmp_ne_u32_e64 s[0:1], 0, v3
	s_and_b64 s[0:1], vcc, s[0:1]
	v_lshrrev_b32_e32 v8, 23, v2
	v_cndmask_b32_e64 v3, 0, 1, s[0:1]
	v_add_u32_e32 v8, v8, v3
; %bb.1582:
	s_or_b64 exec, exec, s[4:5]
	s_mov_b64 s[0:1], 0
	s_mov_b64 s[4:5], -1
	global_store_byte v[0:1], v8, off
.LBB14_1583:
	s_mov_b64 s[10:11], 0
.LBB14_1584:
	s_and_b64 vcc, exec, s[10:11]
	s_cbranch_vccz .LBB14_1587
; %bb.1585:
	s_cmp_eq_u32 s13, 29
	s_mov_b64 s[0:1], -1
	s_cbranch_scc0 .LBB14_1587
; %bb.1586:
	v_trunc_f32_e32 v3, v2
	v_mul_f32_e32 v8, 0x2f800000, v3
	v_floor_f32_e32 v8, v8
	v_fmac_f32_e32 v3, 0xcf800000, v8
	v_cvt_u32_f32_e32 v9, v8
	v_cvt_u32_f32_e32 v8, v3
	s_mov_b64 s[0:1], 0
	s_mov_b64 s[4:5], -1
	global_store_dwordx2 v[0:1], v[8:9], off
.LBB14_1587:
	s_mov_b64 s[10:11], 0
.LBB14_1588:
	s_and_b64 vcc, exec, s[10:11]
	s_cbranch_vccz .LBB14_1604
; %bb.1589:
	s_cmp_lt_i32 s13, 27
	s_mov_b64 s[4:5], -1
	s_cbranch_scc1 .LBB14_1595
; %bb.1590:
	v_cvt_u32_f32_e32 v3, v2
	s_cmp_gt_i32 s13, 27
	s_cbranch_scc0 .LBB14_1592
; %bb.1591:
	s_mov_b64 s[4:5], 0
	global_store_dword v[0:1], v3, off
.LBB14_1592:
	s_andn2_b64 vcc, exec, s[4:5]
	s_cbranch_vccnz .LBB14_1594
; %bb.1593:
	global_store_short v[0:1], v3, off
.LBB14_1594:
	s_mov_b64 s[4:5], 0
.LBB14_1595:
	s_andn2_b64 vcc, exec, s[4:5]
	s_cbranch_vccnz .LBB14_1603
; %bb.1596:
	v_and_b32_e32 v3, 0x7fffffff, v2
	s_mov_b32 s4, 0x43800000
	v_cmp_gt_u32_e32 vcc, s4, v3
	v_mov_b32_e32 v8, 0x80
	s_and_saveexec_b64 s[4:5], vcc
	s_cbranch_execz .LBB14_1602
; %bb.1597:
	s_mov_b32 s10, 0x3bffffff
	v_cmp_lt_u32_e32 vcc, s10, v3
	s_mov_b64 s[10:11], 0
                                        ; implicit-def: $vgpr3
	s_and_saveexec_b64 s[14:15], vcc
	s_xor_b64 s[14:15], exec, s[14:15]
	s_cbranch_execz .LBB14_2051
; %bb.1598:
	v_bfe_u32 v3, v2, 20, 1
	s_mov_b32 s21, 0x487ffff
	v_add3_u32 v3, v2, v3, s21
	s_mov_b64 s[10:11], exec
	v_lshrrev_b32_e32 v3, 20, v3
	s_andn2_saveexec_b64 s[14:15], s[14:15]
	s_cbranch_execnz .LBB14_2052
.LBB14_1599:
	s_or_b64 exec, exec, s[14:15]
	v_mov_b32_e32 v8, 0
	s_and_saveexec_b64 s[14:15], s[10:11]
.LBB14_1600:
	v_lshrrev_b32_e32 v8, 24, v2
	s_movk_i32 s10, 0x80
	v_and_or_b32 v8, v8, s10, v3
.LBB14_1601:
	s_or_b64 exec, exec, s[14:15]
.LBB14_1602:
	s_or_b64 exec, exec, s[4:5]
	global_store_byte v[0:1], v8, off
.LBB14_1603:
	s_mov_b64 s[4:5], -1
.LBB14_1604:
	s_mov_b64 s[10:11], 0
.LBB14_1605:
	s_and_b64 vcc, exec, s[10:11]
	s_cbranch_vccz .LBB14_1645
; %bb.1606:
	s_cmp_gt_i32 s13, 22
	s_mov_b64 s[2:3], -1
	s_cbranch_scc0 .LBB14_1638
; %bb.1607:
	s_cmp_lt_i32 s13, 24
	s_cbranch_scc1 .LBB14_1627
; %bb.1608:
	s_cmp_gt_i32 s13, 24
	s_cbranch_scc0 .LBB14_1616
; %bb.1609:
	v_and_b32_e32 v3, 0x7fffffff, v2
	s_mov_b32 s2, 0x47800000
	v_cmp_gt_u32_e32 vcc, s2, v3
	v_mov_b32_e32 v8, 0x80
	s_and_saveexec_b64 s[2:3], vcc
	s_cbranch_execz .LBB14_1615
; %bb.1610:
	s_mov_b32 s4, 0x37ffffff
	v_cmp_lt_u32_e32 vcc, s4, v3
	s_mov_b64 s[4:5], 0
                                        ; implicit-def: $vgpr3
	s_and_saveexec_b64 s[10:11], vcc
	s_xor_b64 s[10:11], exec, s[10:11]
	s_cbranch_execz .LBB14_2054
; %bb.1611:
	v_bfe_u32 v3, v2, 21, 1
	s_mov_b32 s14, 0x88fffff
	v_add3_u32 v3, v2, v3, s14
	s_mov_b64 s[4:5], exec
	v_lshrrev_b32_e32 v3, 21, v3
	s_andn2_saveexec_b64 s[10:11], s[10:11]
	s_cbranch_execnz .LBB14_2055
.LBB14_1612:
	s_or_b64 exec, exec, s[10:11]
	v_mov_b32_e32 v8, 0
	s_and_saveexec_b64 s[10:11], s[4:5]
.LBB14_1613:
	v_lshrrev_b32_e32 v8, 24, v2
	s_movk_i32 s4, 0x80
	v_and_or_b32 v8, v8, s4, v3
.LBB14_1614:
	s_or_b64 exec, exec, s[10:11]
.LBB14_1615:
	s_or_b64 exec, exec, s[2:3]
	s_mov_b64 s[2:3], 0
	global_store_byte v[0:1], v8, off
.LBB14_1616:
	s_and_b64 vcc, exec, s[2:3]
	s_cbranch_vccz .LBB14_1626
; %bb.1617:
	v_and_b32_e32 v8, 0x7fffffff, v2
	s_mov_b32 s2, 0x43f00000
	v_cmp_gt_u32_e32 vcc, s2, v8
                                        ; implicit-def: $vgpr3
	s_and_saveexec_b64 s[2:3], vcc
	s_xor_b64 s[2:3], exec, s[2:3]
	s_cbranch_execz .LBB14_1623
; %bb.1618:
	s_mov_b32 s4, 0x3c7fffff
	v_cmp_lt_u32_e32 vcc, s4, v8
                                        ; implicit-def: $vgpr3
	s_and_saveexec_b64 s[4:5], vcc
	s_xor_b64 s[4:5], exec, s[4:5]
; %bb.1619:
	v_bfe_u32 v3, v2, 20, 1
	s_mov_b32 s10, 0x407ffff
	v_add3_u32 v3, v2, v3, s10
	v_lshrrev_b32_e32 v8, 20, v3
	v_and_b32_e32 v3, 0xff00000, v3
	s_mov_b32 s10, 0x7f00000
	v_mov_b32_e32 v9, 0x7e
	v_cmp_ne_u32_e32 vcc, s10, v3
	v_cndmask_b32_e32 v3, v9, v8, vcc
; %bb.1620:
	s_andn2_saveexec_b64 s[4:5], s[4:5]
; %bb.1621:
	s_mov_b32 s10, 0x46800000
	v_add_f32_e64 v3, |v2|, s10
; %bb.1622:
	s_or_b64 exec, exec, s[4:5]
                                        ; implicit-def: $vgpr8
.LBB14_1623:
	s_andn2_saveexec_b64 s[2:3], s[2:3]
; %bb.1624:
	s_mov_b32 s4, 0x7f800000
	v_mov_b32_e32 v3, 0x7e
	v_mov_b32_e32 v9, 0x7f
	v_cmp_lt_u32_e32 vcc, s4, v8
	v_cndmask_b32_e32 v3, v3, v9, vcc
; %bb.1625:
	s_or_b64 exec, exec, s[2:3]
	v_lshrrev_b32_e32 v8, 24, v2
	s_movk_i32 s2, 0x80
	v_and_or_b32 v3, v8, s2, v3
	global_store_byte v[0:1], v3, off
.LBB14_1626:
	s_mov_b64 s[2:3], 0
.LBB14_1627:
	s_andn2_b64 vcc, exec, s[2:3]
	s_cbranch_vccnz .LBB14_1637
; %bb.1628:
	v_and_b32_e32 v8, 0x7fffffff, v2
	s_mov_b32 s2, 0x47800000
	v_cmp_gt_u32_e32 vcc, s2, v8
                                        ; implicit-def: $vgpr3
	s_and_saveexec_b64 s[2:3], vcc
	s_xor_b64 s[2:3], exec, s[2:3]
	s_cbranch_execz .LBB14_1634
; %bb.1629:
	s_mov_b32 s4, 0x387fffff
	v_cmp_lt_u32_e32 vcc, s4, v8
                                        ; implicit-def: $vgpr3
	s_and_saveexec_b64 s[4:5], vcc
	s_xor_b64 s[4:5], exec, s[4:5]
; %bb.1630:
	v_bfe_u32 v3, v2, 21, 1
	s_mov_b32 s10, 0x80fffff
	v_add3_u32 v3, v2, v3, s10
	v_lshrrev_b32_e32 v3, 21, v3
; %bb.1631:
	s_andn2_saveexec_b64 s[4:5], s[4:5]
; %bb.1632:
	s_mov_b32 s10, 0x43000000
	v_add_f32_e64 v3, |v2|, s10
; %bb.1633:
	s_or_b64 exec, exec, s[4:5]
                                        ; implicit-def: $vgpr8
.LBB14_1634:
	s_andn2_saveexec_b64 s[2:3], s[2:3]
; %bb.1635:
	s_mov_b32 s4, 0x7f800000
	v_mov_b32_e32 v3, 0x7c
	v_mov_b32_e32 v9, 0x7f
	v_cmp_lt_u32_e32 vcc, s4, v8
	v_cndmask_b32_e32 v3, v3, v9, vcc
; %bb.1636:
	s_or_b64 exec, exec, s[2:3]
	v_lshrrev_b32_e32 v8, 24, v2
	s_movk_i32 s2, 0x80
	v_and_or_b32 v3, v8, s2, v3
	global_store_byte v[0:1], v3, off
.LBB14_1637:
	s_mov_b64 s[2:3], 0
	s_mov_b64 s[4:5], -1
.LBB14_1638:
	s_andn2_b64 vcc, exec, s[2:3]
	s_mov_b64 s[2:3], 0
	s_cbranch_vccnz .LBB14_1645
; %bb.1639:
	s_cmp_gt_i32 s13, 14
	s_mov_b64 s[10:11], -1
	s_cbranch_scc0 .LBB14_1643
; %bb.1640:
	s_cmp_eq_u32 s13, 15
	s_mov_b64 s[0:1], -1
	s_cbranch_scc0 .LBB14_1642
; %bb.1641:
	v_bfe_u32 v3, v2, 16, 1
	s_movk_i32 s0, 0x7fff
	v_add3_u32 v3, v2, v3, s0
	v_cmp_o_f32_e32 vcc, v2, v2
	v_mov_b32_e32 v8, 0x7fc0
	v_cndmask_b32_sdwa v3, v8, v3, vcc dst_sel:DWORD dst_unused:UNUSED_PAD src0_sel:DWORD src1_sel:WORD_1
	global_store_short v[0:1], v3, off
	s_mov_b64 s[0:1], 0
	s_mov_b64 s[4:5], -1
.LBB14_1642:
	s_mov_b64 s[10:11], 0
.LBB14_1643:
	s_and_b64 vcc, exec, s[10:11]
	s_cbranch_vccz .LBB14_1645
; %bb.1644:
	s_cmp_lg_u32 s13, 11
	s_mov_b64 s[2:3], -1
	s_cselect_b64 s[0:1], -1, 0
.LBB14_1645:
	s_and_b64 vcc, exec, s[0:1]
	s_cbranch_vccnz .LBB14_2053
; %bb.1646:
	s_andn2_b64 vcc, exec, s[2:3]
	s_cbranch_vccnz .LBB14_1648
.LBB14_1647:
	v_cmp_neq_f32_e32 vcc, 0, v2
	v_cndmask_b32_e64 v3, 0, 1, vcc
	s_mov_b64 s[4:5], -1
	global_store_byte v[0:1], v3, off
.LBB14_1648:
	s_mov_b64 s[0:1], 0
	s_branch .LBB14_1650
.LBB14_1649:
	s_mov_b64 s[0:1], -1
	s_mov_b64 s[4:5], 0
.LBB14_1650:
	s_and_b64 vcc, exec, s[0:1]
	s_cbranch_vccz .LBB14_1689
; %bb.1651:
	s_and_b32 s2, 0xffff, s20
	s_cmp_lt_i32 s2, 5
	s_mov_b64 s[0:1], -1
	s_cbranch_scc1 .LBB14_1672
; %bb.1652:
	s_cmp_lt_i32 s2, 8
	s_cbranch_scc1 .LBB14_1662
; %bb.1653:
	s_cmp_lt_i32 s2, 9
	s_cbranch_scc1 .LBB14_1659
; %bb.1654:
	s_cmp_gt_i32 s2, 9
	s_cbranch_scc0 .LBB14_1656
; %bb.1655:
	v_cvt_f64_f32_e32 v[19:20], v2
	v_mov_b32_e32 v21, 0
	v_mov_b32_e32 v22, v21
	s_mov_b64 s[0:1], 0
	global_store_dwordx4 v[0:1], v[19:22], off
.LBB14_1656:
	s_andn2_b64 vcc, exec, s[0:1]
	s_cbranch_vccnz .LBB14_1658
; %bb.1657:
	v_mov_b32_e32 v3, 0
	global_store_dwordx2 v[0:1], v[2:3], off
.LBB14_1658:
	s_mov_b64 s[0:1], 0
.LBB14_1659:
	s_andn2_b64 vcc, exec, s[0:1]
	s_cbranch_vccnz .LBB14_1661
; %bb.1660:
	v_cvt_f16_f32_e32 v3, v2
	global_store_dword v[0:1], v3, off
.LBB14_1661:
	s_mov_b64 s[0:1], 0
.LBB14_1662:
	s_andn2_b64 vcc, exec, s[0:1]
	s_cbranch_vccnz .LBB14_1671
; %bb.1663:
	s_cmp_lt_i32 s2, 6
	s_mov_b64 s[0:1], -1
	s_cbranch_scc1 .LBB14_1669
; %bb.1664:
	s_cmp_gt_i32 s2, 6
	s_cbranch_scc0 .LBB14_1666
; %bb.1665:
	v_cvt_f64_f32_e32 v[8:9], v2
	s_mov_b64 s[0:1], 0
	global_store_dwordx2 v[0:1], v[8:9], off
.LBB14_1666:
	s_andn2_b64 vcc, exec, s[0:1]
	s_cbranch_vccnz .LBB14_1668
; %bb.1667:
	global_store_dword v[0:1], v2, off
.LBB14_1668:
	s_mov_b64 s[0:1], 0
.LBB14_1669:
	s_andn2_b64 vcc, exec, s[0:1]
	s_cbranch_vccnz .LBB14_1671
; %bb.1670:
	v_cvt_f16_f32_e32 v3, v2
	global_store_short v[0:1], v3, off
.LBB14_1671:
	s_mov_b64 s[0:1], 0
.LBB14_1672:
	s_andn2_b64 vcc, exec, s[0:1]
	s_cbranch_vccnz .LBB14_1688
; %bb.1673:
	s_cmp_lt_i32 s2, 2
	s_mov_b64 s[0:1], -1
	s_cbranch_scc1 .LBB14_1683
; %bb.1674:
	s_cmp_lt_i32 s2, 3
	s_cbranch_scc1 .LBB14_1680
; %bb.1675:
	s_cmp_gt_i32 s2, 3
	s_cbranch_scc0 .LBB14_1677
; %bb.1676:
	v_trunc_f32_e32 v3, v2
	s_mov_b32 s0, 0x2f800000
	v_mul_f32_e64 v8, |v3|, s0
	v_floor_f32_e32 v8, v8
	s_mov_b32 s0, 0xcf800000
	v_cvt_u32_f32_e32 v9, v8
	v_fma_f32 v8, v8, s0, |v3|
	v_cvt_u32_f32_e32 v8, v8
	v_ashrrev_i32_e32 v3, 31, v3
	v_xor_b32_e32 v9, v9, v3
	s_mov_b64 s[0:1], 0
	v_xor_b32_e32 v8, v8, v3
	v_sub_co_u32_e32 v8, vcc, v8, v3
	v_subb_co_u32_e32 v9, vcc, v9, v3, vcc
	global_store_dwordx2 v[0:1], v[8:9], off
.LBB14_1677:
	s_andn2_b64 vcc, exec, s[0:1]
	s_cbranch_vccnz .LBB14_1679
; %bb.1678:
	v_cvt_i32_f32_e32 v3, v2
	global_store_dword v[0:1], v3, off
.LBB14_1679:
	s_mov_b64 s[0:1], 0
.LBB14_1680:
	s_andn2_b64 vcc, exec, s[0:1]
	s_cbranch_vccnz .LBB14_1682
; %bb.1681:
	v_cvt_i32_f32_e32 v3, v2
	global_store_short v[0:1], v3, off
.LBB14_1682:
	s_mov_b64 s[0:1], 0
.LBB14_1683:
	s_andn2_b64 vcc, exec, s[0:1]
	s_cbranch_vccnz .LBB14_1688
; %bb.1684:
	s_cmp_gt_i32 s2, 0
	s_mov_b64 s[0:1], -1
	s_cbranch_scc0 .LBB14_1686
; %bb.1685:
	v_cvt_i32_f32_e32 v3, v2
	s_mov_b64 s[0:1], 0
	global_store_byte v[0:1], v3, off
.LBB14_1686:
	s_andn2_b64 vcc, exec, s[0:1]
	s_cbranch_vccnz .LBB14_1688
; %bb.1687:
	v_trunc_f32_e32 v2, v2
	s_mov_b32 s0, 0x2f800000
	v_mul_f32_e64 v3, |v2|, s0
	v_floor_f32_e32 v3, v3
	s_mov_b32 s0, 0xcf800000
	v_fma_f32 v3, v3, s0, |v2|
	v_cvt_u32_f32_e32 v3, v3
	v_ashrrev_i32_e32 v2, 31, v2
	v_xor_b32_e32 v3, v3, v2
	v_sub_u32_e32 v2, v3, v2
	global_store_byte v[0:1], v2, off
.LBB14_1688:
	s_mov_b64 s[4:5], -1
.LBB14_1689:
	s_andn2_b64 vcc, exec, s[4:5]
	s_cbranch_vccnz .LBB14_2004
; %bb.1690:
	v_mul_f32_e32 v0, v12, v12
	v_mov_b32_e32 v1, 0x3c0881c4
	v_fmac_f32_e32 v1, 0xb94c1982, v0
	v_mov_b32_e32 v2, 0xbe2aaa9d
	v_fmac_f32_e32 v2, v0, v1
	v_mul_f32_e32 v1, v0, v2
	v_fmac_f32_e32 v12, v12, v1
	v_mov_b32_e32 v1, 0xbab64f3b
	v_fmac_f32_e32 v1, 0x37d75334, v0
	v_mov_b32_e32 v2, 0x3d2aabf7
	;; [unrolled: 2-line block ×3, first 2 shown]
	v_fmac_f32_e32 v1, v0, v2
	v_fma_f32 v0, v0, v1, 1.0
	v_and_b32_e32 v1, 1, v11
	v_cmp_eq_u32_e32 vcc, 0, v1
	v_lshlrev_b32_e32 v1, 30, v11
	v_and_b32_e32 v1, 0x80000000, v1
	v_xor_b32_e32 v2, v10, v5
	v_cndmask_b32_e32 v0, v0, v12, vcc
	v_xor_b32_e32 v1, v2, v1
	s_movk_i32 s0, 0x1f8
	s_lshl_b32 s14, s12, 7
	v_xor_b32_e32 v0, v1, v0
	v_mov_b32_e32 v1, 0x7fc00000
	v_cmp_class_f32_e64 vcc, v5, s0
	v_add_u32_e32 v4, s14, v4
	v_cndmask_b32_e32 v2, v1, v0, vcc
	v_ashrrev_i32_e32 v1, 31, v4
	v_mov_b32_e32 v3, s9
	v_add_co_u32_e32 v0, vcc, s8, v4
	s_cmp_lt_i32 s20, 11
	v_addc_co_u32_e32 v1, vcc, v3, v1, vcc
	s_cbranch_scc1 .LBB14_1768
; %bb.1691:
	s_and_b32 s15, 0xffff, s20
	s_mov_b64 s[10:11], -1
	s_mov_b64 s[2:3], 0
	s_cmp_gt_i32 s15, 25
	s_mov_b64 s[4:5], 0
	s_mov_b64 s[0:1], 0
	s_cbranch_scc0 .LBB14_1724
; %bb.1692:
	s_cmp_gt_i32 s15, 28
	s_cbranch_scc0 .LBB14_1707
; %bb.1693:
	s_cmp_gt_i32 s15, 43
	;; [unrolled: 3-line block ×3, first 2 shown]
	s_cbranch_scc0 .LBB14_1697
; %bb.1695:
	s_mov_b64 s[0:1], -1
	s_mov_b64 s[10:11], 0
	s_cmp_eq_u32 s15, 46
	s_cbranch_scc0 .LBB14_1697
; %bb.1696:
	v_bfe_u32 v3, v2, 16, 1
	s_movk_i32 s0, 0x7fff
	v_add3_u32 v3, v2, v3, s0
	v_cmp_o_f32_e32 vcc, v2, v2
	v_mov_b32_e32 v5, 0x7fc0
	v_cndmask_b32_sdwa v3, v5, v3, vcc dst_sel:DWORD dst_unused:UNUSED_PAD src0_sel:DWORD src1_sel:WORD_1
	global_store_dword v[0:1], v3, off
	s_mov_b64 s[0:1], 0
	s_mov_b64 s[4:5], -1
.LBB14_1697:
	s_and_b64 vcc, exec, s[10:11]
	s_cbranch_vccz .LBB14_1702
; %bb.1698:
	s_cmp_eq_u32 s15, 44
	s_mov_b64 s[0:1], -1
	s_cbranch_scc0 .LBB14_1702
; %bb.1699:
	v_bfe_u32 v3, v2, 23, 8
	s_movk_i32 s0, 0xff
	v_cmp_ne_u32_e32 vcc, s0, v3
	v_mov_b32_e32 v5, 0xff
	s_and_saveexec_b64 s[4:5], vcc
; %bb.1700:
	s_mov_b32 s0, 0x3fffff
	v_and_b32_e32 v8, 0x400000, v2
	v_and_or_b32 v3, v2, s0, v3
	v_cmp_ne_u32_e32 vcc, 0, v8
	v_cmp_ne_u32_e64 s[0:1], 0, v3
	s_and_b64 s[0:1], vcc, s[0:1]
	v_lshrrev_b32_e32 v5, 23, v2
	v_cndmask_b32_e64 v3, 0, 1, s[0:1]
	v_add_u32_e32 v5, v5, v3
; %bb.1701:
	s_or_b64 exec, exec, s[4:5]
	s_mov_b64 s[0:1], 0
	s_mov_b64 s[4:5], -1
	global_store_byte v[0:1], v5, off
.LBB14_1702:
	s_mov_b64 s[10:11], 0
.LBB14_1703:
	s_and_b64 vcc, exec, s[10:11]
	s_cbranch_vccz .LBB14_1706
; %bb.1704:
	s_cmp_eq_u32 s15, 29
	s_mov_b64 s[0:1], -1
	s_cbranch_scc0 .LBB14_1706
; %bb.1705:
	v_trunc_f32_e32 v3, v2
	v_mul_f32_e32 v5, 0x2f800000, v3
	v_floor_f32_e32 v5, v5
	v_fmac_f32_e32 v3, 0xcf800000, v5
	v_cvt_u32_f32_e32 v9, v5
	v_cvt_u32_f32_e32 v8, v3
	s_mov_b64 s[0:1], 0
	s_mov_b64 s[4:5], -1
	global_store_dwordx2 v[0:1], v[8:9], off
.LBB14_1706:
	s_mov_b64 s[10:11], 0
.LBB14_1707:
	s_and_b64 vcc, exec, s[10:11]
	s_cbranch_vccz .LBB14_1723
; %bb.1708:
	s_cmp_lt_i32 s15, 27
	s_mov_b64 s[4:5], -1
	s_cbranch_scc1 .LBB14_1714
; %bb.1709:
	v_cvt_u32_f32_e32 v3, v2
	s_cmp_gt_i32 s15, 27
	s_cbranch_scc0 .LBB14_1711
; %bb.1710:
	s_mov_b64 s[4:5], 0
	global_store_dword v[0:1], v3, off
.LBB14_1711:
	s_andn2_b64 vcc, exec, s[4:5]
	s_cbranch_vccnz .LBB14_1713
; %bb.1712:
	global_store_short v[0:1], v3, off
.LBB14_1713:
	s_mov_b64 s[4:5], 0
.LBB14_1714:
	s_andn2_b64 vcc, exec, s[4:5]
	s_cbranch_vccnz .LBB14_1722
; %bb.1715:
	v_and_b32_e32 v3, 0x7fffffff, v2
	s_mov_b32 s4, 0x43800000
	v_cmp_gt_u32_e32 vcc, s4, v3
	v_mov_b32_e32 v5, 0x80
	s_and_saveexec_b64 s[4:5], vcc
	s_cbranch_execz .LBB14_1721
; %bb.1716:
	s_mov_b32 s10, 0x3bffffff
	v_cmp_lt_u32_e32 vcc, s10, v3
	s_mov_b64 s[10:11], 0
                                        ; implicit-def: $vgpr3
	s_and_saveexec_b64 s[12:13], vcc
	s_xor_b64 s[12:13], exec, s[12:13]
	s_cbranch_execz .LBB14_2056
; %bb.1717:
	v_bfe_u32 v3, v2, 20, 1
	s_mov_b32 s21, 0x487ffff
	v_add3_u32 v3, v2, v3, s21
	s_mov_b64 s[10:11], exec
	v_lshrrev_b32_e32 v3, 20, v3
	s_andn2_saveexec_b64 s[12:13], s[12:13]
	s_cbranch_execnz .LBB14_2057
.LBB14_1718:
	s_or_b64 exec, exec, s[12:13]
	v_mov_b32_e32 v5, 0
	s_and_saveexec_b64 s[12:13], s[10:11]
.LBB14_1719:
	v_lshrrev_b32_e32 v5, 24, v2
	s_movk_i32 s10, 0x80
	v_and_or_b32 v5, v5, s10, v3
.LBB14_1720:
	s_or_b64 exec, exec, s[12:13]
.LBB14_1721:
	s_or_b64 exec, exec, s[4:5]
	global_store_byte v[0:1], v5, off
.LBB14_1722:
	s_mov_b64 s[4:5], -1
.LBB14_1723:
	s_mov_b64 s[10:11], 0
.LBB14_1724:
	s_and_b64 vcc, exec, s[10:11]
	s_cbranch_vccz .LBB14_1764
; %bb.1725:
	s_cmp_gt_i32 s15, 22
	s_mov_b64 s[2:3], -1
	s_cbranch_scc0 .LBB14_1757
; %bb.1726:
	s_cmp_lt_i32 s15, 24
	s_cbranch_scc1 .LBB14_1746
; %bb.1727:
	s_cmp_gt_i32 s15, 24
	s_cbranch_scc0 .LBB14_1735
; %bb.1728:
	v_and_b32_e32 v3, 0x7fffffff, v2
	s_mov_b32 s2, 0x47800000
	v_cmp_gt_u32_e32 vcc, s2, v3
	v_mov_b32_e32 v5, 0x80
	s_and_saveexec_b64 s[2:3], vcc
	s_cbranch_execz .LBB14_1734
; %bb.1729:
	s_mov_b32 s4, 0x37ffffff
	v_cmp_lt_u32_e32 vcc, s4, v3
	s_mov_b64 s[4:5], 0
                                        ; implicit-def: $vgpr3
	s_and_saveexec_b64 s[10:11], vcc
	s_xor_b64 s[10:11], exec, s[10:11]
	s_cbranch_execz .LBB14_2059
; %bb.1730:
	v_bfe_u32 v3, v2, 21, 1
	s_mov_b32 s12, 0x88fffff
	v_add3_u32 v3, v2, v3, s12
	s_mov_b64 s[4:5], exec
	v_lshrrev_b32_e32 v3, 21, v3
	s_andn2_saveexec_b64 s[10:11], s[10:11]
	s_cbranch_execnz .LBB14_2060
.LBB14_1731:
	s_or_b64 exec, exec, s[10:11]
	v_mov_b32_e32 v5, 0
	s_and_saveexec_b64 s[10:11], s[4:5]
.LBB14_1732:
	v_lshrrev_b32_e32 v5, 24, v2
	s_movk_i32 s4, 0x80
	v_and_or_b32 v5, v5, s4, v3
.LBB14_1733:
	s_or_b64 exec, exec, s[10:11]
.LBB14_1734:
	s_or_b64 exec, exec, s[2:3]
	s_mov_b64 s[2:3], 0
	global_store_byte v[0:1], v5, off
.LBB14_1735:
	s_and_b64 vcc, exec, s[2:3]
	s_cbranch_vccz .LBB14_1745
; %bb.1736:
	v_and_b32_e32 v5, 0x7fffffff, v2
	s_mov_b32 s2, 0x43f00000
	v_cmp_gt_u32_e32 vcc, s2, v5
                                        ; implicit-def: $vgpr3
	s_and_saveexec_b64 s[2:3], vcc
	s_xor_b64 s[2:3], exec, s[2:3]
	s_cbranch_execz .LBB14_1742
; %bb.1737:
	s_mov_b32 s4, 0x3c7fffff
	v_cmp_lt_u32_e32 vcc, s4, v5
                                        ; implicit-def: $vgpr3
	s_and_saveexec_b64 s[4:5], vcc
	s_xor_b64 s[4:5], exec, s[4:5]
; %bb.1738:
	v_bfe_u32 v3, v2, 20, 1
	s_mov_b32 s10, 0x407ffff
	v_add3_u32 v3, v2, v3, s10
	v_lshrrev_b32_e32 v5, 20, v3
	v_and_b32_e32 v3, 0xff00000, v3
	s_mov_b32 s10, 0x7f00000
	v_mov_b32_e32 v8, 0x7e
	v_cmp_ne_u32_e32 vcc, s10, v3
	v_cndmask_b32_e32 v3, v8, v5, vcc
; %bb.1739:
	s_andn2_saveexec_b64 s[4:5], s[4:5]
; %bb.1740:
	s_mov_b32 s10, 0x46800000
	v_add_f32_e64 v3, |v2|, s10
; %bb.1741:
	s_or_b64 exec, exec, s[4:5]
                                        ; implicit-def: $vgpr5
.LBB14_1742:
	s_andn2_saveexec_b64 s[2:3], s[2:3]
; %bb.1743:
	s_mov_b32 s4, 0x7f800000
	v_mov_b32_e32 v3, 0x7e
	v_mov_b32_e32 v8, 0x7f
	v_cmp_lt_u32_e32 vcc, s4, v5
	v_cndmask_b32_e32 v3, v3, v8, vcc
; %bb.1744:
	s_or_b64 exec, exec, s[2:3]
	v_lshrrev_b32_e32 v5, 24, v2
	s_movk_i32 s2, 0x80
	v_and_or_b32 v3, v5, s2, v3
	global_store_byte v[0:1], v3, off
.LBB14_1745:
	s_mov_b64 s[2:3], 0
.LBB14_1746:
	s_andn2_b64 vcc, exec, s[2:3]
	s_cbranch_vccnz .LBB14_1756
; %bb.1747:
	v_and_b32_e32 v5, 0x7fffffff, v2
	s_mov_b32 s2, 0x47800000
	v_cmp_gt_u32_e32 vcc, s2, v5
                                        ; implicit-def: $vgpr3
	s_and_saveexec_b64 s[2:3], vcc
	s_xor_b64 s[2:3], exec, s[2:3]
	s_cbranch_execz .LBB14_1753
; %bb.1748:
	s_mov_b32 s4, 0x387fffff
	v_cmp_lt_u32_e32 vcc, s4, v5
                                        ; implicit-def: $vgpr3
	s_and_saveexec_b64 s[4:5], vcc
	s_xor_b64 s[4:5], exec, s[4:5]
; %bb.1749:
	v_bfe_u32 v3, v2, 21, 1
	s_mov_b32 s10, 0x80fffff
	v_add3_u32 v3, v2, v3, s10
	v_lshrrev_b32_e32 v3, 21, v3
; %bb.1750:
	s_andn2_saveexec_b64 s[4:5], s[4:5]
; %bb.1751:
	s_mov_b32 s10, 0x43000000
	v_add_f32_e64 v3, |v2|, s10
; %bb.1752:
	s_or_b64 exec, exec, s[4:5]
                                        ; implicit-def: $vgpr5
.LBB14_1753:
	s_andn2_saveexec_b64 s[2:3], s[2:3]
; %bb.1754:
	s_mov_b32 s4, 0x7f800000
	v_mov_b32_e32 v3, 0x7c
	v_mov_b32_e32 v8, 0x7f
	v_cmp_lt_u32_e32 vcc, s4, v5
	v_cndmask_b32_e32 v3, v3, v8, vcc
; %bb.1755:
	s_or_b64 exec, exec, s[2:3]
	v_lshrrev_b32_e32 v5, 24, v2
	s_movk_i32 s2, 0x80
	v_and_or_b32 v3, v5, s2, v3
	global_store_byte v[0:1], v3, off
.LBB14_1756:
	s_mov_b64 s[2:3], 0
	s_mov_b64 s[4:5], -1
.LBB14_1757:
	s_andn2_b64 vcc, exec, s[2:3]
	s_mov_b64 s[2:3], 0
	s_cbranch_vccnz .LBB14_1764
; %bb.1758:
	s_cmp_gt_i32 s15, 14
	s_mov_b64 s[10:11], -1
	s_cbranch_scc0 .LBB14_1762
; %bb.1759:
	s_cmp_eq_u32 s15, 15
	s_mov_b64 s[0:1], -1
	s_cbranch_scc0 .LBB14_1761
; %bb.1760:
	v_bfe_u32 v3, v2, 16, 1
	s_movk_i32 s0, 0x7fff
	v_add3_u32 v3, v2, v3, s0
	v_cmp_o_f32_e32 vcc, v2, v2
	v_mov_b32_e32 v5, 0x7fc0
	v_cndmask_b32_sdwa v3, v5, v3, vcc dst_sel:DWORD dst_unused:UNUSED_PAD src0_sel:DWORD src1_sel:WORD_1
	global_store_short v[0:1], v3, off
	s_mov_b64 s[0:1], 0
	s_mov_b64 s[4:5], -1
.LBB14_1761:
	s_mov_b64 s[10:11], 0
.LBB14_1762:
	s_and_b64 vcc, exec, s[10:11]
	s_cbranch_vccz .LBB14_1764
; %bb.1763:
	s_cmp_lg_u32 s15, 11
	s_mov_b64 s[2:3], -1
	s_cselect_b64 s[0:1], -1, 0
.LBB14_1764:
	s_and_b64 vcc, exec, s[0:1]
	s_cbranch_vccnz .LBB14_2058
; %bb.1765:
	s_andn2_b64 vcc, exec, s[2:3]
	s_cbranch_vccnz .LBB14_1767
.LBB14_1766:
	v_cmp_neq_f32_e32 vcc, 0, v2
	v_cndmask_b32_e64 v3, 0, 1, vcc
	s_mov_b64 s[4:5], -1
	global_store_byte v[0:1], v3, off
.LBB14_1767:
	s_mov_b64 s[0:1], 0
	s_branch .LBB14_1769
.LBB14_1768:
	s_mov_b64 s[0:1], -1
	s_mov_b64 s[4:5], 0
.LBB14_1769:
	s_and_b64 vcc, exec, s[0:1]
	s_cbranch_vccz .LBB14_1808
; %bb.1770:
	s_and_b32 s2, 0xffff, s20
	s_cmp_lt_i32 s2, 5
	s_mov_b64 s[0:1], -1
	s_cbranch_scc1 .LBB14_1791
; %bb.1771:
	s_cmp_lt_i32 s2, 8
	s_cbranch_scc1 .LBB14_1781
; %bb.1772:
	s_cmp_lt_i32 s2, 9
	s_cbranch_scc1 .LBB14_1778
; %bb.1773:
	s_cmp_gt_i32 s2, 9
	s_cbranch_scc0 .LBB14_1775
; %bb.1774:
	v_cvt_f64_f32_e32 v[8:9], v2
	v_mov_b32_e32 v10, 0
	v_mov_b32_e32 v11, v10
	s_mov_b64 s[0:1], 0
	global_store_dwordx4 v[0:1], v[8:11], off
.LBB14_1775:
	s_andn2_b64 vcc, exec, s[0:1]
	s_cbranch_vccnz .LBB14_1777
; %bb.1776:
	v_mov_b32_e32 v3, 0
	global_store_dwordx2 v[0:1], v[2:3], off
.LBB14_1777:
	s_mov_b64 s[0:1], 0
.LBB14_1778:
	s_andn2_b64 vcc, exec, s[0:1]
	s_cbranch_vccnz .LBB14_1780
; %bb.1779:
	v_cvt_f16_f32_e32 v3, v2
	global_store_dword v[0:1], v3, off
.LBB14_1780:
	s_mov_b64 s[0:1], 0
.LBB14_1781:
	s_andn2_b64 vcc, exec, s[0:1]
	s_cbranch_vccnz .LBB14_1790
; %bb.1782:
	s_cmp_lt_i32 s2, 6
	s_mov_b64 s[0:1], -1
	s_cbranch_scc1 .LBB14_1788
; %bb.1783:
	s_cmp_gt_i32 s2, 6
	s_cbranch_scc0 .LBB14_1785
; %bb.1784:
	v_cvt_f64_f32_e32 v[8:9], v2
	s_mov_b64 s[0:1], 0
	global_store_dwordx2 v[0:1], v[8:9], off
.LBB14_1785:
	s_andn2_b64 vcc, exec, s[0:1]
	s_cbranch_vccnz .LBB14_1787
; %bb.1786:
	global_store_dword v[0:1], v2, off
.LBB14_1787:
	s_mov_b64 s[0:1], 0
.LBB14_1788:
	s_andn2_b64 vcc, exec, s[0:1]
	s_cbranch_vccnz .LBB14_1790
; %bb.1789:
	v_cvt_f16_f32_e32 v3, v2
	global_store_short v[0:1], v3, off
.LBB14_1790:
	s_mov_b64 s[0:1], 0
.LBB14_1791:
	s_andn2_b64 vcc, exec, s[0:1]
	s_cbranch_vccnz .LBB14_1807
; %bb.1792:
	s_cmp_lt_i32 s2, 2
	s_mov_b64 s[0:1], -1
	s_cbranch_scc1 .LBB14_1802
; %bb.1793:
	s_cmp_lt_i32 s2, 3
	s_cbranch_scc1 .LBB14_1799
; %bb.1794:
	s_cmp_gt_i32 s2, 3
	s_cbranch_scc0 .LBB14_1796
; %bb.1795:
	v_trunc_f32_e32 v3, v2
	s_mov_b32 s0, 0x2f800000
	v_mul_f32_e64 v5, |v3|, s0
	v_floor_f32_e32 v5, v5
	s_mov_b32 s0, 0xcf800000
	v_cvt_u32_f32_e32 v8, v5
	v_fma_f32 v5, v5, s0, |v3|
	v_cvt_u32_f32_e32 v5, v5
	v_ashrrev_i32_e32 v3, 31, v3
	v_xor_b32_e32 v9, v8, v3
	s_mov_b64 s[0:1], 0
	v_xor_b32_e32 v5, v5, v3
	v_sub_co_u32_e32 v8, vcc, v5, v3
	v_subb_co_u32_e32 v9, vcc, v9, v3, vcc
	global_store_dwordx2 v[0:1], v[8:9], off
.LBB14_1796:
	s_andn2_b64 vcc, exec, s[0:1]
	s_cbranch_vccnz .LBB14_1798
; %bb.1797:
	v_cvt_i32_f32_e32 v3, v2
	global_store_dword v[0:1], v3, off
.LBB14_1798:
	s_mov_b64 s[0:1], 0
.LBB14_1799:
	s_andn2_b64 vcc, exec, s[0:1]
	s_cbranch_vccnz .LBB14_1801
; %bb.1800:
	v_cvt_i32_f32_e32 v3, v2
	global_store_short v[0:1], v3, off
.LBB14_1801:
	s_mov_b64 s[0:1], 0
.LBB14_1802:
	s_andn2_b64 vcc, exec, s[0:1]
	s_cbranch_vccnz .LBB14_1807
; %bb.1803:
	s_cmp_gt_i32 s2, 0
	s_mov_b64 s[0:1], -1
	s_cbranch_scc0 .LBB14_1805
; %bb.1804:
	v_cvt_i32_f32_e32 v3, v2
	s_mov_b64 s[0:1], 0
	global_store_byte v[0:1], v3, off
.LBB14_1805:
	s_andn2_b64 vcc, exec, s[0:1]
	s_cbranch_vccnz .LBB14_1807
; %bb.1806:
	v_trunc_f32_e32 v2, v2
	s_mov_b32 s0, 0x2f800000
	v_mul_f32_e64 v3, |v2|, s0
	v_floor_f32_e32 v3, v3
	s_mov_b32 s0, 0xcf800000
	v_fma_f32 v3, v3, s0, |v2|
	v_cvt_u32_f32_e32 v3, v3
	v_ashrrev_i32_e32 v2, 31, v2
	v_xor_b32_e32 v3, v3, v2
	v_sub_u32_e32 v2, v3, v2
	global_store_byte v[0:1], v2, off
.LBB14_1807:
	s_mov_b64 s[4:5], -1
.LBB14_1808:
	s_andn2_b64 vcc, exec, s[4:5]
	s_cbranch_vccnz .LBB14_2004
; %bb.1809:
	v_mul_f32_e32 v0, v15, v15
	v_mov_b32_e32 v1, 0x3c0881c4
	v_fmac_f32_e32 v1, 0xb94c1982, v0
	v_mov_b32_e32 v2, 0xbe2aaa9d
	v_fmac_f32_e32 v2, v0, v1
	v_mul_f32_e32 v1, v0, v2
	v_fmac_f32_e32 v15, v15, v1
	v_mov_b32_e32 v1, 0xbab64f3b
	v_fmac_f32_e32 v1, 0x37d75334, v0
	v_mov_b32_e32 v2, 0x3d2aabf7
	;; [unrolled: 2-line block ×3, first 2 shown]
	v_fmac_f32_e32 v1, v0, v2
	v_fma_f32 v0, v0, v1, 1.0
	v_and_b32_e32 v1, 1, v14
	v_cmp_eq_u32_e32 vcc, 0, v1
	v_lshlrev_b32_e32 v1, 30, v14
	v_and_b32_e32 v1, 0x80000000, v1
	v_xor_b32_e32 v2, v13, v6
	v_cndmask_b32_e32 v0, v0, v15, vcc
	v_xor_b32_e32 v1, v2, v1
	s_movk_i32 s0, 0x1f8
	v_xor_b32_e32 v0, v1, v0
	v_mov_b32_e32 v1, 0x7fc00000
	v_cmp_class_f32_e64 vcc, v6, s0
	v_add_u32_e32 v4, s14, v4
	v_cndmask_b32_e32 v2, v1, v0, vcc
	v_ashrrev_i32_e32 v1, 31, v4
	v_mov_b32_e32 v3, s9
	v_add_co_u32_e32 v0, vcc, s8, v4
	s_cmp_lt_i32 s20, 11
	v_addc_co_u32_e32 v1, vcc, v3, v1, vcc
	s_cbranch_scc1 .LBB14_1887
; %bb.1810:
	s_and_b32 s15, 0xffff, s20
	s_mov_b64 s[10:11], -1
	s_mov_b64 s[2:3], 0
	s_cmp_gt_i32 s15, 25
	s_mov_b64 s[4:5], 0
	s_mov_b64 s[0:1], 0
	s_cbranch_scc0 .LBB14_1843
; %bb.1811:
	s_cmp_gt_i32 s15, 28
	s_cbranch_scc0 .LBB14_1826
; %bb.1812:
	s_cmp_gt_i32 s15, 43
	;; [unrolled: 3-line block ×3, first 2 shown]
	s_cbranch_scc0 .LBB14_1816
; %bb.1814:
	s_mov_b64 s[0:1], -1
	s_mov_b64 s[10:11], 0
	s_cmp_eq_u32 s15, 46
	s_cbranch_scc0 .LBB14_1816
; %bb.1815:
	v_bfe_u32 v3, v2, 16, 1
	s_movk_i32 s0, 0x7fff
	v_add3_u32 v3, v2, v3, s0
	v_cmp_o_f32_e32 vcc, v2, v2
	v_mov_b32_e32 v5, 0x7fc0
	v_cndmask_b32_sdwa v3, v5, v3, vcc dst_sel:DWORD dst_unused:UNUSED_PAD src0_sel:DWORD src1_sel:WORD_1
	global_store_dword v[0:1], v3, off
	s_mov_b64 s[0:1], 0
	s_mov_b64 s[4:5], -1
.LBB14_1816:
	s_and_b64 vcc, exec, s[10:11]
	s_cbranch_vccz .LBB14_1821
; %bb.1817:
	s_cmp_eq_u32 s15, 44
	s_mov_b64 s[0:1], -1
	s_cbranch_scc0 .LBB14_1821
; %bb.1818:
	v_bfe_u32 v3, v2, 23, 8
	s_movk_i32 s0, 0xff
	v_cmp_ne_u32_e32 vcc, s0, v3
	v_mov_b32_e32 v5, 0xff
	s_and_saveexec_b64 s[4:5], vcc
; %bb.1819:
	s_mov_b32 s0, 0x3fffff
	v_and_b32_e32 v6, 0x400000, v2
	v_and_or_b32 v3, v2, s0, v3
	v_cmp_ne_u32_e32 vcc, 0, v6
	v_cmp_ne_u32_e64 s[0:1], 0, v3
	s_and_b64 s[0:1], vcc, s[0:1]
	v_lshrrev_b32_e32 v5, 23, v2
	v_cndmask_b32_e64 v3, 0, 1, s[0:1]
	v_add_u32_e32 v5, v5, v3
; %bb.1820:
	s_or_b64 exec, exec, s[4:5]
	s_mov_b64 s[0:1], 0
	s_mov_b64 s[4:5], -1
	global_store_byte v[0:1], v5, off
.LBB14_1821:
	s_mov_b64 s[10:11], 0
.LBB14_1822:
	s_and_b64 vcc, exec, s[10:11]
	s_cbranch_vccz .LBB14_1825
; %bb.1823:
	s_cmp_eq_u32 s15, 29
	s_mov_b64 s[0:1], -1
	s_cbranch_scc0 .LBB14_1825
; %bb.1824:
	v_trunc_f32_e32 v3, v2
	v_mul_f32_e32 v5, 0x2f800000, v3
	v_floor_f32_e32 v5, v5
	v_fmac_f32_e32 v3, 0xcf800000, v5
	v_cvt_u32_f32_e32 v6, v5
	v_cvt_u32_f32_e32 v5, v3
	s_mov_b64 s[0:1], 0
	s_mov_b64 s[4:5], -1
	global_store_dwordx2 v[0:1], v[5:6], off
.LBB14_1825:
	s_mov_b64 s[10:11], 0
.LBB14_1826:
	s_and_b64 vcc, exec, s[10:11]
	s_cbranch_vccz .LBB14_1842
; %bb.1827:
	s_cmp_lt_i32 s15, 27
	s_mov_b64 s[4:5], -1
	s_cbranch_scc1 .LBB14_1833
; %bb.1828:
	v_cvt_u32_f32_e32 v3, v2
	s_cmp_gt_i32 s15, 27
	s_cbranch_scc0 .LBB14_1830
; %bb.1829:
	s_mov_b64 s[4:5], 0
	global_store_dword v[0:1], v3, off
.LBB14_1830:
	s_andn2_b64 vcc, exec, s[4:5]
	s_cbranch_vccnz .LBB14_1832
; %bb.1831:
	global_store_short v[0:1], v3, off
.LBB14_1832:
	s_mov_b64 s[4:5], 0
.LBB14_1833:
	s_andn2_b64 vcc, exec, s[4:5]
	s_cbranch_vccnz .LBB14_1841
; %bb.1834:
	v_and_b32_e32 v3, 0x7fffffff, v2
	s_mov_b32 s4, 0x43800000
	v_cmp_gt_u32_e32 vcc, s4, v3
	v_mov_b32_e32 v5, 0x80
	s_and_saveexec_b64 s[4:5], vcc
	s_cbranch_execz .LBB14_1840
; %bb.1835:
	s_mov_b32 s10, 0x3bffffff
	v_cmp_lt_u32_e32 vcc, s10, v3
	s_mov_b64 s[10:11], 0
                                        ; implicit-def: $vgpr3
	s_and_saveexec_b64 s[12:13], vcc
	s_xor_b64 s[12:13], exec, s[12:13]
	s_cbranch_execz .LBB14_2061
; %bb.1836:
	v_bfe_u32 v3, v2, 20, 1
	s_mov_b32 s21, 0x487ffff
	v_add3_u32 v3, v2, v3, s21
	s_mov_b64 s[10:11], exec
	v_lshrrev_b32_e32 v3, 20, v3
	s_andn2_saveexec_b64 s[12:13], s[12:13]
	s_cbranch_execnz .LBB14_2062
.LBB14_1837:
	s_or_b64 exec, exec, s[12:13]
	v_mov_b32_e32 v5, 0
	s_and_saveexec_b64 s[12:13], s[10:11]
.LBB14_1838:
	v_lshrrev_b32_e32 v5, 24, v2
	s_movk_i32 s10, 0x80
	v_and_or_b32 v5, v5, s10, v3
.LBB14_1839:
	s_or_b64 exec, exec, s[12:13]
.LBB14_1840:
	s_or_b64 exec, exec, s[4:5]
	global_store_byte v[0:1], v5, off
.LBB14_1841:
	s_mov_b64 s[4:5], -1
.LBB14_1842:
	s_mov_b64 s[10:11], 0
.LBB14_1843:
	s_and_b64 vcc, exec, s[10:11]
	s_cbranch_vccz .LBB14_1883
; %bb.1844:
	s_cmp_gt_i32 s15, 22
	s_mov_b64 s[2:3], -1
	s_cbranch_scc0 .LBB14_1876
; %bb.1845:
	s_cmp_lt_i32 s15, 24
	s_cbranch_scc1 .LBB14_1865
; %bb.1846:
	s_cmp_gt_i32 s15, 24
	s_cbranch_scc0 .LBB14_1854
; %bb.1847:
	v_and_b32_e32 v3, 0x7fffffff, v2
	s_mov_b32 s2, 0x47800000
	v_cmp_gt_u32_e32 vcc, s2, v3
	v_mov_b32_e32 v5, 0x80
	s_and_saveexec_b64 s[2:3], vcc
	s_cbranch_execz .LBB14_1853
; %bb.1848:
	s_mov_b32 s4, 0x37ffffff
	v_cmp_lt_u32_e32 vcc, s4, v3
	s_mov_b64 s[4:5], 0
                                        ; implicit-def: $vgpr3
	s_and_saveexec_b64 s[10:11], vcc
	s_xor_b64 s[10:11], exec, s[10:11]
	s_cbranch_execz .LBB14_2064
; %bb.1849:
	v_bfe_u32 v3, v2, 21, 1
	s_mov_b32 s12, 0x88fffff
	v_add3_u32 v3, v2, v3, s12
	s_mov_b64 s[4:5], exec
	v_lshrrev_b32_e32 v3, 21, v3
	s_andn2_saveexec_b64 s[10:11], s[10:11]
	s_cbranch_execnz .LBB14_2065
.LBB14_1850:
	s_or_b64 exec, exec, s[10:11]
	v_mov_b32_e32 v5, 0
	s_and_saveexec_b64 s[10:11], s[4:5]
.LBB14_1851:
	v_lshrrev_b32_e32 v5, 24, v2
	s_movk_i32 s4, 0x80
	v_and_or_b32 v5, v5, s4, v3
.LBB14_1852:
	s_or_b64 exec, exec, s[10:11]
.LBB14_1853:
	s_or_b64 exec, exec, s[2:3]
	s_mov_b64 s[2:3], 0
	global_store_byte v[0:1], v5, off
.LBB14_1854:
	s_and_b64 vcc, exec, s[2:3]
	s_cbranch_vccz .LBB14_1864
; %bb.1855:
	v_and_b32_e32 v5, 0x7fffffff, v2
	s_mov_b32 s2, 0x43f00000
	v_cmp_gt_u32_e32 vcc, s2, v5
                                        ; implicit-def: $vgpr3
	s_and_saveexec_b64 s[2:3], vcc
	s_xor_b64 s[2:3], exec, s[2:3]
	s_cbranch_execz .LBB14_1861
; %bb.1856:
	s_mov_b32 s4, 0x3c7fffff
	v_cmp_lt_u32_e32 vcc, s4, v5
                                        ; implicit-def: $vgpr3
	s_and_saveexec_b64 s[4:5], vcc
	s_xor_b64 s[4:5], exec, s[4:5]
; %bb.1857:
	v_bfe_u32 v3, v2, 20, 1
	s_mov_b32 s10, 0x407ffff
	v_add3_u32 v3, v2, v3, s10
	v_lshrrev_b32_e32 v5, 20, v3
	v_and_b32_e32 v3, 0xff00000, v3
	s_mov_b32 s10, 0x7f00000
	v_mov_b32_e32 v6, 0x7e
	v_cmp_ne_u32_e32 vcc, s10, v3
	v_cndmask_b32_e32 v3, v6, v5, vcc
; %bb.1858:
	s_andn2_saveexec_b64 s[4:5], s[4:5]
; %bb.1859:
	s_mov_b32 s10, 0x46800000
	v_add_f32_e64 v3, |v2|, s10
; %bb.1860:
	s_or_b64 exec, exec, s[4:5]
                                        ; implicit-def: $vgpr5
.LBB14_1861:
	s_andn2_saveexec_b64 s[2:3], s[2:3]
; %bb.1862:
	s_mov_b32 s4, 0x7f800000
	v_mov_b32_e32 v3, 0x7e
	v_mov_b32_e32 v6, 0x7f
	v_cmp_lt_u32_e32 vcc, s4, v5
	v_cndmask_b32_e32 v3, v3, v6, vcc
; %bb.1863:
	s_or_b64 exec, exec, s[2:3]
	v_lshrrev_b32_e32 v5, 24, v2
	s_movk_i32 s2, 0x80
	v_and_or_b32 v3, v5, s2, v3
	global_store_byte v[0:1], v3, off
.LBB14_1864:
	s_mov_b64 s[2:3], 0
.LBB14_1865:
	s_andn2_b64 vcc, exec, s[2:3]
	s_cbranch_vccnz .LBB14_1875
; %bb.1866:
	v_and_b32_e32 v5, 0x7fffffff, v2
	s_mov_b32 s2, 0x47800000
	v_cmp_gt_u32_e32 vcc, s2, v5
                                        ; implicit-def: $vgpr3
	s_and_saveexec_b64 s[2:3], vcc
	s_xor_b64 s[2:3], exec, s[2:3]
	s_cbranch_execz .LBB14_1872
; %bb.1867:
	s_mov_b32 s4, 0x387fffff
	v_cmp_lt_u32_e32 vcc, s4, v5
                                        ; implicit-def: $vgpr3
	s_and_saveexec_b64 s[4:5], vcc
	s_xor_b64 s[4:5], exec, s[4:5]
; %bb.1868:
	v_bfe_u32 v3, v2, 21, 1
	s_mov_b32 s10, 0x80fffff
	v_add3_u32 v3, v2, v3, s10
	v_lshrrev_b32_e32 v3, 21, v3
; %bb.1869:
	s_andn2_saveexec_b64 s[4:5], s[4:5]
; %bb.1870:
	s_mov_b32 s10, 0x43000000
	v_add_f32_e64 v3, |v2|, s10
; %bb.1871:
	s_or_b64 exec, exec, s[4:5]
                                        ; implicit-def: $vgpr5
.LBB14_1872:
	s_andn2_saveexec_b64 s[2:3], s[2:3]
; %bb.1873:
	s_mov_b32 s4, 0x7f800000
	v_mov_b32_e32 v3, 0x7c
	v_mov_b32_e32 v6, 0x7f
	v_cmp_lt_u32_e32 vcc, s4, v5
	v_cndmask_b32_e32 v3, v3, v6, vcc
; %bb.1874:
	s_or_b64 exec, exec, s[2:3]
	v_lshrrev_b32_e32 v5, 24, v2
	s_movk_i32 s2, 0x80
	v_and_or_b32 v3, v5, s2, v3
	global_store_byte v[0:1], v3, off
.LBB14_1875:
	s_mov_b64 s[2:3], 0
	s_mov_b64 s[4:5], -1
.LBB14_1876:
	s_andn2_b64 vcc, exec, s[2:3]
	s_mov_b64 s[2:3], 0
	s_cbranch_vccnz .LBB14_1883
; %bb.1877:
	s_cmp_gt_i32 s15, 14
	s_mov_b64 s[10:11], -1
	s_cbranch_scc0 .LBB14_1881
; %bb.1878:
	s_cmp_eq_u32 s15, 15
	s_mov_b64 s[0:1], -1
	s_cbranch_scc0 .LBB14_1880
; %bb.1879:
	v_bfe_u32 v3, v2, 16, 1
	s_movk_i32 s0, 0x7fff
	v_add3_u32 v3, v2, v3, s0
	v_cmp_o_f32_e32 vcc, v2, v2
	v_mov_b32_e32 v5, 0x7fc0
	v_cndmask_b32_sdwa v3, v5, v3, vcc dst_sel:DWORD dst_unused:UNUSED_PAD src0_sel:DWORD src1_sel:WORD_1
	global_store_short v[0:1], v3, off
	s_mov_b64 s[0:1], 0
	s_mov_b64 s[4:5], -1
.LBB14_1880:
	s_mov_b64 s[10:11], 0
.LBB14_1881:
	s_and_b64 vcc, exec, s[10:11]
	s_cbranch_vccz .LBB14_1883
; %bb.1882:
	s_cmp_lg_u32 s15, 11
	s_mov_b64 s[2:3], -1
	s_cselect_b64 s[0:1], -1, 0
.LBB14_1883:
	s_and_b64 vcc, exec, s[0:1]
	s_cbranch_vccnz .LBB14_2063
; %bb.1884:
	s_andn2_b64 vcc, exec, s[2:3]
	s_cbranch_vccnz .LBB14_1886
.LBB14_1885:
	v_cmp_neq_f32_e32 vcc, 0, v2
	v_cndmask_b32_e64 v3, 0, 1, vcc
	s_mov_b64 s[4:5], -1
	global_store_byte v[0:1], v3, off
.LBB14_1886:
	s_mov_b64 s[0:1], 0
	s_branch .LBB14_1888
.LBB14_1887:
	s_mov_b64 s[0:1], -1
	s_mov_b64 s[4:5], 0
.LBB14_1888:
	s_and_b64 vcc, exec, s[0:1]
	s_cbranch_vccz .LBB14_1927
; %bb.1889:
	s_and_b32 s2, 0xffff, s20
	s_cmp_lt_i32 s2, 5
	s_mov_b64 s[0:1], -1
	s_cbranch_scc1 .LBB14_1910
; %bb.1890:
	s_cmp_lt_i32 s2, 8
	s_cbranch_scc1 .LBB14_1900
; %bb.1891:
	s_cmp_lt_i32 s2, 9
	s_cbranch_scc1 .LBB14_1897
; %bb.1892:
	s_cmp_gt_i32 s2, 9
	s_cbranch_scc0 .LBB14_1894
; %bb.1893:
	v_cvt_f64_f32_e32 v[8:9], v2
	v_mov_b32_e32 v10, 0
	v_mov_b32_e32 v11, v10
	s_mov_b64 s[0:1], 0
	global_store_dwordx4 v[0:1], v[8:11], off
.LBB14_1894:
	s_andn2_b64 vcc, exec, s[0:1]
	s_cbranch_vccnz .LBB14_1896
; %bb.1895:
	v_mov_b32_e32 v3, 0
	global_store_dwordx2 v[0:1], v[2:3], off
.LBB14_1896:
	s_mov_b64 s[0:1], 0
.LBB14_1897:
	s_andn2_b64 vcc, exec, s[0:1]
	s_cbranch_vccnz .LBB14_1899
; %bb.1898:
	v_cvt_f16_f32_e32 v3, v2
	global_store_dword v[0:1], v3, off
.LBB14_1899:
	s_mov_b64 s[0:1], 0
.LBB14_1900:
	s_andn2_b64 vcc, exec, s[0:1]
	s_cbranch_vccnz .LBB14_1909
; %bb.1901:
	s_cmp_lt_i32 s2, 6
	s_mov_b64 s[0:1], -1
	s_cbranch_scc1 .LBB14_1907
; %bb.1902:
	s_cmp_gt_i32 s2, 6
	s_cbranch_scc0 .LBB14_1904
; %bb.1903:
	v_cvt_f64_f32_e32 v[5:6], v2
	s_mov_b64 s[0:1], 0
	global_store_dwordx2 v[0:1], v[5:6], off
.LBB14_1904:
	s_andn2_b64 vcc, exec, s[0:1]
	s_cbranch_vccnz .LBB14_1906
; %bb.1905:
	global_store_dword v[0:1], v2, off
.LBB14_1906:
	s_mov_b64 s[0:1], 0
.LBB14_1907:
	s_andn2_b64 vcc, exec, s[0:1]
	s_cbranch_vccnz .LBB14_1909
; %bb.1908:
	v_cvt_f16_f32_e32 v3, v2
	global_store_short v[0:1], v3, off
.LBB14_1909:
	s_mov_b64 s[0:1], 0
.LBB14_1910:
	s_andn2_b64 vcc, exec, s[0:1]
	s_cbranch_vccnz .LBB14_1926
; %bb.1911:
	s_cmp_lt_i32 s2, 2
	s_mov_b64 s[0:1], -1
	s_cbranch_scc1 .LBB14_1921
; %bb.1912:
	s_cmp_lt_i32 s2, 3
	s_cbranch_scc1 .LBB14_1918
; %bb.1913:
	s_cmp_gt_i32 s2, 3
	s_cbranch_scc0 .LBB14_1915
; %bb.1914:
	v_trunc_f32_e32 v3, v2
	s_mov_b32 s0, 0x2f800000
	v_mul_f32_e64 v5, |v3|, s0
	v_floor_f32_e32 v5, v5
	s_mov_b32 s0, 0xcf800000
	v_cvt_u32_f32_e32 v6, v5
	v_fma_f32 v5, v5, s0, |v3|
	v_cvt_u32_f32_e32 v5, v5
	v_ashrrev_i32_e32 v3, 31, v3
	v_xor_b32_e32 v6, v6, v3
	s_mov_b64 s[0:1], 0
	v_xor_b32_e32 v5, v5, v3
	v_sub_co_u32_e32 v5, vcc, v5, v3
	v_subb_co_u32_e32 v6, vcc, v6, v3, vcc
	global_store_dwordx2 v[0:1], v[5:6], off
.LBB14_1915:
	s_andn2_b64 vcc, exec, s[0:1]
	s_cbranch_vccnz .LBB14_1917
; %bb.1916:
	v_cvt_i32_f32_e32 v3, v2
	global_store_dword v[0:1], v3, off
.LBB14_1917:
	s_mov_b64 s[0:1], 0
.LBB14_1918:
	s_andn2_b64 vcc, exec, s[0:1]
	s_cbranch_vccnz .LBB14_1920
; %bb.1919:
	v_cvt_i32_f32_e32 v3, v2
	global_store_short v[0:1], v3, off
.LBB14_1920:
	s_mov_b64 s[0:1], 0
.LBB14_1921:
	s_andn2_b64 vcc, exec, s[0:1]
	s_cbranch_vccnz .LBB14_1926
; %bb.1922:
	s_cmp_gt_i32 s2, 0
	s_mov_b64 s[0:1], -1
	s_cbranch_scc0 .LBB14_1924
; %bb.1923:
	v_cvt_i32_f32_e32 v3, v2
	s_mov_b64 s[0:1], 0
	global_store_byte v[0:1], v3, off
.LBB14_1924:
	s_andn2_b64 vcc, exec, s[0:1]
	s_cbranch_vccnz .LBB14_1926
; %bb.1925:
	v_trunc_f32_e32 v2, v2
	s_mov_b32 s0, 0x2f800000
	v_mul_f32_e64 v3, |v2|, s0
	v_floor_f32_e32 v3, v3
	s_mov_b32 s0, 0xcf800000
	v_fma_f32 v3, v3, s0, |v2|
	v_cvt_u32_f32_e32 v3, v3
	v_ashrrev_i32_e32 v2, 31, v2
	v_xor_b32_e32 v3, v3, v2
	v_sub_u32_e32 v2, v3, v2
	global_store_byte v[0:1], v2, off
.LBB14_1926:
	s_mov_b64 s[4:5], -1
.LBB14_1927:
	s_andn2_b64 vcc, exec, s[4:5]
	s_cbranch_vccnz .LBB14_2004
; %bb.1928:
	v_mul_f32_e32 v0, v18, v18
	v_mov_b32_e32 v1, 0x3c0881c4
	v_fmac_f32_e32 v1, 0xb94c1982, v0
	v_mov_b32_e32 v2, 0xbe2aaa9d
	v_fmac_f32_e32 v2, v0, v1
	v_mul_f32_e32 v1, v0, v2
	v_fmac_f32_e32 v18, v18, v1
	v_mov_b32_e32 v1, 0xbab64f3b
	v_fmac_f32_e32 v1, 0x37d75334, v0
	v_mov_b32_e32 v2, 0x3d2aabf7
	;; [unrolled: 2-line block ×3, first 2 shown]
	v_fmac_f32_e32 v1, v0, v2
	v_fma_f32 v0, v0, v1, 1.0
	v_and_b32_e32 v1, 1, v17
	v_cmp_eq_u32_e32 vcc, 0, v1
	v_lshlrev_b32_e32 v1, 30, v17
	v_and_b32_e32 v1, 0x80000000, v1
	v_xor_b32_e32 v2, v16, v7
	v_cndmask_b32_e32 v0, v0, v18, vcc
	v_xor_b32_e32 v1, v2, v1
	s_movk_i32 s0, 0x1f8
	v_xor_b32_e32 v0, v1, v0
	v_mov_b32_e32 v1, 0x7fc00000
	v_cmp_class_f32_e64 vcc, v7, s0
	v_cndmask_b32_e32 v2, v1, v0, vcc
	v_add_u32_e32 v0, s14, v4
	v_ashrrev_i32_e32 v1, 31, v0
	v_mov_b32_e32 v3, s9
	v_add_co_u32_e32 v0, vcc, s8, v0
	s_cmp_lt_i32 s20, 11
	v_addc_co_u32_e32 v1, vcc, v3, v1, vcc
	s_cbranch_scc1 .LBB14_2049
; %bb.1929:
	s_and_b32 s12, 0xffff, s20
	s_mov_b64 s[4:5], -1
	s_mov_b64 s[2:3], 0
	s_cmp_gt_i32 s12, 25
	s_mov_b64 s[0:1], 0
	s_cbranch_scc0 .LBB14_1962
; %bb.1930:
	s_cmp_gt_i32 s12, 28
	s_cbranch_scc0 .LBB14_1946
; %bb.1931:
	s_cmp_gt_i32 s12, 43
	s_cbranch_scc0 .LBB14_1942
; %bb.1932:
	s_cmp_gt_i32 s12, 45
	s_cbranch_scc0 .LBB14_1936
; %bb.1933:
	s_cmp_eq_u32 s12, 46
	s_mov_b64 s[0:1], -1
	s_cbranch_scc0 .LBB14_1935
; %bb.1934:
	v_bfe_u32 v3, v2, 16, 1
	s_movk_i32 s0, 0x7fff
	v_add3_u32 v3, v2, v3, s0
	v_cmp_o_f32_e32 vcc, v2, v2
	v_mov_b32_e32 v4, 0x7fc0
	v_cndmask_b32_sdwa v3, v4, v3, vcc dst_sel:DWORD dst_unused:UNUSED_PAD src0_sel:DWORD src1_sel:WORD_1
	global_store_dword v[0:1], v3, off
	s_mov_b64 s[0:1], 0
.LBB14_1935:
	s_mov_b64 s[4:5], 0
.LBB14_1936:
	s_and_b64 vcc, exec, s[4:5]
	s_cbranch_vccz .LBB14_1941
; %bb.1937:
	s_cmp_eq_u32 s12, 44
	s_mov_b64 s[0:1], -1
	s_cbranch_scc0 .LBB14_1941
; %bb.1938:
	v_bfe_u32 v3, v2, 23, 8
	s_movk_i32 s0, 0xff
	v_cmp_ne_u32_e32 vcc, s0, v3
	v_mov_b32_e32 v4, 0xff
	s_and_saveexec_b64 s[4:5], vcc
; %bb.1939:
	s_mov_b32 s0, 0x3fffff
	v_and_b32_e32 v5, 0x400000, v2
	v_and_or_b32 v3, v2, s0, v3
	v_cmp_ne_u32_e32 vcc, 0, v5
	v_cmp_ne_u32_e64 s[0:1], 0, v3
	s_and_b64 s[0:1], vcc, s[0:1]
	v_lshrrev_b32_e32 v4, 23, v2
	v_cndmask_b32_e64 v3, 0, 1, s[0:1]
	v_add_u32_e32 v4, v4, v3
; %bb.1940:
	s_or_b64 exec, exec, s[4:5]
	s_mov_b64 s[0:1], 0
	global_store_byte v[0:1], v4, off
.LBB14_1941:
	s_mov_b64 s[4:5], 0
.LBB14_1942:
	s_and_b64 vcc, exec, s[4:5]
	s_cbranch_vccz .LBB14_1945
; %bb.1943:
	s_cmp_eq_u32 s12, 29
	s_mov_b64 s[0:1], -1
	s_cbranch_scc0 .LBB14_1945
; %bb.1944:
	v_trunc_f32_e32 v3, v2
	v_mul_f32_e32 v4, 0x2f800000, v3
	v_floor_f32_e32 v5, v4
	v_fmac_f32_e32 v3, 0xcf800000, v5
	v_cvt_u32_f32_e32 v4, v5
	v_cvt_u32_f32_e32 v3, v3
	s_mov_b64 s[0:1], 0
	global_store_dwordx2 v[0:1], v[3:4], off
.LBB14_1945:
	s_mov_b64 s[4:5], 0
.LBB14_1946:
	s_and_b64 vcc, exec, s[4:5]
	s_cbranch_vccz .LBB14_1961
; %bb.1947:
	s_cmp_lt_i32 s12, 27
	s_mov_b64 s[4:5], -1
	s_cbranch_scc1 .LBB14_1953
; %bb.1948:
	v_cvt_u32_f32_e32 v3, v2
	s_cmp_gt_i32 s12, 27
	s_cbranch_scc0 .LBB14_1950
; %bb.1949:
	global_store_dword v[0:1], v3, off
	s_mov_b64 s[4:5], 0
.LBB14_1950:
	s_andn2_b64 vcc, exec, s[4:5]
	s_cbranch_vccnz .LBB14_1952
; %bb.1951:
	global_store_short v[0:1], v3, off
.LBB14_1952:
	s_mov_b64 s[4:5], 0
.LBB14_1953:
	s_andn2_b64 vcc, exec, s[4:5]
	s_cbranch_vccnz .LBB14_1961
; %bb.1954:
	v_and_b32_e32 v3, 0x7fffffff, v2
	s_mov_b32 s4, 0x43800000
	v_cmp_gt_u32_e32 vcc, s4, v3
	v_mov_b32_e32 v4, 0x80
	s_and_saveexec_b64 s[4:5], vcc
	s_cbranch_execz .LBB14_1960
; %bb.1955:
	s_mov_b32 s8, 0x3bffffff
	v_cmp_lt_u32_e32 vcc, s8, v3
	s_mov_b64 s[8:9], 0
                                        ; implicit-def: $vgpr3
	s_and_saveexec_b64 s[10:11], vcc
	s_xor_b64 s[10:11], exec, s[10:11]
	s_cbranch_execz .LBB14_2066
; %bb.1956:
	v_bfe_u32 v3, v2, 20, 1
	s_mov_b32 s13, 0x487ffff
	v_add3_u32 v3, v2, v3, s13
	s_mov_b64 s[8:9], exec
	v_lshrrev_b32_e32 v3, 20, v3
	s_andn2_saveexec_b64 s[10:11], s[10:11]
	s_cbranch_execnz .LBB14_2067
.LBB14_1957:
	s_or_b64 exec, exec, s[10:11]
	v_mov_b32_e32 v4, 0
	s_and_saveexec_b64 s[10:11], s[8:9]
.LBB14_1958:
	v_lshrrev_b32_e32 v4, 24, v2
	s_movk_i32 s8, 0x80
	v_and_or_b32 v4, v4, s8, v3
.LBB14_1959:
	s_or_b64 exec, exec, s[10:11]
.LBB14_1960:
	s_or_b64 exec, exec, s[4:5]
	global_store_byte v[0:1], v4, off
.LBB14_1961:
	s_mov_b64 s[4:5], 0
.LBB14_1962:
	s_and_b64 vcc, exec, s[4:5]
	s_cbranch_vccz .LBB14_2002
; %bb.1963:
	s_cmp_gt_i32 s12, 22
	s_mov_b64 s[2:3], -1
	s_cbranch_scc0 .LBB14_1995
; %bb.1964:
	s_cmp_lt_i32 s12, 24
	s_cbranch_scc1 .LBB14_1984
; %bb.1965:
	s_cmp_gt_i32 s12, 24
	s_cbranch_scc0 .LBB14_1973
; %bb.1966:
	v_and_b32_e32 v3, 0x7fffffff, v2
	s_mov_b32 s2, 0x47800000
	v_cmp_gt_u32_e32 vcc, s2, v3
	v_mov_b32_e32 v4, 0x80
	s_and_saveexec_b64 s[2:3], vcc
	s_cbranch_execz .LBB14_1972
; %bb.1967:
	s_mov_b32 s4, 0x37ffffff
	v_cmp_lt_u32_e32 vcc, s4, v3
	s_mov_b64 s[4:5], 0
                                        ; implicit-def: $vgpr3
	s_and_saveexec_b64 s[8:9], vcc
	s_xor_b64 s[8:9], exec, s[8:9]
	s_cbranch_execz .LBB14_2069
; %bb.1968:
	v_bfe_u32 v3, v2, 21, 1
	s_mov_b32 s10, 0x88fffff
	v_add3_u32 v3, v2, v3, s10
	s_mov_b64 s[4:5], exec
	v_lshrrev_b32_e32 v3, 21, v3
	s_andn2_saveexec_b64 s[8:9], s[8:9]
	s_cbranch_execnz .LBB14_2070
.LBB14_1969:
	s_or_b64 exec, exec, s[8:9]
	v_mov_b32_e32 v4, 0
	s_and_saveexec_b64 s[8:9], s[4:5]
.LBB14_1970:
	v_lshrrev_b32_e32 v4, 24, v2
	s_movk_i32 s4, 0x80
	v_and_or_b32 v4, v4, s4, v3
.LBB14_1971:
	s_or_b64 exec, exec, s[8:9]
.LBB14_1972:
	s_or_b64 exec, exec, s[2:3]
	s_mov_b64 s[2:3], 0
	global_store_byte v[0:1], v4, off
.LBB14_1973:
	s_and_b64 vcc, exec, s[2:3]
	s_cbranch_vccz .LBB14_1983
; %bb.1974:
	v_and_b32_e32 v4, 0x7fffffff, v2
	s_mov_b32 s2, 0x43f00000
	v_cmp_gt_u32_e32 vcc, s2, v4
                                        ; implicit-def: $vgpr3
	s_and_saveexec_b64 s[2:3], vcc
	s_xor_b64 s[2:3], exec, s[2:3]
	s_cbranch_execz .LBB14_1980
; %bb.1975:
	s_mov_b32 s4, 0x3c7fffff
	v_cmp_lt_u32_e32 vcc, s4, v4
                                        ; implicit-def: $vgpr3
	s_and_saveexec_b64 s[4:5], vcc
	s_xor_b64 s[4:5], exec, s[4:5]
; %bb.1976:
	v_bfe_u32 v3, v2, 20, 1
	s_mov_b32 s8, 0x407ffff
	v_add3_u32 v3, v2, v3, s8
	v_lshrrev_b32_e32 v4, 20, v3
	v_and_b32_e32 v3, 0xff00000, v3
	s_mov_b32 s8, 0x7f00000
	v_mov_b32_e32 v5, 0x7e
	v_cmp_ne_u32_e32 vcc, s8, v3
	v_cndmask_b32_e32 v3, v5, v4, vcc
; %bb.1977:
	s_andn2_saveexec_b64 s[4:5], s[4:5]
; %bb.1978:
	s_mov_b32 s8, 0x46800000
	v_add_f32_e64 v3, |v2|, s8
; %bb.1979:
	s_or_b64 exec, exec, s[4:5]
                                        ; implicit-def: $vgpr4
.LBB14_1980:
	s_andn2_saveexec_b64 s[2:3], s[2:3]
; %bb.1981:
	s_mov_b32 s4, 0x7f800000
	v_mov_b32_e32 v3, 0x7e
	v_mov_b32_e32 v5, 0x7f
	v_cmp_lt_u32_e32 vcc, s4, v4
	v_cndmask_b32_e32 v3, v3, v5, vcc
; %bb.1982:
	s_or_b64 exec, exec, s[2:3]
	v_lshrrev_b32_e32 v4, 24, v2
	s_movk_i32 s2, 0x80
	v_and_or_b32 v3, v4, s2, v3
	global_store_byte v[0:1], v3, off
.LBB14_1983:
	s_mov_b64 s[2:3], 0
.LBB14_1984:
	s_andn2_b64 vcc, exec, s[2:3]
	s_cbranch_vccnz .LBB14_1994
; %bb.1985:
	v_and_b32_e32 v4, 0x7fffffff, v2
	s_mov_b32 s2, 0x47800000
	v_cmp_gt_u32_e32 vcc, s2, v4
                                        ; implicit-def: $vgpr3
	s_and_saveexec_b64 s[2:3], vcc
	s_xor_b64 s[2:3], exec, s[2:3]
	s_cbranch_execz .LBB14_1991
; %bb.1986:
	s_mov_b32 s4, 0x387fffff
	v_cmp_lt_u32_e32 vcc, s4, v4
                                        ; implicit-def: $vgpr3
	s_and_saveexec_b64 s[4:5], vcc
	s_xor_b64 s[4:5], exec, s[4:5]
; %bb.1987:
	v_bfe_u32 v3, v2, 21, 1
	s_mov_b32 s8, 0x80fffff
	v_add3_u32 v3, v2, v3, s8
	v_lshrrev_b32_e32 v3, 21, v3
; %bb.1988:
	s_andn2_saveexec_b64 s[4:5], s[4:5]
; %bb.1989:
	s_mov_b32 s8, 0x43000000
	v_add_f32_e64 v3, |v2|, s8
; %bb.1990:
	s_or_b64 exec, exec, s[4:5]
                                        ; implicit-def: $vgpr4
.LBB14_1991:
	s_andn2_saveexec_b64 s[2:3], s[2:3]
; %bb.1992:
	s_mov_b32 s4, 0x7f800000
	v_mov_b32_e32 v3, 0x7c
	v_mov_b32_e32 v5, 0x7f
	v_cmp_lt_u32_e32 vcc, s4, v4
	v_cndmask_b32_e32 v3, v3, v5, vcc
; %bb.1993:
	s_or_b64 exec, exec, s[2:3]
	v_lshrrev_b32_e32 v4, 24, v2
	s_movk_i32 s2, 0x80
	v_and_or_b32 v3, v4, s2, v3
	global_store_byte v[0:1], v3, off
.LBB14_1994:
	s_mov_b64 s[2:3], 0
.LBB14_1995:
	s_andn2_b64 vcc, exec, s[2:3]
	s_mov_b64 s[2:3], 0
	s_cbranch_vccnz .LBB14_2002
; %bb.1996:
	s_cmp_gt_i32 s12, 14
	s_mov_b64 s[4:5], -1
	s_cbranch_scc0 .LBB14_2000
; %bb.1997:
	s_cmp_eq_u32 s12, 15
	s_mov_b64 s[0:1], -1
	s_cbranch_scc0 .LBB14_1999
; %bb.1998:
	v_bfe_u32 v3, v2, 16, 1
	s_movk_i32 s0, 0x7fff
	v_add3_u32 v3, v2, v3, s0
	v_cmp_o_f32_e32 vcc, v2, v2
	v_mov_b32_e32 v4, 0x7fc0
	v_cndmask_b32_sdwa v3, v4, v3, vcc dst_sel:DWORD dst_unused:UNUSED_PAD src0_sel:DWORD src1_sel:WORD_1
	global_store_short v[0:1], v3, off
	s_mov_b64 s[0:1], 0
.LBB14_1999:
	s_mov_b64 s[4:5], 0
.LBB14_2000:
	s_and_b64 vcc, exec, s[4:5]
	s_cbranch_vccz .LBB14_2002
; %bb.2001:
	s_cmp_lg_u32 s12, 11
	s_mov_b64 s[2:3], -1
	s_cselect_b64 s[0:1], -1, 0
.LBB14_2002:
	s_and_b64 vcc, exec, s[0:1]
	s_cbranch_vccnz .LBB14_2068
.LBB14_2003:
	s_mov_b64 s[0:1], 0
	s_branch .LBB14_2005
.LBB14_2004:
	s_mov_b64 s[0:1], 0
	s_mov_b64 s[2:3], 0
                                        ; implicit-def: $sgpr20
                                        ; implicit-def: $vgpr0_vgpr1
                                        ; implicit-def: $vgpr2
.LBB14_2005:
	s_and_b64 s[14:15], s[2:3], exec
	s_andn2_b64 s[2:3], s[16:17], exec
	s_and_b64 s[4:5], s[18:19], exec
	s_and_b64 s[0:1], s[0:1], exec
	s_or_b64 s[16:17], s[2:3], s[4:5]
.LBB14_2006:
	s_or_b64 exec, exec, s[6:7]
	s_and_saveexec_b64 s[2:3], s[16:17]
	s_cbranch_execz .LBB14_2009
; %bb.2007:
	; divergent unreachable
	s_or_b64 exec, exec, s[2:3]
	s_and_saveexec_b64 s[2:3], s[14:15]
	s_xor_b64 s[2:3], exec, s[2:3]
	s_cbranch_execnz .LBB14_2010
.LBB14_2008:
	s_or_b64 exec, exec, s[2:3]
	s_and_saveexec_b64 s[2:3], s[0:1]
	s_cbranch_execnz .LBB14_2011
	s_branch .LBB14_2048
.LBB14_2009:
	s_or_b64 exec, exec, s[2:3]
	s_and_saveexec_b64 s[2:3], s[14:15]
	s_xor_b64 s[2:3], exec, s[2:3]
	s_cbranch_execz .LBB14_2008
.LBB14_2010:
	s_waitcnt vmcnt(0)
	v_cmp_neq_f32_e32 vcc, 0, v2
	v_cndmask_b32_e64 v3, 0, 1, vcc
	global_store_byte v[0:1], v3, off
	s_or_b64 exec, exec, s[2:3]
	s_and_saveexec_b64 s[2:3], s[0:1]
	s_cbranch_execz .LBB14_2048
.LBB14_2011:
	s_sext_i32_i16 s2, s20
	s_cmp_lt_i32 s2, 5
	s_mov_b64 s[0:1], -1
	s_cbranch_scc1 .LBB14_2032
; %bb.2012:
	s_cmp_lt_i32 s2, 8
	s_cbranch_scc1 .LBB14_2022
; %bb.2013:
	s_cmp_lt_i32 s2, 9
	s_cbranch_scc1 .LBB14_2019
; %bb.2014:
	s_cmp_gt_i32 s2, 9
	s_cbranch_scc0 .LBB14_2016
; %bb.2015:
	s_waitcnt vmcnt(0)
	v_cvt_f64_f32_e32 v[3:4], v2
	v_mov_b32_e32 v5, 0
	v_mov_b32_e32 v6, v5
	s_mov_b64 s[0:1], 0
	global_store_dwordx4 v[0:1], v[3:6], off
.LBB14_2016:
	s_andn2_b64 vcc, exec, s[0:1]
	s_cbranch_vccnz .LBB14_2018
; %bb.2017:
	s_waitcnt vmcnt(0)
	v_mov_b32_e32 v3, 0
	global_store_dwordx2 v[0:1], v[2:3], off
.LBB14_2018:
	s_mov_b64 s[0:1], 0
.LBB14_2019:
	s_andn2_b64 vcc, exec, s[0:1]
	s_cbranch_vccnz .LBB14_2021
; %bb.2020:
	s_waitcnt vmcnt(0)
	v_cvt_f16_f32_e32 v3, v2
	global_store_dword v[0:1], v3, off
.LBB14_2021:
	s_mov_b64 s[0:1], 0
.LBB14_2022:
	s_andn2_b64 vcc, exec, s[0:1]
	s_cbranch_vccnz .LBB14_2031
; %bb.2023:
	s_sext_i32_i16 s2, s20
	s_cmp_lt_i32 s2, 6
	s_mov_b64 s[0:1], -1
	s_cbranch_scc1 .LBB14_2029
; %bb.2024:
	s_cmp_gt_i32 s2, 6
	s_cbranch_scc0 .LBB14_2026
; %bb.2025:
	s_waitcnt vmcnt(0)
	v_cvt_f64_f32_e32 v[3:4], v2
	s_mov_b64 s[0:1], 0
	global_store_dwordx2 v[0:1], v[3:4], off
.LBB14_2026:
	s_andn2_b64 vcc, exec, s[0:1]
	s_cbranch_vccnz .LBB14_2028
; %bb.2027:
	s_waitcnt vmcnt(0)
	global_store_dword v[0:1], v2, off
.LBB14_2028:
	s_mov_b64 s[0:1], 0
.LBB14_2029:
	s_andn2_b64 vcc, exec, s[0:1]
	s_cbranch_vccnz .LBB14_2031
; %bb.2030:
	s_waitcnt vmcnt(0)
	v_cvt_f16_f32_e32 v3, v2
	global_store_short v[0:1], v3, off
.LBB14_2031:
	s_mov_b64 s[0:1], 0
.LBB14_2032:
	s_andn2_b64 vcc, exec, s[0:1]
	s_cbranch_vccnz .LBB14_2048
; %bb.2033:
	s_sext_i32_i16 s2, s20
	s_cmp_lt_i32 s2, 2
	s_mov_b64 s[0:1], -1
	s_cbranch_scc1 .LBB14_2043
; %bb.2034:
	s_cmp_lt_i32 s2, 3
	s_cbranch_scc1 .LBB14_2040
; %bb.2035:
	s_cmp_gt_i32 s2, 3
	s_cbranch_scc0 .LBB14_2037
; %bb.2036:
	s_waitcnt vmcnt(0)
	v_trunc_f32_e32 v3, v2
	s_mov_b32 s0, 0x2f800000
	v_mul_f32_e64 v4, |v3|, s0
	v_floor_f32_e32 v4, v4
	s_mov_b32 s0, 0xcf800000
	v_cvt_u32_f32_e32 v5, v4
	v_fma_f32 v4, v4, s0, |v3|
	v_cvt_u32_f32_e32 v4, v4
	v_ashrrev_i32_e32 v6, 31, v3
	v_xor_b32_e32 v5, v5, v6
	s_mov_b64 s[0:1], 0
	v_xor_b32_e32 v3, v4, v6
	v_sub_co_u32_e32 v3, vcc, v3, v6
	v_subb_co_u32_e32 v4, vcc, v5, v6, vcc
	global_store_dwordx2 v[0:1], v[3:4], off
.LBB14_2037:
	s_andn2_b64 vcc, exec, s[0:1]
	s_cbranch_vccnz .LBB14_2039
; %bb.2038:
	s_waitcnt vmcnt(0)
	v_cvt_i32_f32_e32 v3, v2
	global_store_dword v[0:1], v3, off
.LBB14_2039:
	s_mov_b64 s[0:1], 0
.LBB14_2040:
	s_andn2_b64 vcc, exec, s[0:1]
	s_cbranch_vccnz .LBB14_2042
; %bb.2041:
	s_waitcnt vmcnt(0)
	v_cvt_i32_f32_e32 v3, v2
	global_store_short v[0:1], v3, off
.LBB14_2042:
	s_mov_b64 s[0:1], 0
.LBB14_2043:
	s_andn2_b64 vcc, exec, s[0:1]
	s_cbranch_vccnz .LBB14_2048
; %bb.2044:
	s_sext_i32_i16 s0, s20
	s_cmp_gt_i32 s0, 0
	s_mov_b64 s[0:1], -1
	s_cbranch_scc0 .LBB14_2046
; %bb.2045:
	s_waitcnt vmcnt(0)
	v_cvt_i32_f32_e32 v3, v2
	s_mov_b64 s[0:1], 0
	global_store_byte v[0:1], v3, off
.LBB14_2046:
	s_andn2_b64 vcc, exec, s[0:1]
	s_cbranch_vccnz .LBB14_2048
; %bb.2047:
	s_waitcnt vmcnt(0)
	v_trunc_f32_e32 v2, v2
	s_mov_b32 s0, 0x2f800000
	v_mul_f32_e64 v3, |v2|, s0
	v_floor_f32_e32 v3, v3
	s_mov_b32 s0, 0xcf800000
	v_fma_f32 v3, v3, s0, |v2|
	v_cvt_u32_f32_e32 v3, v3
	v_ashrrev_i32_e32 v2, 31, v2
	v_xor_b32_e32 v3, v3, v2
	v_sub_u32_e32 v2, v3, v2
	global_store_byte v[0:1], v2, off
	s_endpgm
.LBB14_2048:
	s_endpgm
.LBB14_2049:
	s_mov_b64 s[2:3], 0
	s_mov_b64 s[0:1], -1
	s_branch .LBB14_2005
.LBB14_2050:
	s_trap 2
	s_or_b64 s[18:19], s[18:19], exec
	s_cbranch_execz .LBB14_1515
	s_branch .LBB14_1516
.LBB14_2051:
	s_andn2_saveexec_b64 s[14:15], s[14:15]
	s_cbranch_execz .LBB14_1599
.LBB14_2052:
	s_mov_b32 s21, 0x46000000
	v_add_f32_e64 v3, |v2|, s21
	v_and_b32_e32 v3, 0xff, v3
	v_cmp_ne_u32_e32 vcc, 0, v3
	s_andn2_b64 s[10:11], s[10:11], exec
	s_and_b64 s[22:23], vcc, exec
	s_or_b64 s[10:11], s[10:11], s[22:23]
	s_or_b64 exec, exec, s[14:15]
	v_mov_b32_e32 v8, 0
	s_and_saveexec_b64 s[14:15], s[10:11]
	s_cbranch_execnz .LBB14_1600
	s_branch .LBB14_1601
.LBB14_2053:
	s_trap 2
	s_or_b64 s[18:19], s[18:19], exec
	s_cbranch_execz .LBB14_1647
	s_branch .LBB14_1648
.LBB14_2054:
	s_andn2_saveexec_b64 s[10:11], s[10:11]
	s_cbranch_execz .LBB14_1612
.LBB14_2055:
	s_mov_b32 s14, 0x42800000
	v_add_f32_e64 v3, |v2|, s14
	v_and_b32_e32 v3, 0xff, v3
	v_cmp_ne_u32_e32 vcc, 0, v3
	s_andn2_b64 s[4:5], s[4:5], exec
	s_and_b64 s[14:15], vcc, exec
	s_or_b64 s[4:5], s[4:5], s[14:15]
	s_or_b64 exec, exec, s[10:11]
	v_mov_b32_e32 v8, 0
	s_and_saveexec_b64 s[10:11], s[4:5]
	s_cbranch_execnz .LBB14_1613
	s_branch .LBB14_1614
.LBB14_2056:
	s_andn2_saveexec_b64 s[12:13], s[12:13]
	s_cbranch_execz .LBB14_1718
.LBB14_2057:
	s_mov_b32 s21, 0x46000000
	v_add_f32_e64 v3, |v2|, s21
	v_and_b32_e32 v3, 0xff, v3
	v_cmp_ne_u32_e32 vcc, 0, v3
	s_andn2_b64 s[10:11], s[10:11], exec
	s_and_b64 s[22:23], vcc, exec
	s_or_b64 s[10:11], s[10:11], s[22:23]
	s_or_b64 exec, exec, s[12:13]
	v_mov_b32_e32 v5, 0
	s_and_saveexec_b64 s[12:13], s[10:11]
	s_cbranch_execnz .LBB14_1719
	s_branch .LBB14_1720
.LBB14_2058:
	s_trap 2
	s_or_b64 s[18:19], s[18:19], exec
	s_cbranch_execz .LBB14_1766
	s_branch .LBB14_1767
.LBB14_2059:
	s_andn2_saveexec_b64 s[10:11], s[10:11]
	s_cbranch_execz .LBB14_1731
.LBB14_2060:
	s_mov_b32 s12, 0x42800000
	v_add_f32_e64 v3, |v2|, s12
	v_and_b32_e32 v3, 0xff, v3
	v_cmp_ne_u32_e32 vcc, 0, v3
	s_andn2_b64 s[4:5], s[4:5], exec
	s_and_b64 s[12:13], vcc, exec
	s_or_b64 s[4:5], s[4:5], s[12:13]
	s_or_b64 exec, exec, s[10:11]
	v_mov_b32_e32 v5, 0
	s_and_saveexec_b64 s[10:11], s[4:5]
	s_cbranch_execnz .LBB14_1732
	s_branch .LBB14_1733
.LBB14_2061:
	s_andn2_saveexec_b64 s[12:13], s[12:13]
	s_cbranch_execz .LBB14_1837
.LBB14_2062:
	s_mov_b32 s21, 0x46000000
	v_add_f32_e64 v3, |v2|, s21
	v_and_b32_e32 v3, 0xff, v3
	v_cmp_ne_u32_e32 vcc, 0, v3
	s_andn2_b64 s[10:11], s[10:11], exec
	s_and_b64 s[22:23], vcc, exec
	s_or_b64 s[10:11], s[10:11], s[22:23]
	s_or_b64 exec, exec, s[12:13]
	v_mov_b32_e32 v5, 0
	s_and_saveexec_b64 s[12:13], s[10:11]
	s_cbranch_execnz .LBB14_1838
	s_branch .LBB14_1839
.LBB14_2063:
	s_trap 2
	s_or_b64 s[18:19], s[18:19], exec
	s_cbranch_execz .LBB14_1885
	s_branch .LBB14_1886
.LBB14_2064:
	s_andn2_saveexec_b64 s[10:11], s[10:11]
	s_cbranch_execz .LBB14_1850
.LBB14_2065:
	s_mov_b32 s12, 0x42800000
	v_add_f32_e64 v3, |v2|, s12
	v_and_b32_e32 v3, 0xff, v3
	v_cmp_ne_u32_e32 vcc, 0, v3
	s_andn2_b64 s[4:5], s[4:5], exec
	s_and_b64 s[12:13], vcc, exec
	s_or_b64 s[4:5], s[4:5], s[12:13]
	s_or_b64 exec, exec, s[10:11]
	v_mov_b32_e32 v5, 0
	s_and_saveexec_b64 s[10:11], s[4:5]
	s_cbranch_execnz .LBB14_1851
	s_branch .LBB14_1852
.LBB14_2066:
	s_andn2_saveexec_b64 s[10:11], s[10:11]
	s_cbranch_execz .LBB14_1957
.LBB14_2067:
	s_mov_b32 s13, 0x46000000
	v_add_f32_e64 v3, |v2|, s13
	v_and_b32_e32 v3, 0xff, v3
	v_cmp_ne_u32_e32 vcc, 0, v3
	s_andn2_b64 s[8:9], s[8:9], exec
	s_and_b64 s[14:15], vcc, exec
	s_or_b64 s[8:9], s[8:9], s[14:15]
	s_or_b64 exec, exec, s[10:11]
	v_mov_b32_e32 v4, 0
	s_and_saveexec_b64 s[10:11], s[8:9]
	s_cbranch_execnz .LBB14_1958
	s_branch .LBB14_1959
.LBB14_2068:
	s_mov_b64 s[2:3], 0
	s_or_b64 s[18:19], s[18:19], exec
	s_trap 2
	s_branch .LBB14_2003
.LBB14_2069:
	s_andn2_saveexec_b64 s[8:9], s[8:9]
	s_cbranch_execz .LBB14_1969
.LBB14_2070:
	s_mov_b32 s10, 0x42800000
	v_add_f32_e64 v3, |v2|, s10
	v_and_b32_e32 v3, 0xff, v3
	v_cmp_ne_u32_e32 vcc, 0, v3
	s_andn2_b64 s[4:5], s[4:5], exec
	s_and_b64 s[10:11], vcc, exec
	s_or_b64 s[4:5], s[4:5], s[10:11]
	s_or_b64 exec, exec, s[8:9]
	v_mov_b32_e32 v4, 0
	s_and_saveexec_b64 s[8:9], s[4:5]
	s_cbranch_execnz .LBB14_1970
	s_branch .LBB14_1971
	.section	.rodata,"a",@progbits
	.p2align	6, 0x0
	.amdhsa_kernel _ZN2at6native32elementwise_kernel_manual_unrollILi128ELi4EZNS0_15gpu_kernel_implIZZZNS0_15sin_kernel_cudaERNS_18TensorIteratorBaseEENKUlvE0_clEvENKUlvE0_clEvEUlfE_EEvS4_RKT_EUlibE_EEviT1_
		.amdhsa_group_segment_fixed_size 0
		.amdhsa_private_segment_fixed_size 0
		.amdhsa_kernarg_size 40
		.amdhsa_user_sgpr_count 6
		.amdhsa_user_sgpr_private_segment_buffer 1
		.amdhsa_user_sgpr_dispatch_ptr 0
		.amdhsa_user_sgpr_queue_ptr 0
		.amdhsa_user_sgpr_kernarg_segment_ptr 1
		.amdhsa_user_sgpr_dispatch_id 0
		.amdhsa_user_sgpr_flat_scratch_init 0
		.amdhsa_user_sgpr_private_segment_size 0
		.amdhsa_uses_dynamic_stack 0
		.amdhsa_system_sgpr_private_segment_wavefront_offset 0
		.amdhsa_system_sgpr_workgroup_id_x 1
		.amdhsa_system_sgpr_workgroup_id_y 0
		.amdhsa_system_sgpr_workgroup_id_z 0
		.amdhsa_system_sgpr_workgroup_info 0
		.amdhsa_system_vgpr_workitem_id 0
		.amdhsa_next_free_vgpr 27
		.amdhsa_next_free_sgpr 44
		.amdhsa_reserve_vcc 1
		.amdhsa_reserve_flat_scratch 0
		.amdhsa_float_round_mode_32 0
		.amdhsa_float_round_mode_16_64 0
		.amdhsa_float_denorm_mode_32 3
		.amdhsa_float_denorm_mode_16_64 3
		.amdhsa_dx10_clamp 1
		.amdhsa_ieee_mode 1
		.amdhsa_fp16_overflow 0
		.amdhsa_exception_fp_ieee_invalid_op 0
		.amdhsa_exception_fp_denorm_src 0
		.amdhsa_exception_fp_ieee_div_zero 0
		.amdhsa_exception_fp_ieee_overflow 0
		.amdhsa_exception_fp_ieee_underflow 0
		.amdhsa_exception_fp_ieee_inexact 0
		.amdhsa_exception_int_div_zero 0
	.end_amdhsa_kernel
	.section	.text._ZN2at6native32elementwise_kernel_manual_unrollILi128ELi4EZNS0_15gpu_kernel_implIZZZNS0_15sin_kernel_cudaERNS_18TensorIteratorBaseEENKUlvE0_clEvENKUlvE0_clEvEUlfE_EEvS4_RKT_EUlibE_EEviT1_,"axG",@progbits,_ZN2at6native32elementwise_kernel_manual_unrollILi128ELi4EZNS0_15gpu_kernel_implIZZZNS0_15sin_kernel_cudaERNS_18TensorIteratorBaseEENKUlvE0_clEvENKUlvE0_clEvEUlfE_EEvS4_RKT_EUlibE_EEviT1_,comdat
.Lfunc_end14:
	.size	_ZN2at6native32elementwise_kernel_manual_unrollILi128ELi4EZNS0_15gpu_kernel_implIZZZNS0_15sin_kernel_cudaERNS_18TensorIteratorBaseEENKUlvE0_clEvENKUlvE0_clEvEUlfE_EEvS4_RKT_EUlibE_EEviT1_, .Lfunc_end14-_ZN2at6native32elementwise_kernel_manual_unrollILi128ELi4EZNS0_15gpu_kernel_implIZZZNS0_15sin_kernel_cudaERNS_18TensorIteratorBaseEENKUlvE0_clEvENKUlvE0_clEvEUlfE_EEvS4_RKT_EUlibE_EEviT1_
                                        ; -- End function
	.set _ZN2at6native32elementwise_kernel_manual_unrollILi128ELi4EZNS0_15gpu_kernel_implIZZZNS0_15sin_kernel_cudaERNS_18TensorIteratorBaseEENKUlvE0_clEvENKUlvE0_clEvEUlfE_EEvS4_RKT_EUlibE_EEviT1_.num_vgpr, 27
	.set _ZN2at6native32elementwise_kernel_manual_unrollILi128ELi4EZNS0_15gpu_kernel_implIZZZNS0_15sin_kernel_cudaERNS_18TensorIteratorBaseEENKUlvE0_clEvENKUlvE0_clEvEUlfE_EEvS4_RKT_EUlibE_EEviT1_.num_agpr, 0
	.set _ZN2at6native32elementwise_kernel_manual_unrollILi128ELi4EZNS0_15gpu_kernel_implIZZZNS0_15sin_kernel_cudaERNS_18TensorIteratorBaseEENKUlvE0_clEvENKUlvE0_clEvEUlfE_EEvS4_RKT_EUlibE_EEviT1_.numbered_sgpr, 44
	.set _ZN2at6native32elementwise_kernel_manual_unrollILi128ELi4EZNS0_15gpu_kernel_implIZZZNS0_15sin_kernel_cudaERNS_18TensorIteratorBaseEENKUlvE0_clEvENKUlvE0_clEvEUlfE_EEvS4_RKT_EUlibE_EEviT1_.num_named_barrier, 0
	.set _ZN2at6native32elementwise_kernel_manual_unrollILi128ELi4EZNS0_15gpu_kernel_implIZZZNS0_15sin_kernel_cudaERNS_18TensorIteratorBaseEENKUlvE0_clEvENKUlvE0_clEvEUlfE_EEvS4_RKT_EUlibE_EEviT1_.private_seg_size, 0
	.set _ZN2at6native32elementwise_kernel_manual_unrollILi128ELi4EZNS0_15gpu_kernel_implIZZZNS0_15sin_kernel_cudaERNS_18TensorIteratorBaseEENKUlvE0_clEvENKUlvE0_clEvEUlfE_EEvS4_RKT_EUlibE_EEviT1_.uses_vcc, 1
	.set _ZN2at6native32elementwise_kernel_manual_unrollILi128ELi4EZNS0_15gpu_kernel_implIZZZNS0_15sin_kernel_cudaERNS_18TensorIteratorBaseEENKUlvE0_clEvENKUlvE0_clEvEUlfE_EEvS4_RKT_EUlibE_EEviT1_.uses_flat_scratch, 0
	.set _ZN2at6native32elementwise_kernel_manual_unrollILi128ELi4EZNS0_15gpu_kernel_implIZZZNS0_15sin_kernel_cudaERNS_18TensorIteratorBaseEENKUlvE0_clEvENKUlvE0_clEvEUlfE_EEvS4_RKT_EUlibE_EEviT1_.has_dyn_sized_stack, 0
	.set _ZN2at6native32elementwise_kernel_manual_unrollILi128ELi4EZNS0_15gpu_kernel_implIZZZNS0_15sin_kernel_cudaERNS_18TensorIteratorBaseEENKUlvE0_clEvENKUlvE0_clEvEUlfE_EEvS4_RKT_EUlibE_EEviT1_.has_recursion, 0
	.set _ZN2at6native32elementwise_kernel_manual_unrollILi128ELi4EZNS0_15gpu_kernel_implIZZZNS0_15sin_kernel_cudaERNS_18TensorIteratorBaseEENKUlvE0_clEvENKUlvE0_clEvEUlfE_EEvS4_RKT_EUlibE_EEviT1_.has_indirect_call, 0
	.section	.AMDGPU.csdata,"",@progbits
; Kernel info:
; codeLenInByte = 38944
; TotalNumSgprs: 48
; NumVgprs: 27
; ScratchSize: 0
; MemoryBound: 1
; FloatMode: 240
; IeeeMode: 1
; LDSByteSize: 0 bytes/workgroup (compile time only)
; SGPRBlocks: 5
; VGPRBlocks: 6
; NumSGPRsForWavesPerEU: 48
; NumVGPRsForWavesPerEU: 27
; Occupancy: 9
; WaveLimiterHint : 0
; COMPUTE_PGM_RSRC2:SCRATCH_EN: 0
; COMPUTE_PGM_RSRC2:USER_SGPR: 6
; COMPUTE_PGM_RSRC2:TRAP_HANDLER: 0
; COMPUTE_PGM_RSRC2:TGID_X_EN: 1
; COMPUTE_PGM_RSRC2:TGID_Y_EN: 0
; COMPUTE_PGM_RSRC2:TGID_Z_EN: 0
; COMPUTE_PGM_RSRC2:TIDIG_COMP_CNT: 0
	.section	.text._ZN2at6native32elementwise_kernel_manual_unrollILi128ELi4EZNS0_15gpu_kernel_implIZZZNS0_15sin_kernel_cudaERNS_18TensorIteratorBaseEENKUlvE0_clEvENKUlvE0_clEvEUlfE_EEvS4_RKT_EUlibE0_EEviT1_,"axG",@progbits,_ZN2at6native32elementwise_kernel_manual_unrollILi128ELi4EZNS0_15gpu_kernel_implIZZZNS0_15sin_kernel_cudaERNS_18TensorIteratorBaseEENKUlvE0_clEvENKUlvE0_clEvEUlfE_EEvS4_RKT_EUlibE0_EEviT1_,comdat
	.globl	_ZN2at6native32elementwise_kernel_manual_unrollILi128ELi4EZNS0_15gpu_kernel_implIZZZNS0_15sin_kernel_cudaERNS_18TensorIteratorBaseEENKUlvE0_clEvENKUlvE0_clEvEUlfE_EEvS4_RKT_EUlibE0_EEviT1_ ; -- Begin function _ZN2at6native32elementwise_kernel_manual_unrollILi128ELi4EZNS0_15gpu_kernel_implIZZZNS0_15sin_kernel_cudaERNS_18TensorIteratorBaseEENKUlvE0_clEvENKUlvE0_clEvEUlfE_EEvS4_RKT_EUlibE0_EEviT1_
	.p2align	8
	.type	_ZN2at6native32elementwise_kernel_manual_unrollILi128ELi4EZNS0_15gpu_kernel_implIZZZNS0_15sin_kernel_cudaERNS_18TensorIteratorBaseEENKUlvE0_clEvENKUlvE0_clEvEUlfE_EEvS4_RKT_EUlibE0_EEviT1_,@function
_ZN2at6native32elementwise_kernel_manual_unrollILi128ELi4EZNS0_15gpu_kernel_implIZZZNS0_15sin_kernel_cudaERNS_18TensorIteratorBaseEENKUlvE0_clEvENKUlvE0_clEvEUlfE_EEvS4_RKT_EUlibE0_EEviT1_: ; @_ZN2at6native32elementwise_kernel_manual_unrollILi128ELi4EZNS0_15gpu_kernel_implIZZZNS0_15sin_kernel_cudaERNS_18TensorIteratorBaseEENKUlvE0_clEvENKUlvE0_clEvEUlfE_EEvS4_RKT_EUlibE0_EEviT1_
; %bb.0:
	s_load_dword s70, s[4:5], 0x0
	s_load_dword s33, s[4:5], 0x8
	s_add_u32 s34, s4, 8
	s_addc_u32 s35, s5, 0
	v_lshl_or_b32 v8, s6, 9, v0
	v_or_b32_e32 v15, 0x180, v8
	s_waitcnt lgkmcnt(0)
	s_add_i32 s72, s33, -1
	s_cmp_gt_u32 s72, 1
	v_cmp_le_i32_e32 vcc, s70, v15
	s_cselect_b64 s[42:43], -1, 0
	s_mov_b64 s[40:41], 0
	s_mov_b64 s[6:7], 0
	s_and_saveexec_b64 s[0:1], vcc
	s_xor_b64 s[44:45], exec, s[0:1]
	s_cbranch_execz .LBB15_1102
; %bb.1:
	v_mov_b32_e32 v0, 0
	global_load_ushort v0, v0, s[34:35] offset:345
	s_load_dwordx4 s[36:39], s[34:35], 0x4
	s_load_dwordx2 s[46:47], s[34:35], 0x14
	s_load_dwordx4 s[28:31], s[34:35], 0xc4
	s_load_dwordx4 s[24:27], s[34:35], 0x148
	s_cmp_lg_u32 s33, 0
	s_cselect_b64 s[52:53], -1, 0
	s_add_u32 s50, s34, 0xc4
	s_addc_u32 s51, s35, 0
	s_min_u32 s75, s72, 15
	s_cmp_gt_u32 s33, 1
	s_cselect_b64 s[48:49], -1, 0
	v_cmp_gt_i32_e32 vcc, s70, v8
	s_mov_b64 s[2:3], -1
	s_mov_b64 s[62:63], 0
	s_mov_b64 s[56:57], 0
	;; [unrolled: 1-line block ×3, first 2 shown]
	s_waitcnt vmcnt(0)
	v_readfirstlane_b32 s73, v0
	s_and_b32 s0, 0xffff, s73
	s_lshr_b32 s74, s0, 8
	s_and_saveexec_b64 s[58:59], vcc
	s_cbranch_execz .LBB15_270
; %bb.2:
	s_andn2_b64 vcc, exec, s[42:43]
	s_cbranch_vccnz .LBB15_7
; %bb.3:
	s_andn2_b64 vcc, exec, s[52:53]
	s_cbranch_vccnz .LBB15_8
; %bb.4:
	s_add_i32 s57, s75, 1
	s_cmp_eq_u32 s72, 2
	s_cbranch_scc1 .LBB15_9
; %bb.5:
	s_and_b32 s56, s57, 28
	v_mov_b32_e32 v2, 0
	s_mov_b32 s60, 0
	s_mov_b64 s[6:7], s[34:35]
	s_mov_b64 s[54:55], s[50:51]
	v_mov_b32_e32 v0, 0
	v_mov_b32_e32 v1, v8
.LBB15_6:                               ; =>This Inner Loop Header: Depth=1
	s_load_dwordx8 s[16:23], s[6:7], 0x4
	s_load_dwordx4 s[0:3], s[6:7], 0x24
	s_load_dwordx8 s[8:15], s[54:55], 0x0
	s_add_u32 s6, s6, 48
	s_addc_u32 s7, s7, 0
	s_waitcnt lgkmcnt(0)
	v_mul_hi_u32 v3, s17, v1
	s_add_i32 s60, s60, 4
	s_add_u32 s54, s54, 32
	s_addc_u32 s55, s55, 0
	v_add_u32_e32 v3, v1, v3
	v_lshrrev_b32_e32 v3, s18, v3
	v_mul_lo_u32 v4, v3, s16
	v_mul_hi_u32 v5, s20, v3
	s_cmp_lg_u32 s56, s60
	v_sub_u32_e32 v1, v1, v4
	v_add_u32_e32 v4, v3, v5
	v_mul_lo_u32 v5, v1, s8
	v_mul_lo_u32 v6, v1, s9
	v_lshrrev_b32_e32 v1, s21, v4
	v_mul_lo_u32 v4, v1, s19
	v_mul_hi_u32 v7, s23, v1
	v_sub_u32_e32 v3, v3, v4
	v_add_u32_e32 v4, v1, v7
	v_lshrrev_b32_e32 v4, s0, v4
	v_mul_hi_u32 v9, s2, v4
	v_mul_lo_u32 v10, v4, s22
	v_mul_lo_u32 v7, v3, s10
	;; [unrolled: 1-line block ×3, first 2 shown]
	v_sub_u32_e32 v10, v1, v10
	v_add_u32_e32 v1, v4, v9
	v_lshrrev_b32_e32 v1, s3, v1
	v_mul_lo_u32 v9, v1, s1
	v_mul_lo_u32 v11, v10, s12
	;; [unrolled: 1-line block ×3, first 2 shown]
	v_add3_u32 v0, v5, v0, v7
	v_sub_u32_e32 v4, v4, v9
	v_mul_lo_u32 v9, v4, s14
	v_mul_lo_u32 v4, v4, s15
	v_add3_u32 v2, v6, v2, v3
	v_add3_u32 v0, v11, v0, v9
	;; [unrolled: 1-line block ×3, first 2 shown]
	s_cbranch_scc1 .LBB15_6
	s_branch .LBB15_10
.LBB15_7:
                                        ; implicit-def: $vgpr0
                                        ; implicit-def: $vgpr2
	s_branch .LBB15_14
.LBB15_8:
	v_mov_b32_e32 v0, 0
	v_mov_b32_e32 v2, 0
	s_branch .LBB15_13
.LBB15_9:
	s_mov_b32 s56, 0
	v_mov_b32_e32 v0, 0
	v_mov_b32_e32 v2, 0
	;; [unrolled: 1-line block ×3, first 2 shown]
.LBB15_10:
	s_and_b32 s6, s57, 3
	s_cmp_eq_u32 s6, 0
	s_cbranch_scc1 .LBB15_13
; %bb.11:
	s_lshl_b32 s0, s56, 3
	s_add_u32 s0, s34, s0
	s_addc_u32 s1, s35, 0
	s_add_u32 s0, s0, 0xc4
	s_addc_u32 s1, s1, 0
	s_mul_i32 s2, s56, 12
	s_add_u32 s2, s34, s2
	s_addc_u32 s3, s35, 0
.LBB15_12:                              ; =>This Inner Loop Header: Depth=1
	s_load_dwordx2 s[8:9], s[2:3], 0x4
	s_load_dword s7, s[2:3], 0xc
	s_load_dwordx2 s[10:11], s[0:1], 0x0
	s_add_u32 s2, s2, 12
	s_addc_u32 s3, s3, 0
	s_waitcnt lgkmcnt(0)
	v_mul_hi_u32 v3, s9, v1
	s_add_u32 s0, s0, 8
	s_addc_u32 s1, s1, 0
	s_add_i32 s6, s6, -1
	v_add_u32_e32 v3, v1, v3
	v_lshrrev_b32_e32 v4, s7, v3
	v_mul_lo_u32 v3, v4, s8
	s_cmp_lg_u32 s6, 0
	v_sub_u32_e32 v3, v1, v3
	v_mad_u64_u32 v[0:1], s[8:9], v3, s10, v[0:1]
	v_mad_u64_u32 v[2:3], s[8:9], v3, s11, v[2:3]
	v_mov_b32_e32 v1, v4
	s_cbranch_scc1 .LBB15_12
.LBB15_13:
	s_cbranch_execnz .LBB15_16
.LBB15_14:
	s_waitcnt lgkmcnt(0)
	v_mul_hi_u32 v0, s37, v8
	s_andn2_b64 vcc, exec, s[48:49]
	v_add_u32_e32 v0, v8, v0
	v_lshrrev_b32_e32 v1, s38, v0
	v_mul_lo_u32 v0, v1, s36
	v_sub_u32_e32 v2, v8, v0
	v_mul_lo_u32 v0, v2, s28
	v_mul_lo_u32 v2, v2, s29
	s_cbranch_vccnz .LBB15_16
; %bb.15:
	v_mul_hi_u32 v3, s46, v1
	v_add_u32_e32 v3, v1, v3
	v_lshrrev_b32_e32 v3, s47, v3
	v_mul_lo_u32 v3, v3, s39
	v_sub_u32_e32 v3, v1, v3
	v_mad_u64_u32 v[0:1], s[0:1], v3, s30, v[0:1]
	v_mad_u64_u32 v[2:3], s[0:1], v3, s31, v[2:3]
.LBB15_16:
	s_waitcnt lgkmcnt(0)
	v_mov_b32_e32 v3, s27
	s_and_b32 s10, 0xffff, s74
	v_add_co_u32_e32 v1, vcc, s26, v2
	s_cmp_lt_i32 s10, 11
	v_addc_co_u32_e32 v2, vcc, 0, v3, vcc
	s_cbranch_scc1 .LBB15_23
; %bb.17:
	s_cmp_gt_i32 s10, 25
	s_cbranch_scc0 .LBB15_36
; %bb.18:
	s_cmp_gt_i32 s10, 28
	s_cbranch_scc0 .LBB15_39
	;; [unrolled: 3-line block ×4, first 2 shown]
; %bb.21:
	s_cmp_eq_u32 s10, 46
	s_mov_b64 s[2:3], 0
	s_cbranch_scc0 .LBB15_45
; %bb.22:
	global_load_dword v3, v[1:2], off
	s_mov_b64 s[0:1], -1
	s_mov_b64 s[8:9], 0
	s_waitcnt vmcnt(0)
	v_lshlrev_b32_e32 v3, 16, v3
	s_branch .LBB15_47
.LBB15_23:
	s_mov_b64 s[8:9], 0
                                        ; implicit-def: $vgpr3
	s_mov_b64 s[0:1], 0
	s_cbranch_execnz .LBB15_220
.LBB15_24:
	s_andn2_b64 vcc, exec, s[0:1]
	s_cbranch_vccnz .LBB15_267
.LBB15_25:
	s_brev_b32 s0, 18
	s_waitcnt vmcnt(0)
	v_and_b32_e32 v1, 0x7fffffff, v3
	v_cmp_nlt_f32_e64 s[0:1], |v3|, s0
                                        ; implicit-def: $vgpr2
                                        ; implicit-def: $vgpr4
	s_and_saveexec_b64 s[2:3], s[0:1]
	s_xor_b64 s[10:11], exec, s[2:3]
	s_cbranch_execz .LBB15_27
; %bb.26:
	v_and_b32_e32 v2, 0x7fffff, v1
	v_or_b32_e32 v2, 0x800000, v2
	s_mov_b32 s0, 0xfe5163ab
	v_mad_u64_u32 v[4:5], s[0:1], v2, s0, 0
	v_mov_b32_e32 v6, 0
	s_mov_b32 s0, 0x3c439041
	v_mad_u64_u32 v[9:10], s[0:1], v2, s0, v[5:6]
	s_mov_b32 s0, 0xdb629599
	v_not_b32_e32 v7, 63
	v_mov_b32_e32 v5, v10
	v_mad_u64_u32 v[10:11], s[0:1], v2, s0, v[5:6]
	s_mov_b32 s0, 0xf534ddc0
	v_not_b32_e32 v15, 31
	v_mov_b32_e32 v5, v11
	v_mad_u64_u32 v[11:12], s[0:1], v2, s0, v[5:6]
	v_lshrrev_b32_e32 v5, 23, v1
	v_add_u32_e32 v14, 0xffffff88, v5
	v_mov_b32_e32 v5, v12
	s_mov_b32 s0, 0xfc2757d1
	v_mad_u64_u32 v[12:13], s[0:1], v2, s0, v[5:6]
	v_cmp_lt_u32_e32 vcc, 63, v14
	v_cndmask_b32_e32 v5, 0, v7, vcc
	v_add_u32_e32 v7, v5, v14
	v_mov_b32_e32 v5, v13
	s_mov_b32 s0, 0x4e441529
	v_mad_u64_u32 v[13:14], s[0:1], v2, s0, v[5:6]
	v_cmp_lt_u32_e64 s[0:1], 31, v7
	v_cndmask_b32_e64 v5, 0, v15, s[0:1]
	v_add_u32_e32 v7, v5, v7
	v_mov_b32_e32 v5, v14
	s_mov_b32 s2, 0xa2f9836e
	v_mad_u64_u32 v[5:6], s[2:3], v2, s2, v[5:6]
	v_cmp_lt_u32_e64 s[2:3], 31, v7
	v_cndmask_b32_e64 v2, 0, v15, s[2:3]
	v_add_u32_e32 v2, v2, v7
	v_cndmask_b32_e32 v7, v13, v11, vcc
	v_cndmask_b32_e32 v5, v5, v12, vcc
	;; [unrolled: 1-line block ×3, first 2 shown]
	v_cndmask_b32_e64 v14, v5, v7, s[0:1]
	v_cndmask_b32_e64 v5, v6, v5, s[0:1]
	v_cndmask_b32_e32 v6, v12, v10, vcc
	v_cndmask_b32_e64 v7, v7, v6, s[0:1]
	v_cndmask_b32_e64 v5, v5, v14, s[2:3]
	;; [unrolled: 1-line block ×3, first 2 shown]
	v_sub_u32_e32 v13, 32, v2
	v_alignbit_b32 v14, v5, v12, v13
	v_cmp_eq_u32_e64 s[6:7], 0, v2
	v_cndmask_b32_e64 v2, v14, v5, s[6:7]
	v_cndmask_b32_e32 v5, v11, v9, vcc
	v_cndmask_b32_e64 v6, v6, v5, s[0:1]
	v_cndmask_b32_e64 v7, v7, v6, s[2:3]
	v_alignbit_b32 v9, v12, v7, v13
	v_cndmask_b32_e32 v4, v10, v4, vcc
	v_cndmask_b32_e64 v9, v9, v12, s[6:7]
	v_bfe_u32 v14, v2, 29, 1
	v_cndmask_b32_e64 v4, v5, v4, s[0:1]
	v_alignbit_b32 v11, v2, v9, 30
	v_sub_u32_e32 v15, 0, v14
	v_cndmask_b32_e64 v4, v6, v4, s[2:3]
	v_xor_b32_e32 v11, v11, v15
	v_alignbit_b32 v5, v7, v4, v13
	v_cndmask_b32_e64 v5, v5, v7, s[6:7]
	v_ffbh_u32_e32 v7, v11
	v_alignbit_b32 v6, v9, v5, 30
	v_min_u32_e32 v7, 32, v7
	v_alignbit_b32 v4, v5, v4, 30
	v_xor_b32_e32 v6, v6, v15
	v_sub_u32_e32 v9, 31, v7
	v_xor_b32_e32 v4, v4, v15
	v_alignbit_b32 v10, v11, v6, v9
	v_alignbit_b32 v4, v6, v4, v9
	;; [unrolled: 1-line block ×3, first 2 shown]
	v_ffbh_u32_e32 v6, v5
	v_min_u32_e32 v6, 32, v6
	v_lshrrev_b32_e32 v12, 29, v2
	v_not_b32_e32 v9, v6
	v_alignbit_b32 v4, v5, v4, v9
	v_lshlrev_b32_e32 v5, 31, v12
	v_or_b32_e32 v9, 0x33000000, v5
	v_add_lshl_u32 v6, v6, v7, 23
	v_lshrrev_b32_e32 v4, 9, v4
	v_sub_u32_e32 v6, v9, v6
	v_or_b32_e32 v5, 0.5, v5
	v_lshlrev_b32_e32 v7, 23, v7
	v_or_b32_e32 v4, v6, v4
	v_lshrrev_b32_e32 v6, 9, v10
	v_sub_u32_e32 v5, v5, v7
	v_or_b32_e32 v5, v6, v5
	s_mov_b32 s0, 0x3fc90fda
	v_mul_f32_e32 v6, 0x3fc90fda, v5
	v_fma_f32 v7, v5, s0, -v6
	v_fmac_f32_e32 v7, 0x33a22168, v5
	v_fmac_f32_e32 v7, 0x3fc90fda, v4
	v_lshrrev_b32_e32 v2, 30, v2
	v_add_f32_e32 v4, v6, v7
	v_add_u32_e32 v2, v14, v2
.LBB15_27:
	s_andn2_saveexec_b64 s[0:1], s[10:11]
	s_cbranch_execz .LBB15_29
; %bb.28:
	s_mov_b32 s2, 0x3f22f983
	v_mul_f32_e64 v2, |v3|, s2
	v_rndne_f32_e32 v5, v2
	s_mov_b32 s2, 0xbfc90fda
	v_cvt_i32_f32_e32 v2, v5
	v_fma_f32 v4, v5, s2, |v3|
	v_fmac_f32_e32 v4, 0xb3a22168, v5
	v_fmac_f32_e32 v4, 0xa7c234c4, v5
.LBB15_29:
	s_or_b64 exec, exec, s[0:1]
	v_mul_f32_e32 v5, v4, v4
	v_mov_b32_e32 v6, 0x3c0881c4
	v_fmac_f32_e32 v6, 0xb94c1982, v5
	v_mov_b32_e32 v7, 0xbe2aaa9d
	v_fmac_f32_e32 v7, v5, v6
	v_mul_f32_e32 v6, v5, v7
	v_fmac_f32_e32 v4, v4, v6
	v_mov_b32_e32 v6, 0xbab64f3b
	v_fmac_f32_e32 v6, 0x37d75334, v5
	v_mov_b32_e32 v7, 0x3d2aabf7
	;; [unrolled: 2-line block ×3, first 2 shown]
	v_fmac_f32_e32 v6, v5, v7
	v_fma_f32 v5, v5, v6, 1.0
	v_and_b32_e32 v6, 1, v2
	v_lshlrev_b32_e32 v2, 30, v2
	v_cmp_eq_u32_e32 vcc, 0, v6
	v_and_b32_e32 v2, 0x80000000, v2
	v_xor_b32_e32 v1, v1, v3
	v_cndmask_b32_e32 v4, v5, v4, vcc
	v_xor_b32_e32 v1, v1, v2
	s_movk_i32 s0, 0x1f8
	v_xor_b32_e32 v1, v1, v4
	v_mov_b32_e32 v2, 0x7fc00000
	v_cmp_class_f32_e64 vcc, v3, s0
	v_cndmask_b32_e32 v2, v2, v1, vcc
	v_mov_b32_e32 v1, s25
	s_and_b32 s12, s73, 0xff
	v_add_co_u32_e32 v0, vcc, s24, v0
	s_cmp_lt_i32 s12, 11
	v_addc_co_u32_e32 v1, vcc, 0, v1, vcc
	s_cbranch_scc1 .LBB15_37
; %bb.30:
	s_and_b32 s13, 0xffff, s12
	s_cmp_gt_i32 s13, 25
	s_cbranch_scc0 .LBB15_40
; %bb.31:
	s_cmp_gt_i32 s13, 28
	s_cbranch_scc0 .LBB15_42
; %bb.32:
	;; [unrolled: 3-line block ×4, first 2 shown]
	s_mov_b64 s[6:7], 0
	s_mov_b64 s[0:1], -1
	s_cmp_eq_u32 s13, 46
	s_mov_b64 s[2:3], 0
	s_cbranch_scc0 .LBB15_51
; %bb.35:
	v_bfe_u32 v3, v2, 16, 1
	s_movk_i32 s0, 0x7fff
	v_add3_u32 v3, v2, v3, s0
	v_cmp_o_f32_e32 vcc, v2, v2
	v_mov_b32_e32 v4, 0x7fc0
	v_cndmask_b32_sdwa v3, v4, v3, vcc dst_sel:DWORD dst_unused:UNUSED_PAD src0_sel:DWORD src1_sel:WORD_1
	global_store_dword v[0:1], v3, off
	s_mov_b64 s[2:3], -1
	s_mov_b64 s[0:1], 0
	s_branch .LBB15_51
.LBB15_36:
	s_mov_b64 s[8:9], 0
	s_mov_b64 s[0:1], 0
                                        ; implicit-def: $vgpr3
	s_cbranch_execnz .LBB15_185
	s_branch .LBB15_219
.LBB15_37:
	s_mov_b64 s[0:1], 0
	s_mov_b64 s[2:3], 0
	s_cbranch_execnz .LBB15_120
.LBB15_38:
	s_andn2_b64 vcc, exec, s[2:3]
	s_cbranch_vccnz .LBB15_268
	s_branch .LBB15_158
.LBB15_39:
	s_mov_b64 s[2:3], -1
	s_mov_b64 s[8:9], 0
	s_mov_b64 s[0:1], 0
                                        ; implicit-def: $vgpr3
	s_branch .LBB15_166
.LBB15_40:
	s_mov_b64 s[6:7], -1
	s_mov_b64 s[0:1], 0
	s_mov_b64 s[2:3], 0
	s_branch .LBB15_78
.LBB15_41:
	s_mov_b64 s[2:3], -1
	s_mov_b64 s[8:9], 0
	s_mov_b64 s[0:1], 0
                                        ; implicit-def: $vgpr3
	s_branch .LBB15_161
.LBB15_42:
	s_mov_b64 s[6:7], -1
	s_mov_b64 s[0:1], 0
	s_mov_b64 s[2:3], 0
	s_branch .LBB15_61
.LBB15_43:
	s_mov_b64 s[2:3], -1
	s_mov_b64 s[8:9], 0
	s_branch .LBB15_46
.LBB15_44:
	s_mov_b64 s[6:7], -1
	s_mov_b64 s[0:1], 0
	s_mov_b64 s[2:3], 0
	s_branch .LBB15_57
.LBB15_45:
	s_mov_b64 s[8:9], -1
.LBB15_46:
	s_mov_b64 s[0:1], 0
                                        ; implicit-def: $vgpr3
.LBB15_47:
	s_and_b64 vcc, exec, s[2:3]
	s_cbranch_vccz .LBB15_160
; %bb.48:
	s_cmp_eq_u32 s10, 44
	s_cbranch_scc0 .LBB15_159
; %bb.49:
	global_load_ubyte v3, v[1:2], off
	s_movk_i32 s2, 0xff
	v_mov_b32_e32 v4, 0x7f800001
	v_mov_b32_e32 v5, 0x400000
	s_mov_b64 s[0:1], -1
	s_mov_b64 s[8:9], 0
	s_waitcnt vmcnt(0)
	v_lshlrev_b32_e32 v6, 23, v3
	v_cmp_ne_u32_e32 vcc, s2, v3
	v_cndmask_b32_e32 v4, v4, v6, vcc
	v_cmp_ne_u32_e32 vcc, 0, v3
	v_cndmask_b32_e32 v3, v5, v4, vcc
	s_branch .LBB15_160
.LBB15_50:
	s_mov_b64 s[6:7], -1
	s_mov_b64 s[0:1], 0
	s_mov_b64 s[2:3], 0
.LBB15_51:
	s_and_b64 vcc, exec, s[6:7]
	s_cbranch_vccz .LBB15_56
; %bb.52:
	s_cmp_eq_u32 s13, 44
	s_mov_b64 s[0:1], -1
	s_cbranch_scc0 .LBB15_56
; %bb.53:
	v_bfe_u32 v3, v2, 23, 8
	s_movk_i32 s0, 0xff
	v_cmp_ne_u32_e32 vcc, s0, v3
	v_mov_b32_e32 v4, 0xff
	s_and_saveexec_b64 s[2:3], vcc
; %bb.54:
	s_mov_b32 s0, 0x3fffff
	v_and_b32_e32 v5, 0x400000, v2
	v_and_or_b32 v3, v2, s0, v3
	v_cmp_ne_u32_e32 vcc, 0, v5
	v_cmp_ne_u32_e64 s[0:1], 0, v3
	s_and_b64 s[0:1], vcc, s[0:1]
	v_lshrrev_b32_e32 v4, 23, v2
	v_cndmask_b32_e64 v3, 0, 1, s[0:1]
	v_add_u32_e32 v4, v4, v3
; %bb.55:
	s_or_b64 exec, exec, s[2:3]
	s_mov_b64 s[2:3], -1
	s_mov_b64 s[0:1], 0
	global_store_byte v[0:1], v4, off
.LBB15_56:
	s_mov_b64 s[6:7], 0
.LBB15_57:
	s_and_b64 vcc, exec, s[6:7]
	s_cbranch_vccz .LBB15_60
; %bb.58:
	s_cmp_eq_u32 s13, 29
	s_mov_b64 s[0:1], -1
	s_cbranch_scc0 .LBB15_60
; %bb.59:
	v_trunc_f32_e32 v3, v2
	v_mul_f32_e32 v4, 0x2f800000, v3
	v_floor_f32_e32 v5, v4
	v_fmac_f32_e32 v3, 0xcf800000, v5
	v_cvt_u32_f32_e32 v4, v5
	v_cvt_u32_f32_e32 v3, v3
	s_mov_b64 s[2:3], -1
	s_mov_b64 s[0:1], 0
	s_mov_b64 s[6:7], 0
	global_store_dwordx2 v[0:1], v[3:4], off
	s_branch .LBB15_61
.LBB15_60:
	s_mov_b64 s[6:7], 0
.LBB15_61:
	s_and_b64 vcc, exec, s[6:7]
	s_cbranch_vccz .LBB15_77
; %bb.62:
	s_cmp_lt_i32 s13, 27
	s_mov_b64 s[2:3], -1
	s_cbranch_scc1 .LBB15_68
; %bb.63:
	v_cvt_u32_f32_e32 v3, v2
	s_cmp_gt_i32 s13, 27
	s_cbranch_scc0 .LBB15_65
; %bb.64:
	s_mov_b64 s[2:3], 0
	global_store_dword v[0:1], v3, off
.LBB15_65:
	s_andn2_b64 vcc, exec, s[2:3]
	s_cbranch_vccnz .LBB15_67
; %bb.66:
	global_store_short v[0:1], v3, off
.LBB15_67:
	s_mov_b64 s[2:3], 0
.LBB15_68:
	s_andn2_b64 vcc, exec, s[2:3]
	s_cbranch_vccnz .LBB15_76
; %bb.69:
	v_and_b32_e32 v3, 0x7fffffff, v2
	s_mov_b32 s2, 0x43800000
	v_cmp_gt_u32_e32 vcc, s2, v3
	v_mov_b32_e32 v4, 0x80
	s_and_saveexec_b64 s[2:3], vcc
	s_cbranch_execz .LBB15_75
; %bb.70:
	s_mov_b32 s6, 0x3bffffff
	v_cmp_lt_u32_e32 vcc, s6, v3
	s_mov_b64 s[6:7], 0
                                        ; implicit-def: $vgpr3
	s_and_saveexec_b64 s[10:11], vcc
	s_xor_b64 s[10:11], exec, s[10:11]
	s_cbranch_execz .LBB15_315
; %bb.71:
	v_bfe_u32 v3, v2, 20, 1
	s_mov_b32 s14, 0x487ffff
	v_add3_u32 v3, v2, v3, s14
	s_mov_b64 s[6:7], exec
	v_lshrrev_b32_e32 v3, 20, v3
	s_andn2_saveexec_b64 s[10:11], s[10:11]
	s_cbranch_execnz .LBB15_316
.LBB15_72:
	s_or_b64 exec, exec, s[10:11]
	v_mov_b32_e32 v4, 0
	s_and_saveexec_b64 s[10:11], s[6:7]
.LBB15_73:
	v_lshrrev_b32_e32 v4, 24, v2
	s_movk_i32 s6, 0x80
	v_and_or_b32 v4, v4, s6, v3
.LBB15_74:
	s_or_b64 exec, exec, s[10:11]
.LBB15_75:
	s_or_b64 exec, exec, s[2:3]
	global_store_byte v[0:1], v4, off
.LBB15_76:
	s_mov_b64 s[2:3], -1
.LBB15_77:
	s_mov_b64 s[6:7], 0
.LBB15_78:
	s_and_b64 vcc, exec, s[6:7]
	s_cbranch_vccz .LBB15_119
; %bb.79:
	s_cmp_gt_i32 s13, 22
	s_mov_b64 s[6:7], -1
	s_cbranch_scc0 .LBB15_111
; %bb.80:
	s_cmp_lt_i32 s13, 24
	s_mov_b64 s[2:3], -1
	s_cbranch_scc1 .LBB15_100
; %bb.81:
	s_cmp_gt_i32 s13, 24
	s_cbranch_scc0 .LBB15_89
; %bb.82:
	v_and_b32_e32 v3, 0x7fffffff, v2
	s_mov_b32 s2, 0x47800000
	v_cmp_gt_u32_e32 vcc, s2, v3
	v_mov_b32_e32 v4, 0x80
	s_and_saveexec_b64 s[2:3], vcc
	s_cbranch_execz .LBB15_88
; %bb.83:
	s_mov_b32 s6, 0x37ffffff
	v_cmp_lt_u32_e32 vcc, s6, v3
	s_mov_b64 s[6:7], 0
                                        ; implicit-def: $vgpr3
	s_and_saveexec_b64 s[10:11], vcc
	s_xor_b64 s[10:11], exec, s[10:11]
	s_cbranch_execz .LBB15_319
; %bb.84:
	v_bfe_u32 v3, v2, 21, 1
	s_mov_b32 s14, 0x88fffff
	v_add3_u32 v3, v2, v3, s14
	s_mov_b64 s[6:7], exec
	v_lshrrev_b32_e32 v3, 21, v3
	s_andn2_saveexec_b64 s[10:11], s[10:11]
	s_cbranch_execnz .LBB15_320
.LBB15_85:
	s_or_b64 exec, exec, s[10:11]
	v_mov_b32_e32 v4, 0
	s_and_saveexec_b64 s[10:11], s[6:7]
.LBB15_86:
	v_lshrrev_b32_e32 v4, 24, v2
	s_movk_i32 s6, 0x80
	v_and_or_b32 v4, v4, s6, v3
.LBB15_87:
	s_or_b64 exec, exec, s[10:11]
.LBB15_88:
	s_or_b64 exec, exec, s[2:3]
	s_mov_b64 s[2:3], 0
	global_store_byte v[0:1], v4, off
.LBB15_89:
	s_and_b64 vcc, exec, s[2:3]
	s_cbranch_vccz .LBB15_99
; %bb.90:
	v_and_b32_e32 v4, 0x7fffffff, v2
	s_mov_b32 s2, 0x43f00000
	v_cmp_gt_u32_e32 vcc, s2, v4
                                        ; implicit-def: $vgpr3
	s_and_saveexec_b64 s[2:3], vcc
	s_xor_b64 s[2:3], exec, s[2:3]
	s_cbranch_execz .LBB15_96
; %bb.91:
	s_mov_b32 s6, 0x3c7fffff
	v_cmp_lt_u32_e32 vcc, s6, v4
                                        ; implicit-def: $vgpr3
	s_and_saveexec_b64 s[6:7], vcc
	s_xor_b64 s[6:7], exec, s[6:7]
; %bb.92:
	v_bfe_u32 v3, v2, 20, 1
	s_mov_b32 s10, 0x407ffff
	v_add3_u32 v3, v2, v3, s10
	v_lshrrev_b32_e32 v4, 20, v3
	v_and_b32_e32 v3, 0xff00000, v3
	s_mov_b32 s10, 0x7f00000
	v_mov_b32_e32 v5, 0x7e
	v_cmp_ne_u32_e32 vcc, s10, v3
	v_cndmask_b32_e32 v3, v5, v4, vcc
; %bb.93:
	s_andn2_saveexec_b64 s[6:7], s[6:7]
; %bb.94:
	s_mov_b32 s10, 0x46800000
	v_add_f32_e64 v3, |v2|, s10
; %bb.95:
	s_or_b64 exec, exec, s[6:7]
                                        ; implicit-def: $vgpr4
.LBB15_96:
	s_andn2_saveexec_b64 s[2:3], s[2:3]
; %bb.97:
	s_mov_b32 s6, 0x7f800000
	v_mov_b32_e32 v3, 0x7e
	v_mov_b32_e32 v5, 0x7f
	v_cmp_lt_u32_e32 vcc, s6, v4
	v_cndmask_b32_e32 v3, v3, v5, vcc
; %bb.98:
	s_or_b64 exec, exec, s[2:3]
	v_lshrrev_b32_e32 v4, 24, v2
	s_movk_i32 s2, 0x80
	v_and_or_b32 v3, v4, s2, v3
	global_store_byte v[0:1], v3, off
.LBB15_99:
	s_mov_b64 s[2:3], 0
.LBB15_100:
	s_andn2_b64 vcc, exec, s[2:3]
	s_cbranch_vccnz .LBB15_110
; %bb.101:
	v_and_b32_e32 v4, 0x7fffffff, v2
	s_mov_b32 s2, 0x47800000
	v_cmp_gt_u32_e32 vcc, s2, v4
                                        ; implicit-def: $vgpr3
	s_and_saveexec_b64 s[2:3], vcc
	s_xor_b64 s[2:3], exec, s[2:3]
	s_cbranch_execz .LBB15_107
; %bb.102:
	s_mov_b32 s6, 0x387fffff
	v_cmp_lt_u32_e32 vcc, s6, v4
                                        ; implicit-def: $vgpr3
	s_and_saveexec_b64 s[6:7], vcc
	s_xor_b64 s[6:7], exec, s[6:7]
; %bb.103:
	v_bfe_u32 v3, v2, 21, 1
	s_mov_b32 s10, 0x80fffff
	v_add3_u32 v3, v2, v3, s10
	v_lshrrev_b32_e32 v3, 21, v3
; %bb.104:
	s_andn2_saveexec_b64 s[6:7], s[6:7]
; %bb.105:
	s_mov_b32 s10, 0x43000000
	v_add_f32_e64 v3, |v2|, s10
; %bb.106:
	s_or_b64 exec, exec, s[6:7]
                                        ; implicit-def: $vgpr4
.LBB15_107:
	s_andn2_saveexec_b64 s[2:3], s[2:3]
; %bb.108:
	s_mov_b32 s6, 0x7f800000
	v_mov_b32_e32 v3, 0x7c
	v_mov_b32_e32 v5, 0x7f
	v_cmp_lt_u32_e32 vcc, s6, v4
	v_cndmask_b32_e32 v3, v3, v5, vcc
; %bb.109:
	s_or_b64 exec, exec, s[2:3]
	v_lshrrev_b32_e32 v4, 24, v2
	s_movk_i32 s2, 0x80
	v_and_or_b32 v3, v4, s2, v3
	global_store_byte v[0:1], v3, off
.LBB15_110:
	s_mov_b64 s[6:7], 0
	s_mov_b64 s[2:3], -1
.LBB15_111:
	s_andn2_b64 vcc, exec, s[6:7]
	s_cbranch_vccnz .LBB15_119
; %bb.112:
	s_cmp_gt_i32 s13, 14
	s_mov_b64 s[6:7], -1
	s_cbranch_scc0 .LBB15_116
; %bb.113:
	s_cmp_eq_u32 s13, 15
	s_mov_b64 s[0:1], -1
	s_cbranch_scc0 .LBB15_115
; %bb.114:
	v_bfe_u32 v3, v2, 16, 1
	s_movk_i32 s0, 0x7fff
	v_add3_u32 v3, v2, v3, s0
	v_cmp_o_f32_e32 vcc, v2, v2
	v_mov_b32_e32 v4, 0x7fc0
	v_cndmask_b32_sdwa v3, v4, v3, vcc dst_sel:DWORD dst_unused:UNUSED_PAD src0_sel:DWORD src1_sel:WORD_1
	global_store_short v[0:1], v3, off
	s_mov_b64 s[2:3], -1
	s_mov_b64 s[0:1], 0
.LBB15_115:
	s_mov_b64 s[6:7], 0
.LBB15_116:
	s_and_b64 vcc, exec, s[6:7]
	s_cbranch_vccz .LBB15_119
; %bb.117:
	s_cmp_eq_u32 s13, 11
	s_mov_b64 s[0:1], -1
	s_cbranch_scc0 .LBB15_119
; %bb.118:
	v_cmp_neq_f32_e32 vcc, 0, v2
	v_cndmask_b32_e64 v3, 0, 1, vcc
	s_mov_b64 s[2:3], -1
	s_mov_b64 s[0:1], 0
	global_store_byte v[0:1], v3, off
.LBB15_119:
	s_branch .LBB15_38
.LBB15_120:
	s_and_b32 s6, 0xffff, s12
	s_cmp_lt_i32 s6, 5
	s_mov_b64 s[2:3], -1
	s_cbranch_scc1 .LBB15_141
; %bb.121:
	s_cmp_lt_i32 s6, 8
	s_cbranch_scc1 .LBB15_131
; %bb.122:
	s_cmp_lt_i32 s6, 9
	s_cbranch_scc1 .LBB15_128
; %bb.123:
	s_cmp_gt_i32 s6, 9
	s_cbranch_scc0 .LBB15_125
; %bb.124:
	v_cvt_f64_f32_e32 v[3:4], v2
	v_mov_b32_e32 v5, 0
	v_mov_b32_e32 v6, v5
	s_mov_b64 s[2:3], 0
	global_store_dwordx4 v[0:1], v[3:6], off
.LBB15_125:
	s_andn2_b64 vcc, exec, s[2:3]
	s_cbranch_vccnz .LBB15_127
; %bb.126:
	v_mov_b32_e32 v3, 0
	global_store_dwordx2 v[0:1], v[2:3], off
.LBB15_127:
	s_mov_b64 s[2:3], 0
.LBB15_128:
	s_andn2_b64 vcc, exec, s[2:3]
	s_cbranch_vccnz .LBB15_130
; %bb.129:
	v_cvt_f16_f32_e32 v3, v2
	global_store_dword v[0:1], v3, off
.LBB15_130:
	s_mov_b64 s[2:3], 0
.LBB15_131:
	s_andn2_b64 vcc, exec, s[2:3]
	s_cbranch_vccnz .LBB15_140
; %bb.132:
	s_cmp_lt_i32 s6, 6
	s_mov_b64 s[2:3], -1
	s_cbranch_scc1 .LBB15_138
; %bb.133:
	s_cmp_gt_i32 s6, 6
	s_cbranch_scc0 .LBB15_135
; %bb.134:
	v_cvt_f64_f32_e32 v[3:4], v2
	s_mov_b64 s[2:3], 0
	global_store_dwordx2 v[0:1], v[3:4], off
.LBB15_135:
	s_andn2_b64 vcc, exec, s[2:3]
	s_cbranch_vccnz .LBB15_137
; %bb.136:
	global_store_dword v[0:1], v2, off
.LBB15_137:
	s_mov_b64 s[2:3], 0
.LBB15_138:
	s_andn2_b64 vcc, exec, s[2:3]
	s_cbranch_vccnz .LBB15_140
; %bb.139:
	v_cvt_f16_f32_e32 v3, v2
	global_store_short v[0:1], v3, off
.LBB15_140:
	s_mov_b64 s[2:3], 0
.LBB15_141:
	s_andn2_b64 vcc, exec, s[2:3]
	s_cbranch_vccnz .LBB15_157
; %bb.142:
	s_cmp_lt_i32 s6, 2
	s_mov_b64 s[2:3], -1
	s_cbranch_scc1 .LBB15_152
; %bb.143:
	s_cmp_lt_i32 s6, 3
	s_cbranch_scc1 .LBB15_149
; %bb.144:
	s_cmp_gt_i32 s6, 3
	s_cbranch_scc0 .LBB15_146
; %bb.145:
	v_trunc_f32_e32 v3, v2
	s_mov_b32 s2, 0x2f800000
	v_mul_f32_e64 v4, |v3|, s2
	v_floor_f32_e32 v4, v4
	s_mov_b32 s2, 0xcf800000
	v_cvt_u32_f32_e32 v5, v4
	v_fma_f32 v4, v4, s2, |v3|
	v_cvt_u32_f32_e32 v4, v4
	v_ashrrev_i32_e32 v6, 31, v3
	v_xor_b32_e32 v5, v5, v6
	s_mov_b64 s[2:3], 0
	v_xor_b32_e32 v3, v4, v6
	v_sub_co_u32_e32 v3, vcc, v3, v6
	v_subb_co_u32_e32 v4, vcc, v5, v6, vcc
	global_store_dwordx2 v[0:1], v[3:4], off
.LBB15_146:
	s_andn2_b64 vcc, exec, s[2:3]
	s_cbranch_vccnz .LBB15_148
; %bb.147:
	v_cvt_i32_f32_e32 v3, v2
	global_store_dword v[0:1], v3, off
.LBB15_148:
	s_mov_b64 s[2:3], 0
.LBB15_149:
	s_andn2_b64 vcc, exec, s[2:3]
	s_cbranch_vccnz .LBB15_151
; %bb.150:
	v_cvt_i32_f32_e32 v3, v2
	global_store_short v[0:1], v3, off
.LBB15_151:
	s_mov_b64 s[2:3], 0
.LBB15_152:
	s_andn2_b64 vcc, exec, s[2:3]
	s_cbranch_vccnz .LBB15_157
; %bb.153:
	s_cmp_gt_i32 s6, 0
	s_mov_b64 s[2:3], -1
	s_cbranch_scc0 .LBB15_155
; %bb.154:
	v_cvt_i32_f32_e32 v3, v2
	s_mov_b64 s[2:3], 0
	global_store_byte v[0:1], v3, off
.LBB15_155:
	s_andn2_b64 vcc, exec, s[2:3]
	s_cbranch_vccnz .LBB15_157
; %bb.156:
	v_trunc_f32_e32 v2, v2
	s_mov_b32 s2, 0x2f800000
	v_mul_f32_e64 v3, |v2|, s2
	v_floor_f32_e32 v3, v3
	s_mov_b32 s2, 0xcf800000
	v_fma_f32 v3, v3, s2, |v2|
	v_cvt_u32_f32_e32 v3, v3
	v_ashrrev_i32_e32 v2, 31, v2
	v_xor_b32_e32 v3, v3, v2
	v_sub_u32_e32 v2, v3, v2
	global_store_byte v[0:1], v2, off
.LBB15_157:
.LBB15_158:
	v_add_u32_e32 v8, 0x80, v8
	s_mov_b64 s[2:3], -1
	s_branch .LBB15_269
.LBB15_159:
	s_mov_b64 s[8:9], -1
                                        ; implicit-def: $vgpr3
.LBB15_160:
	s_mov_b64 s[2:3], 0
.LBB15_161:
	s_and_b64 vcc, exec, s[2:3]
	s_cbranch_vccz .LBB15_165
; %bb.162:
	s_cmp_eq_u32 s10, 29
	s_cbranch_scc0 .LBB15_164
; %bb.163:
	global_load_dwordx2 v[3:4], v[1:2], off
	s_mov_b64 s[0:1], -1
	s_mov_b64 s[8:9], 0
	s_mov_b64 s[2:3], 0
	s_waitcnt vmcnt(0)
	v_ffbh_u32_e32 v5, v4
	v_min_u32_e32 v5, 32, v5
	v_lshlrev_b64 v[3:4], v5, v[3:4]
	v_min_u32_e32 v3, 1, v3
	v_or_b32_e32 v3, v4, v3
	v_cvt_f32_u32_e32 v3, v3
	v_sub_u32_e32 v4, 32, v5
	v_ldexp_f32 v3, v3, v4
	s_branch .LBB15_166
.LBB15_164:
	s_mov_b64 s[8:9], -1
                                        ; implicit-def: $vgpr3
.LBB15_165:
	s_mov_b64 s[2:3], 0
.LBB15_166:
	s_and_b64 vcc, exec, s[2:3]
	s_cbranch_vccz .LBB15_184
; %bb.167:
	s_cmp_lt_i32 s10, 27
	s_cbranch_scc1 .LBB15_170
; %bb.168:
	s_cmp_gt_i32 s10, 27
	s_cbranch_scc0 .LBB15_171
; %bb.169:
	global_load_dword v3, v[1:2], off
	s_mov_b64 s[0:1], 0
	s_waitcnt vmcnt(0)
	v_cvt_f32_u32_e32 v3, v3
	s_branch .LBB15_172
.LBB15_170:
	s_mov_b64 s[0:1], -1
                                        ; implicit-def: $vgpr3
	s_branch .LBB15_175
.LBB15_171:
	s_mov_b64 s[0:1], -1
                                        ; implicit-def: $vgpr3
.LBB15_172:
	s_andn2_b64 vcc, exec, s[0:1]
	s_cbranch_vccnz .LBB15_174
; %bb.173:
	global_load_ushort v3, v[1:2], off
	s_waitcnt vmcnt(0)
	v_cvt_f32_u32_e32 v3, v3
.LBB15_174:
	s_mov_b64 s[0:1], 0
.LBB15_175:
	s_andn2_b64 vcc, exec, s[0:1]
	s_cbranch_vccnz .LBB15_183
; %bb.176:
	global_load_ubyte v4, v[1:2], off
	s_movk_i32 s0, 0x7f
	s_waitcnt vmcnt(0)
	v_cmp_lt_i16_e32 vcc, s0, v4
	s_mov_b64 s[0:1], 0
	s_and_saveexec_b64 s[2:3], vcc
	s_xor_b64 s[2:3], exec, s[2:3]
	s_cbranch_execz .LBB15_196
; %bb.177:
	s_movk_i32 s0, 0x80
	v_cmp_eq_u16_e32 vcc, s0, v4
	s_mov_b64 s[0:1], -1
	s_and_saveexec_b64 s[6:7], vcc
; %bb.178:
	s_xor_b64 s[0:1], exec, -1
; %bb.179:
	s_or_b64 exec, exec, s[6:7]
	s_and_b64 s[0:1], s[0:1], exec
	s_or_saveexec_b64 s[2:3], s[2:3]
	v_mov_b32_e32 v3, 0x7f800001
	s_xor_b64 exec, exec, s[2:3]
	s_cbranch_execnz .LBB15_197
.LBB15_180:
	s_or_b64 exec, exec, s[2:3]
	s_and_saveexec_b64 s[2:3], s[0:1]
	s_cbranch_execz .LBB15_182
.LBB15_181:
	v_lshlrev_b32_e32 v3, 24, v4
	v_and_b32_e32 v4, 0xffff, v4
	v_and_b32_e32 v5, 7, v4
	v_ffbh_u32_e32 v7, v5
	v_min_u32_e32 v7, 32, v7
	v_subrev_u32_e32 v9, 28, v7
	v_bfe_u32 v6, v4, 3, 4
	v_lshlrev_b32_e32 v4, v9, v4
	v_sub_u32_e32 v7, 29, v7
	v_and_b32_e32 v4, 7, v4
	v_cmp_eq_u32_e32 vcc, 0, v6
	v_cndmask_b32_e32 v6, v6, v7, vcc
	v_cndmask_b32_e32 v4, v5, v4, vcc
	v_mov_b32_e32 v5, 0x3b800000
	v_lshlrev_b32_e32 v4, 20, v4
	v_and_b32_e32 v3, 0x80000000, v3
	v_lshl_add_u32 v5, v6, 23, v5
	v_or3_b32 v3, v3, v5, v4
.LBB15_182:
	s_or_b64 exec, exec, s[2:3]
.LBB15_183:
	s_mov_b64 s[0:1], -1
.LBB15_184:
	s_branch .LBB15_219
.LBB15_185:
	s_cmp_gt_i32 s10, 22
	s_cbranch_scc0 .LBB15_195
; %bb.186:
	s_cmp_lt_i32 s10, 24
	s_cbranch_scc1 .LBB15_198
; %bb.187:
	s_cmp_gt_i32 s10, 24
	s_cbranch_scc0 .LBB15_199
; %bb.188:
	global_load_ubyte v4, v[1:2], off
	s_movk_i32 s0, 0x7f
	s_waitcnt vmcnt(0)
	v_cmp_lt_i16_e32 vcc, s0, v4
	s_mov_b64 s[0:1], 0
	s_and_saveexec_b64 s[2:3], vcc
	s_xor_b64 s[2:3], exec, s[2:3]
	s_cbranch_execz .LBB15_211
; %bb.189:
	s_movk_i32 s0, 0x80
	v_cmp_eq_u16_e32 vcc, s0, v4
	s_mov_b64 s[0:1], -1
	s_and_saveexec_b64 s[6:7], vcc
; %bb.190:
	s_xor_b64 s[0:1], exec, -1
; %bb.191:
	s_or_b64 exec, exec, s[6:7]
	s_and_b64 s[0:1], s[0:1], exec
	s_or_saveexec_b64 s[2:3], s[2:3]
	v_mov_b32_e32 v3, 0x7f800001
	s_xor_b64 exec, exec, s[2:3]
	s_cbranch_execnz .LBB15_212
.LBB15_192:
	s_or_b64 exec, exec, s[2:3]
	s_and_saveexec_b64 s[2:3], s[0:1]
	s_cbranch_execz .LBB15_194
.LBB15_193:
	v_lshlrev_b32_e32 v3, 24, v4
	v_and_b32_e32 v4, 0xffff, v4
	v_and_b32_e32 v5, 3, v4
	v_ffbh_u32_e32 v7, v5
	v_min_u32_e32 v7, 32, v7
	v_subrev_u32_e32 v9, 29, v7
	v_bfe_u32 v6, v4, 2, 5
	v_lshlrev_b32_e32 v4, v9, v4
	v_sub_u32_e32 v7, 30, v7
	v_and_b32_e32 v4, 3, v4
	v_cmp_eq_u32_e32 vcc, 0, v6
	v_cndmask_b32_e32 v6, v6, v7, vcc
	v_cndmask_b32_e32 v4, v5, v4, vcc
	v_mov_b32_e32 v5, 0x37800000
	v_lshlrev_b32_e32 v4, 21, v4
	v_and_b32_e32 v3, 0x80000000, v3
	v_lshl_add_u32 v5, v6, 23, v5
	v_or3_b32 v3, v3, v5, v4
.LBB15_194:
	s_or_b64 exec, exec, s[2:3]
	s_mov_b64 s[0:1], 0
	s_branch .LBB15_200
.LBB15_195:
	s_mov_b64 s[2:3], -1
                                        ; implicit-def: $vgpr3
	s_branch .LBB15_206
.LBB15_196:
	s_or_saveexec_b64 s[2:3], s[2:3]
	v_mov_b32_e32 v3, 0x7f800001
	s_xor_b64 exec, exec, s[2:3]
	s_cbranch_execz .LBB15_180
.LBB15_197:
	v_cmp_ne_u16_e32 vcc, 0, v4
	s_andn2_b64 s[0:1], s[0:1], exec
	s_and_b64 s[6:7], vcc, exec
	v_mov_b32_e32 v3, 0
	s_or_b64 s[0:1], s[0:1], s[6:7]
	s_or_b64 exec, exec, s[2:3]
	s_and_saveexec_b64 s[2:3], s[0:1]
	s_cbranch_execnz .LBB15_181
	s_branch .LBB15_182
.LBB15_198:
	s_mov_b64 s[0:1], -1
                                        ; implicit-def: $vgpr3
	s_branch .LBB15_203
.LBB15_199:
	s_mov_b64 s[0:1], -1
                                        ; implicit-def: $vgpr3
.LBB15_200:
	s_and_b64 vcc, exec, s[0:1]
	s_cbranch_vccz .LBB15_202
; %bb.201:
	global_load_ubyte v3, v[1:2], off
	s_mov_b32 s0, 0x7f800000
	s_waitcnt vmcnt(0)
	v_lshlrev_b32_e32 v3, 24, v3
	v_and_b32_e32 v4, 0x7f000000, v3
	v_ffbh_u32_e32 v5, v4
	v_min_u32_e32 v5, 32, v5
	v_sub_u32_e64 v5, v5, 4 clamp
	v_lshlrev_b32_e32 v7, v5, v4
	v_lshlrev_b32_e32 v5, 23, v5
	v_lshrrev_b32_e32 v7, 4, v7
	v_add_u32_e32 v6, 0x1000000, v4
	v_sub_u32_e32 v5, v7, v5
	v_ashrrev_i32_e32 v6, 8, v6
	v_add_u32_e32 v5, 0x3c000000, v5
	v_and_or_b32 v5, v6, s0, v5
	v_cmp_ne_u32_e32 vcc, 0, v4
	v_cndmask_b32_e32 v4, 0, v5, vcc
	s_brev_b32 s0, 1
	v_and_or_b32 v3, v3, s0, v4
.LBB15_202:
	s_mov_b64 s[0:1], 0
.LBB15_203:
	s_andn2_b64 vcc, exec, s[0:1]
	s_cbranch_vccnz .LBB15_205
; %bb.204:
	global_load_ubyte v3, v[1:2], off
	s_movk_i32 s0, 0x7f00
	s_brev_b32 s1, 16
	s_waitcnt vmcnt(0)
	v_lshlrev_b16_e32 v4, 8, v3
	v_lshlrev_b32_e32 v3, 25, v3
	v_lshrrev_b32_e32 v5, 4, v3
	v_and_or_b32 v6, v4, s0, 0.5
	v_or_b32_e32 v5, 0x70000000, v5
	v_add_f32_e32 v6, -0.5, v6
	v_mul_f32_e32 v5, 0x7800000, v5
	v_cmp_gt_u32_e32 vcc, s1, v3
	v_bfe_i32 v4, v4, 0, 16
	v_cndmask_b32_e32 v3, v5, v6, vcc
	s_brev_b32 s0, 1
	v_and_or_b32 v3, v4, s0, v3
.LBB15_205:
	s_mov_b64 s[2:3], 0
	s_mov_b64 s[0:1], -1
.LBB15_206:
	s_andn2_b64 vcc, exec, s[2:3]
	s_cbranch_vccnz .LBB15_219
; %bb.207:
	s_cmp_gt_i32 s10, 14
	s_cbranch_scc0 .LBB15_210
; %bb.208:
	s_cmp_eq_u32 s10, 15
	s_cbranch_scc0 .LBB15_213
; %bb.209:
	global_load_ushort v3, v[1:2], off
	s_mov_b64 s[0:1], -1
	s_mov_b64 s[8:9], 0
	s_waitcnt vmcnt(0)
	v_lshlrev_b32_e32 v3, 16, v3
	s_branch .LBB15_214
.LBB15_210:
	s_mov_b64 s[2:3], -1
                                        ; implicit-def: $vgpr3
	s_branch .LBB15_215
.LBB15_211:
	s_or_saveexec_b64 s[2:3], s[2:3]
	v_mov_b32_e32 v3, 0x7f800001
	s_xor_b64 exec, exec, s[2:3]
	s_cbranch_execz .LBB15_192
.LBB15_212:
	v_cmp_ne_u16_e32 vcc, 0, v4
	s_andn2_b64 s[0:1], s[0:1], exec
	s_and_b64 s[6:7], vcc, exec
	v_mov_b32_e32 v3, 0
	s_or_b64 s[0:1], s[0:1], s[6:7]
	s_or_b64 exec, exec, s[2:3]
	s_and_saveexec_b64 s[2:3], s[0:1]
	s_cbranch_execnz .LBB15_193
	s_branch .LBB15_194
.LBB15_213:
	s_mov_b64 s[8:9], -1
                                        ; implicit-def: $vgpr3
.LBB15_214:
	s_mov_b64 s[2:3], 0
.LBB15_215:
	s_and_b64 vcc, exec, s[2:3]
	s_cbranch_vccz .LBB15_219
; %bb.216:
	s_cmp_eq_u32 s10, 11
	s_cbranch_scc0 .LBB15_218
; %bb.217:
	global_load_ubyte v3, v[1:2], off
	s_mov_b64 s[0:1], -1
	s_mov_b64 s[8:9], 0
	s_waitcnt vmcnt(0)
	v_cmp_ne_u16_e32 vcc, 0, v3
	v_cndmask_b32_e64 v3, 0, 1.0, vcc
	s_branch .LBB15_219
.LBB15_218:
	s_mov_b64 s[8:9], -1
                                        ; implicit-def: $vgpr3
.LBB15_219:
	s_branch .LBB15_24
.LBB15_220:
	s_cmp_lt_i32 s10, 5
	s_cbranch_scc1 .LBB15_225
; %bb.221:
	s_cmp_lt_i32 s10, 8
	s_cbranch_scc1 .LBB15_226
; %bb.222:
	;; [unrolled: 3-line block ×3, first 2 shown]
	s_cmp_gt_i32 s10, 9
	s_cbranch_scc0 .LBB15_228
; %bb.224:
	global_load_dwordx2 v[3:4], v[1:2], off
	s_mov_b64 s[0:1], 0
	s_waitcnt vmcnt(0)
	v_cvt_f32_f64_e32 v3, v[3:4]
	s_branch .LBB15_229
.LBB15_225:
                                        ; implicit-def: $vgpr3
	s_branch .LBB15_247
.LBB15_226:
	s_mov_b64 s[0:1], -1
                                        ; implicit-def: $vgpr3
	s_branch .LBB15_235
.LBB15_227:
	s_mov_b64 s[0:1], -1
                                        ; implicit-def: $vgpr3
	s_branch .LBB15_232
.LBB15_228:
	s_mov_b64 s[0:1], -1
                                        ; implicit-def: $vgpr3
.LBB15_229:
	s_andn2_b64 vcc, exec, s[0:1]
	s_cbranch_vccnz .LBB15_231
; %bb.230:
	global_load_dword v3, v[1:2], off
.LBB15_231:
	s_mov_b64 s[0:1], 0
.LBB15_232:
	s_andn2_b64 vcc, exec, s[0:1]
	s_cbranch_vccnz .LBB15_234
; %bb.233:
	global_load_dword v3, v[1:2], off
	s_waitcnt vmcnt(0)
	v_cvt_f32_f16_e32 v3, v3
.LBB15_234:
	s_mov_b64 s[0:1], 0
.LBB15_235:
	s_andn2_b64 vcc, exec, s[0:1]
	s_cbranch_vccnz .LBB15_246
; %bb.236:
	s_cmp_lt_i32 s10, 6
	s_cbranch_scc1 .LBB15_239
; %bb.237:
	s_cmp_gt_i32 s10, 6
	s_cbranch_scc0 .LBB15_240
; %bb.238:
	global_load_dwordx2 v[3:4], v[1:2], off
	s_mov_b64 s[0:1], 0
	s_waitcnt vmcnt(0)
	v_cvt_f32_f64_e32 v3, v[3:4]
	s_branch .LBB15_241
.LBB15_239:
	s_mov_b64 s[0:1], -1
                                        ; implicit-def: $vgpr3
	s_branch .LBB15_244
.LBB15_240:
	s_mov_b64 s[0:1], -1
                                        ; implicit-def: $vgpr3
.LBB15_241:
	s_andn2_b64 vcc, exec, s[0:1]
	s_cbranch_vccnz .LBB15_243
; %bb.242:
	global_load_dword v3, v[1:2], off
.LBB15_243:
	s_mov_b64 s[0:1], 0
.LBB15_244:
	s_andn2_b64 vcc, exec, s[0:1]
	s_cbranch_vccnz .LBB15_246
; %bb.245:
	global_load_ushort v3, v[1:2], off
	s_waitcnt vmcnt(0)
	v_cvt_f32_f16_e32 v3, v3
.LBB15_246:
	s_cbranch_execnz .LBB15_266
.LBB15_247:
	s_cmp_lt_i32 s10, 2
	s_cbranch_scc1 .LBB15_251
; %bb.248:
	s_cmp_lt_i32 s10, 3
	s_cbranch_scc1 .LBB15_252
; %bb.249:
	s_cmp_gt_i32 s10, 3
	s_cbranch_scc0 .LBB15_253
; %bb.250:
	global_load_dwordx2 v[3:4], v[1:2], off
	s_mov_b64 s[0:1], 0
	s_waitcnt vmcnt(0)
	v_xor_b32_e32 v6, v3, v4
	v_ffbh_i32_e32 v5, v4
	v_ashrrev_i32_e32 v6, 31, v6
	v_add_u32_e32 v5, -1, v5
	v_add_u32_e32 v6, 32, v6
	v_min_u32_e32 v5, v5, v6
	v_lshlrev_b64 v[3:4], v5, v[3:4]
	v_min_u32_e32 v3, 1, v3
	v_or_b32_e32 v3, v4, v3
	v_cvt_f32_i32_e32 v3, v3
	v_sub_u32_e32 v4, 32, v5
	v_ldexp_f32 v3, v3, v4
	s_branch .LBB15_254
.LBB15_251:
	s_mov_b64 s[0:1], -1
                                        ; implicit-def: $vgpr3
	s_branch .LBB15_260
.LBB15_252:
	s_mov_b64 s[0:1], -1
                                        ; implicit-def: $vgpr3
	s_branch .LBB15_257
.LBB15_253:
	s_mov_b64 s[0:1], -1
                                        ; implicit-def: $vgpr3
.LBB15_254:
	s_andn2_b64 vcc, exec, s[0:1]
	s_cbranch_vccnz .LBB15_256
; %bb.255:
	global_load_dword v3, v[1:2], off
	s_waitcnt vmcnt(0)
	v_cvt_f32_i32_e32 v3, v3
.LBB15_256:
	s_mov_b64 s[0:1], 0
.LBB15_257:
	s_andn2_b64 vcc, exec, s[0:1]
	s_cbranch_vccnz .LBB15_259
; %bb.258:
	global_load_sshort v3, v[1:2], off
	s_waitcnt vmcnt(0)
	v_cvt_f32_i32_e32 v3, v3
.LBB15_259:
	s_mov_b64 s[0:1], 0
.LBB15_260:
	s_andn2_b64 vcc, exec, s[0:1]
	s_cbranch_vccnz .LBB15_266
; %bb.261:
	s_cmp_gt_i32 s10, 0
	s_cbranch_scc0 .LBB15_263
; %bb.262:
	global_load_sbyte v3, v[1:2], off
	s_mov_b64 s[0:1], 0
	s_waitcnt vmcnt(0)
	v_cvt_f32_i32_e32 v3, v3
	s_branch .LBB15_264
.LBB15_263:
	s_mov_b64 s[0:1], -1
                                        ; implicit-def: $vgpr3
.LBB15_264:
	s_andn2_b64 vcc, exec, s[0:1]
	s_cbranch_vccnz .LBB15_266
; %bb.265:
	global_load_ubyte v1, v[1:2], off
	s_waitcnt vmcnt(0)
	v_cvt_f32_ubyte0_e32 v3, v1
.LBB15_266:
	s_branch .LBB15_25
.LBB15_267:
	s_mov_b64 s[0:1], 0
.LBB15_268:
	s_mov_b64 s[2:3], 0
                                        ; implicit-def: $vgpr8
.LBB15_269:
	s_and_b64 s[54:55], s[0:1], exec
	s_and_b64 s[56:57], s[8:9], exec
	s_orn2_b64 s[2:3], s[2:3], exec
.LBB15_270:
	s_or_b64 exec, exec, s[58:59]
	s_mov_b64 s[6:7], 0
	s_mov_b64 s[0:1], 0
                                        ; implicit-def: $vgpr1_vgpr2
                                        ; implicit-def: $vgpr0
                                        ; implicit-def: $vgpr4
	s_and_saveexec_b64 s[58:59], s[2:3]
	s_cbranch_execz .LBB15_277
; %bb.271:
	v_cmp_gt_i32_e32 vcc, s70, v8
	s_mov_b64 s[0:1], -1
	s_mov_b64 s[60:61], s[56:57]
	s_mov_b64 s[62:63], s[54:55]
	s_and_saveexec_b64 s[64:65], vcc
	s_cbranch_execz .LBB15_550
; %bb.272:
	s_andn2_b64 vcc, exec, s[42:43]
	s_cbranch_vccnz .LBB15_280
; %bb.273:
	s_andn2_b64 vcc, exec, s[52:53]
	s_cbranch_vccnz .LBB15_281
; %bb.274:
	s_add_i32 s63, s75, 1
	s_cmp_eq_u32 s72, 2
	s_cbranch_scc1 .LBB15_282
; %bb.275:
	s_and_b32 s62, s63, 28
	v_mov_b32_e32 v2, 0
	s_mov_b32 s66, 0
	s_mov_b64 s[6:7], s[34:35]
	s_mov_b64 s[60:61], s[50:51]
	v_mov_b32_e32 v0, 0
	v_mov_b32_e32 v1, v8
.LBB15_276:                             ; =>This Inner Loop Header: Depth=1
	s_load_dwordx8 s[16:23], s[6:7], 0x4
	s_load_dwordx4 s[0:3], s[6:7], 0x24
	s_load_dwordx8 s[8:15], s[60:61], 0x0
	s_add_u32 s6, s6, 48
	s_addc_u32 s7, s7, 0
	s_waitcnt vmcnt(0) lgkmcnt(0)
	v_mul_hi_u32 v3, s17, v1
	s_add_i32 s66, s66, 4
	s_add_u32 s60, s60, 32
	s_addc_u32 s61, s61, 0
	v_add_u32_e32 v3, v1, v3
	v_lshrrev_b32_e32 v3, s18, v3
	v_mul_lo_u32 v4, v3, s16
	v_mul_hi_u32 v5, s20, v3
	s_cmp_eq_u32 s62, s66
	v_sub_u32_e32 v1, v1, v4
	v_add_u32_e32 v4, v3, v5
	v_mul_lo_u32 v5, v1, s8
	v_mul_lo_u32 v6, v1, s9
	v_lshrrev_b32_e32 v1, s21, v4
	v_mul_lo_u32 v4, v1, s19
	v_mul_hi_u32 v7, s23, v1
	v_sub_u32_e32 v3, v3, v4
	v_add_u32_e32 v4, v1, v7
	v_lshrrev_b32_e32 v4, s0, v4
	v_mul_hi_u32 v9, s2, v4
	v_mul_lo_u32 v10, v4, s22
	v_mul_lo_u32 v7, v3, s10
	;; [unrolled: 1-line block ×3, first 2 shown]
	v_sub_u32_e32 v10, v1, v10
	v_add_u32_e32 v1, v4, v9
	v_lshrrev_b32_e32 v1, s3, v1
	v_mul_lo_u32 v9, v1, s1
	v_mul_lo_u32 v11, v10, s12
	;; [unrolled: 1-line block ×3, first 2 shown]
	v_add3_u32 v0, v5, v0, v7
	v_sub_u32_e32 v4, v4, v9
	v_mul_lo_u32 v9, v4, s14
	v_mul_lo_u32 v4, v4, s15
	v_add3_u32 v2, v6, v2, v3
	v_add3_u32 v0, v11, v0, v9
	;; [unrolled: 1-line block ×3, first 2 shown]
	s_cbranch_scc0 .LBB15_276
	s_branch .LBB15_283
.LBB15_277:
	s_or_b64 exec, exec, s[58:59]
	s_mov_b64 s[8:9], 0
	s_and_saveexec_b64 s[2:3], s[56:57]
	s_cbranch_execnz .LBB15_930
.LBB15_278:
	s_or_b64 exec, exec, s[2:3]
	s_and_saveexec_b64 s[2:3], s[62:63]
	s_xor_b64 s[2:3], exec, s[2:3]
	s_cbranch_execz .LBB15_931
.LBB15_279:
	global_load_ubyte v3, v[1:2], off
	s_or_b64 s[0:1], s[0:1], exec
	s_waitcnt vmcnt(0)
	v_cmp_ne_u16_e32 vcc, 0, v3
	v_cndmask_b32_e64 v4, 0, 1.0, vcc
	s_or_b64 exec, exec, s[2:3]
	s_and_saveexec_b64 s[2:3], s[6:7]
	s_cbranch_execz .LBB15_977
	s_branch .LBB15_932
.LBB15_280:
                                        ; implicit-def: $vgpr0
                                        ; implicit-def: $vgpr2
	s_andn2_b64 vcc, exec, s[0:1]
	s_cbranch_vccz .LBB15_287
	s_branch .LBB15_289
.LBB15_281:
	v_mov_b32_e32 v0, 0
	v_mov_b32_e32 v2, 0
	s_branch .LBB15_286
.LBB15_282:
	s_mov_b32 s62, 0
	v_mov_b32_e32 v0, 0
	v_mov_b32_e32 v2, 0
	;; [unrolled: 1-line block ×3, first 2 shown]
.LBB15_283:
	s_and_b32 s6, s63, 3
	s_cmp_eq_u32 s6, 0
	s_cbranch_scc1 .LBB15_286
; %bb.284:
	s_lshl_b32 s0, s62, 3
	s_add_u32 s0, s34, s0
	s_addc_u32 s1, s35, 0
	s_add_u32 s0, s0, 0xc4
	s_addc_u32 s1, s1, 0
	s_mul_i32 s2, s62, 12
	s_add_u32 s2, s34, s2
	s_addc_u32 s3, s35, 0
.LBB15_285:                             ; =>This Inner Loop Header: Depth=1
	s_load_dwordx2 s[8:9], s[2:3], 0x4
	s_load_dword s7, s[2:3], 0xc
	s_load_dwordx2 s[10:11], s[0:1], 0x0
	s_add_u32 s2, s2, 12
	s_addc_u32 s3, s3, 0
	s_waitcnt vmcnt(0) lgkmcnt(0)
	v_mul_hi_u32 v3, s9, v1
	s_add_u32 s0, s0, 8
	s_addc_u32 s1, s1, 0
	s_add_i32 s6, s6, -1
	v_add_u32_e32 v3, v1, v3
	v_lshrrev_b32_e32 v4, s7, v3
	v_mul_lo_u32 v3, v4, s8
	s_cmp_lg_u32 s6, 0
	v_sub_u32_e32 v3, v1, v3
	v_mad_u64_u32 v[0:1], s[8:9], v3, s10, v[0:1]
	v_mad_u64_u32 v[2:3], s[8:9], v3, s11, v[2:3]
	v_mov_b32_e32 v1, v4
	s_cbranch_scc1 .LBB15_285
.LBB15_286:
	s_cbranch_execnz .LBB15_289
.LBB15_287:
	s_waitcnt lgkmcnt(0)
	v_mul_hi_u32 v0, s37, v8
	s_andn2_b64 vcc, exec, s[48:49]
	v_add_u32_e32 v0, v8, v0
	v_lshrrev_b32_e32 v1, s38, v0
	v_mul_lo_u32 v0, v1, s36
	v_sub_u32_e32 v2, v8, v0
	v_mul_lo_u32 v0, v2, s28
	v_mul_lo_u32 v2, v2, s29
	s_cbranch_vccnz .LBB15_289
; %bb.288:
	s_waitcnt vmcnt(0)
	v_mul_hi_u32 v3, s46, v1
	v_add_u32_e32 v3, v1, v3
	v_lshrrev_b32_e32 v3, s47, v3
	v_mul_lo_u32 v3, v3, s39
	v_sub_u32_e32 v3, v1, v3
	v_mad_u64_u32 v[0:1], s[0:1], v3, s30, v[0:1]
	v_mad_u64_u32 v[2:3], s[0:1], v3, s31, v[2:3]
.LBB15_289:
	s_waitcnt vmcnt(0) lgkmcnt(0)
	v_mov_b32_e32 v3, s27
	s_and_b32 s10, 0xffff, s74
	v_add_co_u32_e32 v1, vcc, s26, v2
	s_cmp_lt_i32 s10, 11
	v_addc_co_u32_e32 v2, vcc, 0, v3, vcc
	s_cbranch_scc1 .LBB15_296
; %bb.290:
	s_cmp_gt_i32 s10, 25
	s_cbranch_scc0 .LBB15_309
; %bb.291:
	s_cmp_gt_i32 s10, 28
	s_cbranch_scc0 .LBB15_311
	;; [unrolled: 3-line block ×4, first 2 shown]
; %bb.294:
	s_cmp_eq_u32 s10, 46
	s_mov_b64 s[2:3], 0
	s_cbranch_scc0 .LBB15_321
; %bb.295:
	global_load_dword v3, v[1:2], off
	s_mov_b64 s[0:1], -1
	s_mov_b64 s[8:9], 0
	s_waitcnt vmcnt(0)
	v_lshlrev_b32_e32 v3, 16, v3
	s_branch .LBB15_322
.LBB15_296:
	s_mov_b64 s[0:1], 0
                                        ; implicit-def: $vgpr3
	s_mov_b64 s[8:9], s[56:57]
	s_cbranch_execnz .LBB15_499
.LBB15_297:
	s_andn2_b64 vcc, exec, s[0:1]
	s_cbranch_vccnz .LBB15_547
.LBB15_298:
	s_brev_b32 s0, 18
	s_waitcnt vmcnt(0)
	v_and_b32_e32 v1, 0x7fffffff, v3
	v_cmp_nlt_f32_e64 s[0:1], |v3|, s0
                                        ; implicit-def: $vgpr2
                                        ; implicit-def: $vgpr4
	s_and_saveexec_b64 s[2:3], s[0:1]
	s_xor_b64 s[10:11], exec, s[2:3]
	s_cbranch_execz .LBB15_300
; %bb.299:
	v_and_b32_e32 v2, 0x7fffff, v1
	v_or_b32_e32 v2, 0x800000, v2
	s_mov_b32 s0, 0xfe5163ab
	v_mad_u64_u32 v[4:5], s[0:1], v2, s0, 0
	v_mov_b32_e32 v6, 0
	s_mov_b32 s0, 0x3c439041
	v_mad_u64_u32 v[9:10], s[0:1], v2, s0, v[5:6]
	s_mov_b32 s0, 0xdb629599
	v_not_b32_e32 v7, 63
	v_mov_b32_e32 v5, v10
	v_mad_u64_u32 v[10:11], s[0:1], v2, s0, v[5:6]
	s_mov_b32 s0, 0xf534ddc0
	v_not_b32_e32 v15, 31
	v_mov_b32_e32 v5, v11
	v_mad_u64_u32 v[11:12], s[0:1], v2, s0, v[5:6]
	v_lshrrev_b32_e32 v5, 23, v1
	v_add_u32_e32 v14, 0xffffff88, v5
	v_mov_b32_e32 v5, v12
	s_mov_b32 s0, 0xfc2757d1
	v_mad_u64_u32 v[12:13], s[0:1], v2, s0, v[5:6]
	v_cmp_lt_u32_e32 vcc, 63, v14
	v_cndmask_b32_e32 v5, 0, v7, vcc
	v_add_u32_e32 v7, v5, v14
	v_mov_b32_e32 v5, v13
	s_mov_b32 s0, 0x4e441529
	v_mad_u64_u32 v[13:14], s[0:1], v2, s0, v[5:6]
	v_cmp_lt_u32_e64 s[0:1], 31, v7
	v_cndmask_b32_e64 v5, 0, v15, s[0:1]
	v_add_u32_e32 v7, v5, v7
	v_mov_b32_e32 v5, v14
	s_mov_b32 s2, 0xa2f9836e
	v_mad_u64_u32 v[5:6], s[2:3], v2, s2, v[5:6]
	v_cmp_lt_u32_e64 s[2:3], 31, v7
	v_cndmask_b32_e64 v2, 0, v15, s[2:3]
	v_add_u32_e32 v2, v2, v7
	v_cndmask_b32_e32 v7, v13, v11, vcc
	v_cndmask_b32_e32 v5, v5, v12, vcc
	;; [unrolled: 1-line block ×3, first 2 shown]
	v_cndmask_b32_e64 v14, v5, v7, s[0:1]
	v_cndmask_b32_e64 v5, v6, v5, s[0:1]
	v_cndmask_b32_e32 v6, v12, v10, vcc
	v_cndmask_b32_e64 v7, v7, v6, s[0:1]
	v_cndmask_b32_e64 v5, v5, v14, s[2:3]
	;; [unrolled: 1-line block ×3, first 2 shown]
	v_sub_u32_e32 v13, 32, v2
	v_alignbit_b32 v14, v5, v12, v13
	v_cmp_eq_u32_e64 s[6:7], 0, v2
	v_cndmask_b32_e64 v2, v14, v5, s[6:7]
	v_cndmask_b32_e32 v5, v11, v9, vcc
	v_cndmask_b32_e64 v6, v6, v5, s[0:1]
	v_cndmask_b32_e64 v7, v7, v6, s[2:3]
	v_alignbit_b32 v9, v12, v7, v13
	v_cndmask_b32_e32 v4, v10, v4, vcc
	v_cndmask_b32_e64 v9, v9, v12, s[6:7]
	v_bfe_u32 v14, v2, 29, 1
	v_cndmask_b32_e64 v4, v5, v4, s[0:1]
	v_alignbit_b32 v11, v2, v9, 30
	v_sub_u32_e32 v15, 0, v14
	v_cndmask_b32_e64 v4, v6, v4, s[2:3]
	v_xor_b32_e32 v11, v11, v15
	v_alignbit_b32 v5, v7, v4, v13
	v_cndmask_b32_e64 v5, v5, v7, s[6:7]
	v_ffbh_u32_e32 v7, v11
	v_alignbit_b32 v6, v9, v5, 30
	v_min_u32_e32 v7, 32, v7
	v_alignbit_b32 v4, v5, v4, 30
	v_xor_b32_e32 v6, v6, v15
	v_sub_u32_e32 v9, 31, v7
	v_xor_b32_e32 v4, v4, v15
	v_alignbit_b32 v10, v11, v6, v9
	v_alignbit_b32 v4, v6, v4, v9
	;; [unrolled: 1-line block ×3, first 2 shown]
	v_ffbh_u32_e32 v6, v5
	v_min_u32_e32 v6, 32, v6
	v_lshrrev_b32_e32 v12, 29, v2
	v_not_b32_e32 v9, v6
	v_alignbit_b32 v4, v5, v4, v9
	v_lshlrev_b32_e32 v5, 31, v12
	v_or_b32_e32 v9, 0x33000000, v5
	v_add_lshl_u32 v6, v6, v7, 23
	v_lshrrev_b32_e32 v4, 9, v4
	v_sub_u32_e32 v6, v9, v6
	v_or_b32_e32 v5, 0.5, v5
	v_lshlrev_b32_e32 v7, 23, v7
	v_or_b32_e32 v4, v6, v4
	v_lshrrev_b32_e32 v6, 9, v10
	v_sub_u32_e32 v5, v5, v7
	v_or_b32_e32 v5, v6, v5
	s_mov_b32 s0, 0x3fc90fda
	v_mul_f32_e32 v6, 0x3fc90fda, v5
	v_fma_f32 v7, v5, s0, -v6
	v_fmac_f32_e32 v7, 0x33a22168, v5
	v_fmac_f32_e32 v7, 0x3fc90fda, v4
	v_lshrrev_b32_e32 v2, 30, v2
	v_add_f32_e32 v4, v6, v7
	v_add_u32_e32 v2, v14, v2
.LBB15_300:
	s_andn2_saveexec_b64 s[0:1], s[10:11]
	s_cbranch_execz .LBB15_302
; %bb.301:
	s_mov_b32 s2, 0x3f22f983
	v_mul_f32_e64 v2, |v3|, s2
	v_rndne_f32_e32 v5, v2
	s_mov_b32 s2, 0xbfc90fda
	v_cvt_i32_f32_e32 v2, v5
	v_fma_f32 v4, v5, s2, |v3|
	v_fmac_f32_e32 v4, 0xb3a22168, v5
	v_fmac_f32_e32 v4, 0xa7c234c4, v5
.LBB15_302:
	s_or_b64 exec, exec, s[0:1]
	v_mul_f32_e32 v5, v4, v4
	v_mov_b32_e32 v6, 0x3c0881c4
	v_fmac_f32_e32 v6, 0xb94c1982, v5
	v_mov_b32_e32 v7, 0xbe2aaa9d
	v_fmac_f32_e32 v7, v5, v6
	v_mul_f32_e32 v6, v5, v7
	v_fmac_f32_e32 v4, v4, v6
	v_mov_b32_e32 v6, 0xbab64f3b
	v_fmac_f32_e32 v6, 0x37d75334, v5
	v_mov_b32_e32 v7, 0x3d2aabf7
	;; [unrolled: 2-line block ×3, first 2 shown]
	v_fmac_f32_e32 v6, v5, v7
	v_fma_f32 v5, v5, v6, 1.0
	v_and_b32_e32 v6, 1, v2
	v_lshlrev_b32_e32 v2, 30, v2
	v_cmp_eq_u32_e32 vcc, 0, v6
	v_and_b32_e32 v2, 0x80000000, v2
	v_xor_b32_e32 v1, v1, v3
	v_cndmask_b32_e32 v4, v5, v4, vcc
	v_xor_b32_e32 v1, v1, v2
	s_movk_i32 s0, 0x1f8
	v_xor_b32_e32 v1, v1, v4
	v_mov_b32_e32 v2, 0x7fc00000
	v_cmp_class_f32_e64 vcc, v3, s0
	v_cndmask_b32_e32 v2, v2, v1, vcc
	v_mov_b32_e32 v1, s25
	s_and_b32 s12, s73, 0xff
	v_add_co_u32_e32 v0, vcc, s24, v0
	s_cmp_lt_i32 s12, 11
	v_addc_co_u32_e32 v1, vcc, 0, v1, vcc
	s_cbranch_scc1 .LBB15_310
; %bb.303:
	s_and_b32 s13, 0xffff, s12
	s_cmp_gt_i32 s13, 25
	s_cbranch_scc0 .LBB15_312
; %bb.304:
	s_cmp_gt_i32 s13, 28
	s_cbranch_scc0 .LBB15_314
; %bb.305:
	;; [unrolled: 3-line block ×4, first 2 shown]
	s_mov_b64 s[6:7], 0
	s_mov_b64 s[0:1], -1
	s_cmp_eq_u32 s13, 46
	s_mov_b64 s[2:3], 0
	s_cbranch_scc0 .LBB15_326
; %bb.308:
	v_bfe_u32 v3, v2, 16, 1
	s_movk_i32 s0, 0x7fff
	v_add3_u32 v3, v2, v3, s0
	v_cmp_o_f32_e32 vcc, v2, v2
	v_mov_b32_e32 v4, 0x7fc0
	v_cndmask_b32_sdwa v3, v4, v3, vcc dst_sel:DWORD dst_unused:UNUSED_PAD src0_sel:DWORD src1_sel:WORD_1
	global_store_dword v[0:1], v3, off
	s_mov_b64 s[2:3], -1
	s_mov_b64 s[0:1], 0
	s_branch .LBB15_326
.LBB15_309:
	s_mov_b64 s[2:3], -1
	s_mov_b64 s[0:1], 0
	s_mov_b64 s[8:9], s[56:57]
                                        ; implicit-def: $vgpr3
	s_branch .LBB15_463
.LBB15_310:
	s_mov_b64 s[6:7], -1
	s_mov_b64 s[2:3], 0
	s_mov_b64 s[0:1], s[54:55]
	s_branch .LBB15_395
.LBB15_311:
	s_mov_b64 s[2:3], -1
	s_mov_b64 s[0:1], 0
	s_mov_b64 s[8:9], s[56:57]
                                        ; implicit-def: $vgpr3
	s_branch .LBB15_444
.LBB15_312:
	s_mov_b64 s[6:7], -1
	s_mov_b64 s[2:3], 0
	s_mov_b64 s[0:1], s[54:55]
	s_branch .LBB15_353
.LBB15_313:
	s_mov_b64 s[2:3], -1
	s_mov_b64 s[0:1], 0
	s_mov_b64 s[8:9], s[56:57]
                                        ; implicit-def: $vgpr3
	s_branch .LBB15_439
.LBB15_314:
	s_mov_b64 s[6:7], -1
	s_mov_b64 s[2:3], 0
	s_mov_b64 s[0:1], s[54:55]
	s_branch .LBB15_336
.LBB15_315:
	s_andn2_saveexec_b64 s[10:11], s[10:11]
	s_cbranch_execz .LBB15_72
.LBB15_316:
	s_mov_b32 s14, 0x46000000
	v_add_f32_e64 v3, |v2|, s14
	v_and_b32_e32 v3, 0xff, v3
	v_cmp_ne_u32_e32 vcc, 0, v3
	s_andn2_b64 s[6:7], s[6:7], exec
	s_and_b64 s[14:15], vcc, exec
	s_or_b64 s[6:7], s[6:7], s[14:15]
	s_or_b64 exec, exec, s[10:11]
	v_mov_b32_e32 v4, 0
	s_and_saveexec_b64 s[10:11], s[6:7]
	s_cbranch_execnz .LBB15_73
	s_branch .LBB15_74
.LBB15_317:
	s_mov_b64 s[2:3], -1
	s_mov_b64 s[0:1], 0
	s_mov_b64 s[8:9], s[56:57]
                                        ; implicit-def: $vgpr3
	s_branch .LBB15_322
.LBB15_318:
	s_mov_b64 s[6:7], -1
	s_mov_b64 s[2:3], 0
	s_mov_b64 s[0:1], s[54:55]
	s_branch .LBB15_332
.LBB15_319:
	s_andn2_saveexec_b64 s[10:11], s[10:11]
	s_cbranch_execz .LBB15_85
.LBB15_320:
	s_mov_b32 s14, 0x42800000
	v_add_f32_e64 v3, |v2|, s14
	v_and_b32_e32 v3, 0xff, v3
	v_cmp_ne_u32_e32 vcc, 0, v3
	s_andn2_b64 s[6:7], s[6:7], exec
	s_and_b64 s[14:15], vcc, exec
	s_or_b64 s[6:7], s[6:7], s[14:15]
	s_or_b64 exec, exec, s[10:11]
	v_mov_b32_e32 v4, 0
	s_and_saveexec_b64 s[10:11], s[6:7]
	s_cbranch_execnz .LBB15_86
	s_branch .LBB15_87
.LBB15_321:
	s_mov_b64 s[8:9], -1
                                        ; implicit-def: $vgpr3
	s_mov_b64 s[0:1], 0
.LBB15_322:
	s_and_b64 vcc, exec, s[2:3]
	s_cbranch_vccz .LBB15_438
; %bb.323:
	s_cmp_eq_u32 s10, 44
	s_cbranch_scc0 .LBB15_437
; %bb.324:
	global_load_ubyte v3, v[1:2], off
	s_movk_i32 s2, 0xff
	v_mov_b32_e32 v4, 0x7f800001
	v_mov_b32_e32 v5, 0x400000
	s_mov_b64 s[0:1], -1
	s_mov_b64 s[8:9], 0
	s_waitcnt vmcnt(0)
	v_lshlrev_b32_e32 v6, 23, v3
	v_cmp_ne_u32_e32 vcc, s2, v3
	v_cndmask_b32_e32 v4, v4, v6, vcc
	v_cmp_ne_u32_e32 vcc, 0, v3
	v_cndmask_b32_e32 v3, v5, v4, vcc
	s_branch .LBB15_438
.LBB15_325:
	s_mov_b64 s[6:7], -1
	s_mov_b64 s[2:3], 0
	s_mov_b64 s[0:1], s[54:55]
.LBB15_326:
	s_and_b64 vcc, exec, s[6:7]
	s_cbranch_vccz .LBB15_331
; %bb.327:
	s_cmp_eq_u32 s13, 44
	s_mov_b64 s[0:1], -1
	s_cbranch_scc0 .LBB15_331
; %bb.328:
	v_bfe_u32 v3, v2, 23, 8
	s_movk_i32 s0, 0xff
	v_cmp_ne_u32_e32 vcc, s0, v3
	v_mov_b32_e32 v4, 0xff
	s_and_saveexec_b64 s[2:3], vcc
; %bb.329:
	s_mov_b32 s0, 0x3fffff
	v_and_b32_e32 v5, 0x400000, v2
	v_and_or_b32 v3, v2, s0, v3
	v_cmp_ne_u32_e32 vcc, 0, v5
	v_cmp_ne_u32_e64 s[0:1], 0, v3
	s_and_b64 s[0:1], vcc, s[0:1]
	v_lshrrev_b32_e32 v4, 23, v2
	v_cndmask_b32_e64 v3, 0, 1, s[0:1]
	v_add_u32_e32 v4, v4, v3
; %bb.330:
	s_or_b64 exec, exec, s[2:3]
	s_mov_b64 s[2:3], -1
	s_mov_b64 s[0:1], 0
	global_store_byte v[0:1], v4, off
.LBB15_331:
	s_mov_b64 s[6:7], 0
.LBB15_332:
	s_and_b64 vcc, exec, s[6:7]
	s_cbranch_vccz .LBB15_335
; %bb.333:
	s_cmp_eq_u32 s13, 29
	s_mov_b64 s[0:1], -1
	s_cbranch_scc0 .LBB15_335
; %bb.334:
	v_trunc_f32_e32 v3, v2
	v_mul_f32_e32 v4, 0x2f800000, v3
	v_floor_f32_e32 v5, v4
	v_fmac_f32_e32 v3, 0xcf800000, v5
	v_cvt_u32_f32_e32 v4, v5
	v_cvt_u32_f32_e32 v3, v3
	s_mov_b64 s[2:3], -1
	s_mov_b64 s[0:1], 0
	s_mov_b64 s[6:7], 0
	global_store_dwordx2 v[0:1], v[3:4], off
	s_branch .LBB15_336
.LBB15_335:
	s_mov_b64 s[6:7], 0
.LBB15_336:
	s_and_b64 vcc, exec, s[6:7]
	s_cbranch_vccz .LBB15_352
; %bb.337:
	s_cmp_lt_i32 s13, 27
	s_mov_b64 s[2:3], -1
	s_cbranch_scc1 .LBB15_343
; %bb.338:
	v_cvt_u32_f32_e32 v3, v2
	s_cmp_gt_i32 s13, 27
	s_cbranch_scc0 .LBB15_340
; %bb.339:
	s_mov_b64 s[2:3], 0
	global_store_dword v[0:1], v3, off
.LBB15_340:
	s_andn2_b64 vcc, exec, s[2:3]
	s_cbranch_vccnz .LBB15_342
; %bb.341:
	global_store_short v[0:1], v3, off
.LBB15_342:
	s_mov_b64 s[2:3], 0
.LBB15_343:
	s_andn2_b64 vcc, exec, s[2:3]
	s_cbranch_vccnz .LBB15_351
; %bb.344:
	v_and_b32_e32 v3, 0x7fffffff, v2
	s_mov_b32 s2, 0x43800000
	v_cmp_gt_u32_e32 vcc, s2, v3
	v_mov_b32_e32 v4, 0x80
	s_and_saveexec_b64 s[2:3], vcc
	s_cbranch_execz .LBB15_350
; %bb.345:
	s_mov_b32 s6, 0x3bffffff
	v_cmp_lt_u32_e32 vcc, s6, v3
	s_mov_b64 s[6:7], 0
                                        ; implicit-def: $vgpr3
	s_and_saveexec_b64 s[10:11], vcc
	s_xor_b64 s[10:11], exec, s[10:11]
	s_cbranch_execz .LBB15_578
; %bb.346:
	v_bfe_u32 v3, v2, 20, 1
	s_mov_b32 s14, 0x487ffff
	v_add3_u32 v3, v2, v3, s14
	s_mov_b64 s[6:7], exec
	v_lshrrev_b32_e32 v3, 20, v3
	s_andn2_saveexec_b64 s[10:11], s[10:11]
	s_cbranch_execnz .LBB15_579
.LBB15_347:
	s_or_b64 exec, exec, s[10:11]
	v_mov_b32_e32 v4, 0
	s_and_saveexec_b64 s[10:11], s[6:7]
.LBB15_348:
	v_lshrrev_b32_e32 v4, 24, v2
	s_movk_i32 s6, 0x80
	v_and_or_b32 v4, v4, s6, v3
.LBB15_349:
	s_or_b64 exec, exec, s[10:11]
.LBB15_350:
	s_or_b64 exec, exec, s[2:3]
	global_store_byte v[0:1], v4, off
.LBB15_351:
	s_mov_b64 s[2:3], -1
.LBB15_352:
	s_mov_b64 s[6:7], 0
.LBB15_353:
	s_and_b64 vcc, exec, s[6:7]
	s_cbranch_vccz .LBB15_394
; %bb.354:
	s_cmp_gt_i32 s13, 22
	s_mov_b64 s[6:7], -1
	s_cbranch_scc0 .LBB15_386
; %bb.355:
	s_cmp_lt_i32 s13, 24
	s_mov_b64 s[2:3], -1
	s_cbranch_scc1 .LBB15_375
; %bb.356:
	s_cmp_gt_i32 s13, 24
	s_cbranch_scc0 .LBB15_364
; %bb.357:
	v_and_b32_e32 v3, 0x7fffffff, v2
	s_mov_b32 s2, 0x47800000
	v_cmp_gt_u32_e32 vcc, s2, v3
	v_mov_b32_e32 v4, 0x80
	s_and_saveexec_b64 s[2:3], vcc
	s_cbranch_execz .LBB15_363
; %bb.358:
	s_mov_b32 s6, 0x37ffffff
	v_cmp_lt_u32_e32 vcc, s6, v3
	s_mov_b64 s[6:7], 0
                                        ; implicit-def: $vgpr3
	s_and_saveexec_b64 s[10:11], vcc
	s_xor_b64 s[10:11], exec, s[10:11]
	s_cbranch_execz .LBB15_581
; %bb.359:
	v_bfe_u32 v3, v2, 21, 1
	s_mov_b32 s14, 0x88fffff
	v_add3_u32 v3, v2, v3, s14
	s_mov_b64 s[6:7], exec
	v_lshrrev_b32_e32 v3, 21, v3
	s_andn2_saveexec_b64 s[10:11], s[10:11]
	s_cbranch_execnz .LBB15_582
.LBB15_360:
	s_or_b64 exec, exec, s[10:11]
	v_mov_b32_e32 v4, 0
	s_and_saveexec_b64 s[10:11], s[6:7]
.LBB15_361:
	v_lshrrev_b32_e32 v4, 24, v2
	s_movk_i32 s6, 0x80
	v_and_or_b32 v4, v4, s6, v3
.LBB15_362:
	s_or_b64 exec, exec, s[10:11]
.LBB15_363:
	s_or_b64 exec, exec, s[2:3]
	s_mov_b64 s[2:3], 0
	global_store_byte v[0:1], v4, off
.LBB15_364:
	s_and_b64 vcc, exec, s[2:3]
	s_cbranch_vccz .LBB15_374
; %bb.365:
	v_and_b32_e32 v4, 0x7fffffff, v2
	s_mov_b32 s2, 0x43f00000
	v_cmp_gt_u32_e32 vcc, s2, v4
                                        ; implicit-def: $vgpr3
	s_and_saveexec_b64 s[2:3], vcc
	s_xor_b64 s[2:3], exec, s[2:3]
	s_cbranch_execz .LBB15_371
; %bb.366:
	s_mov_b32 s6, 0x3c7fffff
	v_cmp_lt_u32_e32 vcc, s6, v4
                                        ; implicit-def: $vgpr3
	s_and_saveexec_b64 s[6:7], vcc
	s_xor_b64 s[6:7], exec, s[6:7]
; %bb.367:
	v_bfe_u32 v3, v2, 20, 1
	s_mov_b32 s10, 0x407ffff
	v_add3_u32 v3, v2, v3, s10
	v_lshrrev_b32_e32 v4, 20, v3
	v_and_b32_e32 v3, 0xff00000, v3
	s_mov_b32 s10, 0x7f00000
	v_mov_b32_e32 v5, 0x7e
	v_cmp_ne_u32_e32 vcc, s10, v3
	v_cndmask_b32_e32 v3, v5, v4, vcc
; %bb.368:
	s_andn2_saveexec_b64 s[6:7], s[6:7]
; %bb.369:
	s_mov_b32 s10, 0x46800000
	v_add_f32_e64 v3, |v2|, s10
; %bb.370:
	s_or_b64 exec, exec, s[6:7]
                                        ; implicit-def: $vgpr4
.LBB15_371:
	s_andn2_saveexec_b64 s[2:3], s[2:3]
; %bb.372:
	s_mov_b32 s6, 0x7f800000
	v_mov_b32_e32 v3, 0x7e
	v_mov_b32_e32 v5, 0x7f
	v_cmp_lt_u32_e32 vcc, s6, v4
	v_cndmask_b32_e32 v3, v3, v5, vcc
; %bb.373:
	s_or_b64 exec, exec, s[2:3]
	v_lshrrev_b32_e32 v4, 24, v2
	s_movk_i32 s2, 0x80
	v_and_or_b32 v3, v4, s2, v3
	global_store_byte v[0:1], v3, off
.LBB15_374:
	s_mov_b64 s[2:3], 0
.LBB15_375:
	s_andn2_b64 vcc, exec, s[2:3]
	s_cbranch_vccnz .LBB15_385
; %bb.376:
	v_and_b32_e32 v4, 0x7fffffff, v2
	s_mov_b32 s2, 0x47800000
	v_cmp_gt_u32_e32 vcc, s2, v4
                                        ; implicit-def: $vgpr3
	s_and_saveexec_b64 s[2:3], vcc
	s_xor_b64 s[2:3], exec, s[2:3]
	s_cbranch_execz .LBB15_382
; %bb.377:
	s_mov_b32 s6, 0x387fffff
	v_cmp_lt_u32_e32 vcc, s6, v4
                                        ; implicit-def: $vgpr3
	s_and_saveexec_b64 s[6:7], vcc
	s_xor_b64 s[6:7], exec, s[6:7]
; %bb.378:
	v_bfe_u32 v3, v2, 21, 1
	s_mov_b32 s10, 0x80fffff
	v_add3_u32 v3, v2, v3, s10
	v_lshrrev_b32_e32 v3, 21, v3
; %bb.379:
	s_andn2_saveexec_b64 s[6:7], s[6:7]
; %bb.380:
	s_mov_b32 s10, 0x43000000
	v_add_f32_e64 v3, |v2|, s10
; %bb.381:
	s_or_b64 exec, exec, s[6:7]
                                        ; implicit-def: $vgpr4
.LBB15_382:
	s_andn2_saveexec_b64 s[2:3], s[2:3]
; %bb.383:
	s_mov_b32 s6, 0x7f800000
	v_mov_b32_e32 v3, 0x7c
	v_mov_b32_e32 v5, 0x7f
	v_cmp_lt_u32_e32 vcc, s6, v4
	v_cndmask_b32_e32 v3, v3, v5, vcc
; %bb.384:
	s_or_b64 exec, exec, s[2:3]
	v_lshrrev_b32_e32 v4, 24, v2
	s_movk_i32 s2, 0x80
	v_and_or_b32 v3, v4, s2, v3
	global_store_byte v[0:1], v3, off
.LBB15_385:
	s_mov_b64 s[6:7], 0
	s_mov_b64 s[2:3], -1
.LBB15_386:
	s_andn2_b64 vcc, exec, s[6:7]
	s_cbranch_vccnz .LBB15_394
; %bb.387:
	s_cmp_gt_i32 s13, 14
	s_mov_b64 s[6:7], -1
	s_cbranch_scc0 .LBB15_391
; %bb.388:
	s_cmp_eq_u32 s13, 15
	s_mov_b64 s[0:1], -1
	s_cbranch_scc0 .LBB15_390
; %bb.389:
	v_bfe_u32 v3, v2, 16, 1
	s_movk_i32 s0, 0x7fff
	v_add3_u32 v3, v2, v3, s0
	v_cmp_o_f32_e32 vcc, v2, v2
	v_mov_b32_e32 v4, 0x7fc0
	v_cndmask_b32_sdwa v3, v4, v3, vcc dst_sel:DWORD dst_unused:UNUSED_PAD src0_sel:DWORD src1_sel:WORD_1
	global_store_short v[0:1], v3, off
	s_mov_b64 s[2:3], -1
	s_mov_b64 s[0:1], 0
.LBB15_390:
	s_mov_b64 s[6:7], 0
.LBB15_391:
	s_and_b64 vcc, exec, s[6:7]
	s_cbranch_vccz .LBB15_394
; %bb.392:
	s_cmp_eq_u32 s13, 11
	s_mov_b64 s[0:1], -1
	s_cbranch_scc0 .LBB15_394
; %bb.393:
	v_cmp_neq_f32_e32 vcc, 0, v2
	v_cndmask_b32_e64 v3, 0, 1, vcc
	s_mov_b64 s[2:3], -1
	s_mov_b64 s[0:1], 0
	global_store_byte v[0:1], v3, off
.LBB15_394:
	s_mov_b64 s[6:7], 0
.LBB15_395:
	s_and_b64 vcc, exec, s[6:7]
	s_cbranch_vccz .LBB15_434
; %bb.396:
	s_and_b32 s6, 0xffff, s12
	s_cmp_lt_i32 s6, 5
	s_mov_b64 s[2:3], -1
	s_cbranch_scc1 .LBB15_417
; %bb.397:
	s_cmp_lt_i32 s6, 8
	s_cbranch_scc1 .LBB15_407
; %bb.398:
	s_cmp_lt_i32 s6, 9
	s_cbranch_scc1 .LBB15_404
; %bb.399:
	s_cmp_gt_i32 s6, 9
	s_cbranch_scc0 .LBB15_401
; %bb.400:
	v_cvt_f64_f32_e32 v[3:4], v2
	v_mov_b32_e32 v5, 0
	v_mov_b32_e32 v6, v5
	s_mov_b64 s[2:3], 0
	global_store_dwordx4 v[0:1], v[3:6], off
.LBB15_401:
	s_andn2_b64 vcc, exec, s[2:3]
	s_cbranch_vccnz .LBB15_403
; %bb.402:
	v_mov_b32_e32 v3, 0
	global_store_dwordx2 v[0:1], v[2:3], off
.LBB15_403:
	s_mov_b64 s[2:3], 0
.LBB15_404:
	s_andn2_b64 vcc, exec, s[2:3]
	s_cbranch_vccnz .LBB15_406
; %bb.405:
	v_cvt_f16_f32_e32 v3, v2
	global_store_dword v[0:1], v3, off
.LBB15_406:
	s_mov_b64 s[2:3], 0
.LBB15_407:
	s_andn2_b64 vcc, exec, s[2:3]
	s_cbranch_vccnz .LBB15_416
; %bb.408:
	s_cmp_lt_i32 s6, 6
	s_mov_b64 s[2:3], -1
	s_cbranch_scc1 .LBB15_414
; %bb.409:
	s_cmp_gt_i32 s6, 6
	s_cbranch_scc0 .LBB15_411
; %bb.410:
	v_cvt_f64_f32_e32 v[3:4], v2
	s_mov_b64 s[2:3], 0
	global_store_dwordx2 v[0:1], v[3:4], off
.LBB15_411:
	s_andn2_b64 vcc, exec, s[2:3]
	s_cbranch_vccnz .LBB15_413
; %bb.412:
	global_store_dword v[0:1], v2, off
.LBB15_413:
	s_mov_b64 s[2:3], 0
.LBB15_414:
	s_andn2_b64 vcc, exec, s[2:3]
	s_cbranch_vccnz .LBB15_416
; %bb.415:
	v_cvt_f16_f32_e32 v3, v2
	global_store_short v[0:1], v3, off
.LBB15_416:
	s_mov_b64 s[2:3], 0
.LBB15_417:
	s_andn2_b64 vcc, exec, s[2:3]
	s_cbranch_vccnz .LBB15_433
; %bb.418:
	s_cmp_lt_i32 s6, 2
	s_mov_b64 s[2:3], -1
	s_cbranch_scc1 .LBB15_428
; %bb.419:
	s_cmp_lt_i32 s6, 3
	s_cbranch_scc1 .LBB15_425
; %bb.420:
	s_cmp_gt_i32 s6, 3
	s_cbranch_scc0 .LBB15_422
; %bb.421:
	v_trunc_f32_e32 v3, v2
	s_mov_b32 s2, 0x2f800000
	v_mul_f32_e64 v4, |v3|, s2
	v_floor_f32_e32 v4, v4
	s_mov_b32 s2, 0xcf800000
	v_cvt_u32_f32_e32 v5, v4
	v_fma_f32 v4, v4, s2, |v3|
	v_cvt_u32_f32_e32 v4, v4
	v_ashrrev_i32_e32 v6, 31, v3
	v_xor_b32_e32 v5, v5, v6
	s_mov_b64 s[2:3], 0
	v_xor_b32_e32 v3, v4, v6
	v_sub_co_u32_e32 v3, vcc, v3, v6
	v_subb_co_u32_e32 v4, vcc, v5, v6, vcc
	global_store_dwordx2 v[0:1], v[3:4], off
.LBB15_422:
	s_andn2_b64 vcc, exec, s[2:3]
	s_cbranch_vccnz .LBB15_424
; %bb.423:
	v_cvt_i32_f32_e32 v3, v2
	global_store_dword v[0:1], v3, off
.LBB15_424:
	s_mov_b64 s[2:3], 0
.LBB15_425:
	s_andn2_b64 vcc, exec, s[2:3]
	s_cbranch_vccnz .LBB15_427
; %bb.426:
	v_cvt_i32_f32_e32 v3, v2
	global_store_short v[0:1], v3, off
.LBB15_427:
	s_mov_b64 s[2:3], 0
.LBB15_428:
	s_andn2_b64 vcc, exec, s[2:3]
	s_cbranch_vccnz .LBB15_433
; %bb.429:
	s_cmp_gt_i32 s6, 0
	s_mov_b64 s[2:3], -1
	s_cbranch_scc0 .LBB15_431
; %bb.430:
	v_cvt_i32_f32_e32 v3, v2
	s_mov_b64 s[2:3], 0
	global_store_byte v[0:1], v3, off
.LBB15_431:
	s_andn2_b64 vcc, exec, s[2:3]
	s_cbranch_vccnz .LBB15_433
; %bb.432:
	v_trunc_f32_e32 v2, v2
	s_mov_b32 s2, 0x2f800000
	v_mul_f32_e64 v3, |v2|, s2
	v_floor_f32_e32 v3, v3
	s_mov_b32 s2, 0xcf800000
	v_fma_f32 v3, v3, s2, |v2|
	v_cvt_u32_f32_e32 v3, v3
	v_ashrrev_i32_e32 v2, 31, v2
	v_xor_b32_e32 v3, v3, v2
	v_sub_u32_e32 v2, v3, v2
	global_store_byte v[0:1], v2, off
.LBB15_433:
	s_mov_b64 s[2:3], -1
.LBB15_434:
	s_andn2_b64 vcc, exec, s[2:3]
	s_cbranch_vccnz .LBB15_436
; %bb.435:
	v_add_u32_e32 v8, 0x80, v8
	s_mov_b64 s[2:3], -1
	s_branch .LBB15_549
.LBB15_436:
	s_mov_b64 s[2:3], 0
	s_branch .LBB15_548
.LBB15_437:
	s_mov_b64 s[8:9], -1
                                        ; implicit-def: $vgpr3
.LBB15_438:
	s_mov_b64 s[2:3], 0
.LBB15_439:
	s_and_b64 vcc, exec, s[2:3]
	s_cbranch_vccz .LBB15_443
; %bb.440:
	s_cmp_eq_u32 s10, 29
	s_cbranch_scc0 .LBB15_442
; %bb.441:
	global_load_dwordx2 v[3:4], v[1:2], off
	s_mov_b64 s[0:1], -1
	s_mov_b64 s[8:9], 0
	s_mov_b64 s[2:3], 0
	s_waitcnt vmcnt(0)
	v_ffbh_u32_e32 v5, v4
	v_min_u32_e32 v5, 32, v5
	v_lshlrev_b64 v[3:4], v5, v[3:4]
	v_min_u32_e32 v3, 1, v3
	v_or_b32_e32 v3, v4, v3
	v_cvt_f32_u32_e32 v3, v3
	v_sub_u32_e32 v4, 32, v5
	v_ldexp_f32 v3, v3, v4
	s_branch .LBB15_444
.LBB15_442:
	s_mov_b64 s[8:9], -1
                                        ; implicit-def: $vgpr3
.LBB15_443:
	s_mov_b64 s[2:3], 0
.LBB15_444:
	s_and_b64 vcc, exec, s[2:3]
	s_cbranch_vccz .LBB15_462
; %bb.445:
	s_cmp_lt_i32 s10, 27
	s_cbranch_scc1 .LBB15_448
; %bb.446:
	s_cmp_gt_i32 s10, 27
	s_cbranch_scc0 .LBB15_449
; %bb.447:
	global_load_dword v3, v[1:2], off
	s_mov_b64 s[0:1], 0
	s_waitcnt vmcnt(0)
	v_cvt_f32_u32_e32 v3, v3
	s_branch .LBB15_450
.LBB15_448:
	s_mov_b64 s[0:1], -1
                                        ; implicit-def: $vgpr3
	s_branch .LBB15_453
.LBB15_449:
	s_mov_b64 s[0:1], -1
                                        ; implicit-def: $vgpr3
.LBB15_450:
	s_andn2_b64 vcc, exec, s[0:1]
	s_cbranch_vccnz .LBB15_452
; %bb.451:
	global_load_ushort v3, v[1:2], off
	s_waitcnt vmcnt(0)
	v_cvt_f32_u32_e32 v3, v3
.LBB15_452:
	s_mov_b64 s[0:1], 0
.LBB15_453:
	s_andn2_b64 vcc, exec, s[0:1]
	s_cbranch_vccnz .LBB15_461
; %bb.454:
	global_load_ubyte v4, v[1:2], off
	s_movk_i32 s0, 0x7f
	s_waitcnt vmcnt(0)
	v_cmp_lt_i16_e32 vcc, s0, v4
	s_mov_b64 s[0:1], 0
	s_and_saveexec_b64 s[2:3], vcc
	s_xor_b64 s[2:3], exec, s[2:3]
	s_cbranch_execz .LBB15_475
; %bb.455:
	s_movk_i32 s0, 0x80
	v_cmp_eq_u16_e32 vcc, s0, v4
	s_mov_b64 s[0:1], -1
	s_and_saveexec_b64 s[6:7], vcc
; %bb.456:
	s_xor_b64 s[0:1], exec, -1
; %bb.457:
	s_or_b64 exec, exec, s[6:7]
	s_and_b64 s[0:1], s[0:1], exec
	s_or_saveexec_b64 s[2:3], s[2:3]
	v_mov_b32_e32 v3, 0x7f800001
	s_xor_b64 exec, exec, s[2:3]
	s_cbranch_execnz .LBB15_476
.LBB15_458:
	s_or_b64 exec, exec, s[2:3]
	s_and_saveexec_b64 s[2:3], s[0:1]
	s_cbranch_execz .LBB15_460
.LBB15_459:
	v_lshlrev_b32_e32 v3, 24, v4
	v_and_b32_e32 v4, 0xffff, v4
	v_and_b32_e32 v5, 7, v4
	v_ffbh_u32_e32 v7, v5
	v_min_u32_e32 v7, 32, v7
	v_subrev_u32_e32 v9, 28, v7
	v_bfe_u32 v6, v4, 3, 4
	v_lshlrev_b32_e32 v4, v9, v4
	v_sub_u32_e32 v7, 29, v7
	v_and_b32_e32 v4, 7, v4
	v_cmp_eq_u32_e32 vcc, 0, v6
	v_cndmask_b32_e32 v6, v6, v7, vcc
	v_cndmask_b32_e32 v4, v5, v4, vcc
	v_mov_b32_e32 v5, 0x3b800000
	v_lshlrev_b32_e32 v4, 20, v4
	v_and_b32_e32 v3, 0x80000000, v3
	v_lshl_add_u32 v5, v6, 23, v5
	v_or3_b32 v3, v3, v5, v4
.LBB15_460:
	s_or_b64 exec, exec, s[2:3]
.LBB15_461:
	s_mov_b64 s[0:1], -1
.LBB15_462:
	s_mov_b64 s[2:3], 0
.LBB15_463:
	s_and_b64 vcc, exec, s[2:3]
	s_cbranch_vccz .LBB15_498
; %bb.464:
	s_cmp_gt_i32 s10, 22
	s_cbranch_scc0 .LBB15_474
; %bb.465:
	s_cmp_lt_i32 s10, 24
	s_cbranch_scc1 .LBB15_477
; %bb.466:
	s_cmp_gt_i32 s10, 24
	s_cbranch_scc0 .LBB15_478
; %bb.467:
	global_load_ubyte v4, v[1:2], off
	s_movk_i32 s0, 0x7f
	s_waitcnt vmcnt(0)
	v_cmp_lt_i16_e32 vcc, s0, v4
	s_mov_b64 s[0:1], 0
	s_and_saveexec_b64 s[2:3], vcc
	s_xor_b64 s[2:3], exec, s[2:3]
	s_cbranch_execz .LBB15_490
; %bb.468:
	s_movk_i32 s0, 0x80
	v_cmp_eq_u16_e32 vcc, s0, v4
	s_mov_b64 s[0:1], -1
	s_and_saveexec_b64 s[6:7], vcc
; %bb.469:
	s_xor_b64 s[0:1], exec, -1
; %bb.470:
	s_or_b64 exec, exec, s[6:7]
	s_and_b64 s[0:1], s[0:1], exec
	s_or_saveexec_b64 s[2:3], s[2:3]
	v_mov_b32_e32 v3, 0x7f800001
	s_xor_b64 exec, exec, s[2:3]
	s_cbranch_execnz .LBB15_491
.LBB15_471:
	s_or_b64 exec, exec, s[2:3]
	s_and_saveexec_b64 s[2:3], s[0:1]
	s_cbranch_execz .LBB15_473
.LBB15_472:
	v_lshlrev_b32_e32 v3, 24, v4
	v_and_b32_e32 v4, 0xffff, v4
	v_and_b32_e32 v5, 3, v4
	v_ffbh_u32_e32 v7, v5
	v_min_u32_e32 v7, 32, v7
	v_subrev_u32_e32 v9, 29, v7
	v_bfe_u32 v6, v4, 2, 5
	v_lshlrev_b32_e32 v4, v9, v4
	v_sub_u32_e32 v7, 30, v7
	v_and_b32_e32 v4, 3, v4
	v_cmp_eq_u32_e32 vcc, 0, v6
	v_cndmask_b32_e32 v6, v6, v7, vcc
	v_cndmask_b32_e32 v4, v5, v4, vcc
	v_mov_b32_e32 v5, 0x37800000
	v_lshlrev_b32_e32 v4, 21, v4
	v_and_b32_e32 v3, 0x80000000, v3
	v_lshl_add_u32 v5, v6, 23, v5
	v_or3_b32 v3, v3, v5, v4
.LBB15_473:
	s_or_b64 exec, exec, s[2:3]
	s_mov_b64 s[0:1], 0
	s_branch .LBB15_479
.LBB15_474:
	s_mov_b64 s[2:3], -1
                                        ; implicit-def: $vgpr3
	s_branch .LBB15_485
.LBB15_475:
	s_or_saveexec_b64 s[2:3], s[2:3]
	v_mov_b32_e32 v3, 0x7f800001
	s_xor_b64 exec, exec, s[2:3]
	s_cbranch_execz .LBB15_458
.LBB15_476:
	v_cmp_ne_u16_e32 vcc, 0, v4
	s_andn2_b64 s[0:1], s[0:1], exec
	s_and_b64 s[6:7], vcc, exec
	v_mov_b32_e32 v3, 0
	s_or_b64 s[0:1], s[0:1], s[6:7]
	s_or_b64 exec, exec, s[2:3]
	s_and_saveexec_b64 s[2:3], s[0:1]
	s_cbranch_execnz .LBB15_459
	s_branch .LBB15_460
.LBB15_477:
	s_mov_b64 s[0:1], -1
                                        ; implicit-def: $vgpr3
	s_branch .LBB15_482
.LBB15_478:
	s_mov_b64 s[0:1], -1
                                        ; implicit-def: $vgpr3
.LBB15_479:
	s_and_b64 vcc, exec, s[0:1]
	s_cbranch_vccz .LBB15_481
; %bb.480:
	global_load_ubyte v3, v[1:2], off
	s_mov_b32 s0, 0x7f800000
	s_waitcnt vmcnt(0)
	v_lshlrev_b32_e32 v3, 24, v3
	v_and_b32_e32 v4, 0x7f000000, v3
	v_ffbh_u32_e32 v5, v4
	v_min_u32_e32 v5, 32, v5
	v_sub_u32_e64 v5, v5, 4 clamp
	v_lshlrev_b32_e32 v7, v5, v4
	v_lshlrev_b32_e32 v5, 23, v5
	v_lshrrev_b32_e32 v7, 4, v7
	v_add_u32_e32 v6, 0x1000000, v4
	v_sub_u32_e32 v5, v7, v5
	v_ashrrev_i32_e32 v6, 8, v6
	v_add_u32_e32 v5, 0x3c000000, v5
	v_and_or_b32 v5, v6, s0, v5
	v_cmp_ne_u32_e32 vcc, 0, v4
	v_cndmask_b32_e32 v4, 0, v5, vcc
	s_brev_b32 s0, 1
	v_and_or_b32 v3, v3, s0, v4
.LBB15_481:
	s_mov_b64 s[0:1], 0
.LBB15_482:
	s_andn2_b64 vcc, exec, s[0:1]
	s_cbranch_vccnz .LBB15_484
; %bb.483:
	global_load_ubyte v3, v[1:2], off
	s_movk_i32 s0, 0x7f00
	s_brev_b32 s1, 16
	s_waitcnt vmcnt(0)
	v_lshlrev_b16_e32 v4, 8, v3
	v_lshlrev_b32_e32 v3, 25, v3
	v_lshrrev_b32_e32 v5, 4, v3
	v_and_or_b32 v6, v4, s0, 0.5
	v_or_b32_e32 v5, 0x70000000, v5
	v_add_f32_e32 v6, -0.5, v6
	v_mul_f32_e32 v5, 0x7800000, v5
	v_cmp_gt_u32_e32 vcc, s1, v3
	v_bfe_i32 v4, v4, 0, 16
	v_cndmask_b32_e32 v3, v5, v6, vcc
	s_brev_b32 s0, 1
	v_and_or_b32 v3, v4, s0, v3
.LBB15_484:
	s_mov_b64 s[2:3], 0
	s_mov_b64 s[0:1], -1
.LBB15_485:
	s_andn2_b64 vcc, exec, s[2:3]
	s_cbranch_vccnz .LBB15_498
; %bb.486:
	s_cmp_gt_i32 s10, 14
	s_cbranch_scc0 .LBB15_489
; %bb.487:
	s_cmp_eq_u32 s10, 15
	s_cbranch_scc0 .LBB15_492
; %bb.488:
	global_load_ushort v3, v[1:2], off
	s_mov_b64 s[0:1], -1
	s_mov_b64 s[8:9], 0
	s_waitcnt vmcnt(0)
	v_lshlrev_b32_e32 v3, 16, v3
	s_branch .LBB15_493
.LBB15_489:
	s_mov_b64 s[2:3], -1
                                        ; implicit-def: $vgpr3
	s_branch .LBB15_494
.LBB15_490:
	s_or_saveexec_b64 s[2:3], s[2:3]
	v_mov_b32_e32 v3, 0x7f800001
	s_xor_b64 exec, exec, s[2:3]
	s_cbranch_execz .LBB15_471
.LBB15_491:
	v_cmp_ne_u16_e32 vcc, 0, v4
	s_andn2_b64 s[0:1], s[0:1], exec
	s_and_b64 s[6:7], vcc, exec
	v_mov_b32_e32 v3, 0
	s_or_b64 s[0:1], s[0:1], s[6:7]
	s_or_b64 exec, exec, s[2:3]
	s_and_saveexec_b64 s[2:3], s[0:1]
	s_cbranch_execnz .LBB15_472
	s_branch .LBB15_473
.LBB15_492:
	s_mov_b64 s[8:9], -1
                                        ; implicit-def: $vgpr3
.LBB15_493:
	s_mov_b64 s[2:3], 0
.LBB15_494:
	s_and_b64 vcc, exec, s[2:3]
	s_cbranch_vccz .LBB15_498
; %bb.495:
	s_cmp_eq_u32 s10, 11
	s_cbranch_scc0 .LBB15_497
; %bb.496:
	global_load_ubyte v3, v[1:2], off
	s_mov_b64 s[0:1], -1
	s_mov_b64 s[8:9], 0
	s_waitcnt vmcnt(0)
	v_cmp_ne_u16_e32 vcc, 0, v3
	v_cndmask_b32_e64 v3, 0, 1.0, vcc
	s_branch .LBB15_498
.LBB15_497:
	s_mov_b64 s[8:9], -1
                                        ; implicit-def: $vgpr3
.LBB15_498:
	s_branch .LBB15_297
.LBB15_499:
	s_cmp_lt_i32 s10, 5
	s_cbranch_scc1 .LBB15_504
; %bb.500:
	s_cmp_lt_i32 s10, 8
	s_cbranch_scc1 .LBB15_505
; %bb.501:
	;; [unrolled: 3-line block ×3, first 2 shown]
	s_cmp_gt_i32 s10, 9
	s_cbranch_scc0 .LBB15_507
; %bb.503:
	global_load_dwordx2 v[3:4], v[1:2], off
	s_mov_b64 s[0:1], 0
	s_waitcnt vmcnt(0)
	v_cvt_f32_f64_e32 v3, v[3:4]
	s_branch .LBB15_508
.LBB15_504:
	s_mov_b64 s[0:1], -1
                                        ; implicit-def: $vgpr3
	s_branch .LBB15_526
.LBB15_505:
	s_mov_b64 s[0:1], -1
                                        ; implicit-def: $vgpr3
	s_branch .LBB15_514
.LBB15_506:
	s_mov_b64 s[0:1], -1
                                        ; implicit-def: $vgpr3
	s_branch .LBB15_511
.LBB15_507:
	s_mov_b64 s[0:1], -1
                                        ; implicit-def: $vgpr3
.LBB15_508:
	s_andn2_b64 vcc, exec, s[0:1]
	s_cbranch_vccnz .LBB15_510
; %bb.509:
	global_load_dword v3, v[1:2], off
.LBB15_510:
	s_mov_b64 s[0:1], 0
.LBB15_511:
	s_andn2_b64 vcc, exec, s[0:1]
	s_cbranch_vccnz .LBB15_513
; %bb.512:
	global_load_dword v3, v[1:2], off
	s_waitcnt vmcnt(0)
	v_cvt_f32_f16_e32 v3, v3
.LBB15_513:
	s_mov_b64 s[0:1], 0
.LBB15_514:
	s_andn2_b64 vcc, exec, s[0:1]
	s_cbranch_vccnz .LBB15_525
; %bb.515:
	s_cmp_lt_i32 s10, 6
	s_cbranch_scc1 .LBB15_518
; %bb.516:
	s_cmp_gt_i32 s10, 6
	s_cbranch_scc0 .LBB15_519
; %bb.517:
	global_load_dwordx2 v[3:4], v[1:2], off
	s_mov_b64 s[0:1], 0
	s_waitcnt vmcnt(0)
	v_cvt_f32_f64_e32 v3, v[3:4]
	s_branch .LBB15_520
.LBB15_518:
	s_mov_b64 s[0:1], -1
                                        ; implicit-def: $vgpr3
	s_branch .LBB15_523
.LBB15_519:
	s_mov_b64 s[0:1], -1
                                        ; implicit-def: $vgpr3
.LBB15_520:
	s_andn2_b64 vcc, exec, s[0:1]
	s_cbranch_vccnz .LBB15_522
; %bb.521:
	global_load_dword v3, v[1:2], off
.LBB15_522:
	s_mov_b64 s[0:1], 0
.LBB15_523:
	s_andn2_b64 vcc, exec, s[0:1]
	s_cbranch_vccnz .LBB15_525
; %bb.524:
	global_load_ushort v3, v[1:2], off
	s_waitcnt vmcnt(0)
	v_cvt_f32_f16_e32 v3, v3
.LBB15_525:
	s_mov_b64 s[0:1], 0
.LBB15_526:
	s_andn2_b64 vcc, exec, s[0:1]
	s_cbranch_vccnz .LBB15_546
; %bb.527:
	s_cmp_lt_i32 s10, 2
	s_cbranch_scc1 .LBB15_531
; %bb.528:
	s_cmp_lt_i32 s10, 3
	s_cbranch_scc1 .LBB15_532
; %bb.529:
	s_cmp_gt_i32 s10, 3
	s_cbranch_scc0 .LBB15_533
; %bb.530:
	global_load_dwordx2 v[3:4], v[1:2], off
	s_mov_b64 s[0:1], 0
	s_waitcnt vmcnt(0)
	v_xor_b32_e32 v6, v3, v4
	v_ffbh_i32_e32 v5, v4
	v_ashrrev_i32_e32 v6, 31, v6
	v_add_u32_e32 v5, -1, v5
	v_add_u32_e32 v6, 32, v6
	v_min_u32_e32 v5, v5, v6
	v_lshlrev_b64 v[3:4], v5, v[3:4]
	v_min_u32_e32 v3, 1, v3
	v_or_b32_e32 v3, v4, v3
	v_cvt_f32_i32_e32 v3, v3
	v_sub_u32_e32 v4, 32, v5
	v_ldexp_f32 v3, v3, v4
	s_branch .LBB15_534
.LBB15_531:
	s_mov_b64 s[0:1], -1
                                        ; implicit-def: $vgpr3
	s_branch .LBB15_540
.LBB15_532:
	s_mov_b64 s[0:1], -1
                                        ; implicit-def: $vgpr3
	s_branch .LBB15_537
.LBB15_533:
	s_mov_b64 s[0:1], -1
                                        ; implicit-def: $vgpr3
.LBB15_534:
	s_andn2_b64 vcc, exec, s[0:1]
	s_cbranch_vccnz .LBB15_536
; %bb.535:
	global_load_dword v3, v[1:2], off
	s_waitcnt vmcnt(0)
	v_cvt_f32_i32_e32 v3, v3
.LBB15_536:
	s_mov_b64 s[0:1], 0
.LBB15_537:
	s_andn2_b64 vcc, exec, s[0:1]
	s_cbranch_vccnz .LBB15_539
; %bb.538:
	global_load_sshort v3, v[1:2], off
	s_waitcnt vmcnt(0)
	v_cvt_f32_i32_e32 v3, v3
.LBB15_539:
	s_mov_b64 s[0:1], 0
.LBB15_540:
	s_andn2_b64 vcc, exec, s[0:1]
	s_cbranch_vccnz .LBB15_546
; %bb.541:
	s_cmp_gt_i32 s10, 0
	s_cbranch_scc0 .LBB15_543
; %bb.542:
	global_load_sbyte v3, v[1:2], off
	s_mov_b64 s[0:1], 0
	s_waitcnt vmcnt(0)
	v_cvt_f32_i32_e32 v3, v3
	s_branch .LBB15_544
.LBB15_543:
	s_mov_b64 s[0:1], -1
                                        ; implicit-def: $vgpr3
.LBB15_544:
	s_andn2_b64 vcc, exec, s[0:1]
	s_cbranch_vccnz .LBB15_546
; %bb.545:
	global_load_ubyte v1, v[1:2], off
	s_waitcnt vmcnt(0)
	v_cvt_f32_ubyte0_e32 v3, v1
.LBB15_546:
	s_branch .LBB15_298
.LBB15_547:
	s_mov_b64 s[2:3], 0
	s_mov_b64 s[0:1], s[54:55]
.LBB15_548:
                                        ; implicit-def: $vgpr8
.LBB15_549:
	s_andn2_b64 s[6:7], s[54:55], exec
	s_and_b64 s[0:1], s[0:1], exec
	s_or_b64 s[62:63], s[6:7], s[0:1]
	s_andn2_b64 s[0:1], s[56:57], exec
	s_and_b64 s[6:7], s[8:9], exec
	s_or_b64 s[60:61], s[0:1], s[6:7]
	s_orn2_b64 s[0:1], s[2:3], exec
.LBB15_550:
	s_or_b64 exec, exec, s[64:65]
	s_mov_b64 s[2:3], 0
	s_mov_b64 s[8:9], 0
	;; [unrolled: 1-line block ×3, first 2 shown]
                                        ; implicit-def: $vgpr1_vgpr2
                                        ; implicit-def: $vgpr0
                                        ; implicit-def: $vgpr4
	s_and_saveexec_b64 s[64:65], s[0:1]
	s_cbranch_execz .LBB15_929
; %bb.551:
	v_cmp_gt_i32_e32 vcc, s70, v8
	s_mov_b64 s[2:3], -1
	s_mov_b64 s[6:7], s[60:61]
	s_mov_b64 s[68:69], s[62:63]
	s_and_saveexec_b64 s[66:67], vcc
	s_cbranch_execz .LBB15_829
; %bb.552:
	s_andn2_b64 vcc, exec, s[42:43]
	s_cbranch_vccnz .LBB15_557
; %bb.553:
	s_andn2_b64 vcc, exec, s[52:53]
	s_cbranch_vccnz .LBB15_558
; %bb.554:
	s_add_i32 s76, s75, 1
	s_cmp_eq_u32 s72, 2
	s_cbranch_scc1 .LBB15_559
; %bb.555:
	s_and_b32 s71, s76, 28
	v_mov_b32_e32 v2, 0
	s_mov_b32 s77, 0
	s_mov_b64 s[6:7], s[34:35]
	s_mov_b64 s[68:69], s[50:51]
	v_mov_b32_e32 v0, 0
	v_mov_b32_e32 v1, v8
.LBB15_556:                             ; =>This Inner Loop Header: Depth=1
	s_load_dwordx8 s[16:23], s[6:7], 0x4
	s_load_dwordx4 s[0:3], s[6:7], 0x24
	s_load_dwordx8 s[8:15], s[68:69], 0x0
	s_add_u32 s6, s6, 48
	s_addc_u32 s7, s7, 0
	s_waitcnt vmcnt(0) lgkmcnt(0)
	v_mul_hi_u32 v3, s17, v1
	s_add_i32 s77, s77, 4
	s_add_u32 s68, s68, 32
	s_addc_u32 s69, s69, 0
	v_add_u32_e32 v3, v1, v3
	v_lshrrev_b32_e32 v3, s18, v3
	v_mul_lo_u32 v4, v3, s16
	v_mul_hi_u32 v5, s20, v3
	s_cmp_eq_u32 s71, s77
	v_sub_u32_e32 v1, v1, v4
	v_add_u32_e32 v4, v3, v5
	v_mul_lo_u32 v5, v1, s8
	v_mul_lo_u32 v6, v1, s9
	v_lshrrev_b32_e32 v1, s21, v4
	v_mul_lo_u32 v4, v1, s19
	v_mul_hi_u32 v7, s23, v1
	v_sub_u32_e32 v3, v3, v4
	v_add_u32_e32 v4, v1, v7
	v_lshrrev_b32_e32 v4, s0, v4
	v_mul_hi_u32 v9, s2, v4
	v_mul_lo_u32 v10, v4, s22
	v_mul_lo_u32 v7, v3, s10
	;; [unrolled: 1-line block ×3, first 2 shown]
	v_sub_u32_e32 v10, v1, v10
	v_add_u32_e32 v1, v4, v9
	v_lshrrev_b32_e32 v1, s3, v1
	v_mul_lo_u32 v9, v1, s1
	v_mul_lo_u32 v11, v10, s12
	;; [unrolled: 1-line block ×3, first 2 shown]
	v_add3_u32 v0, v5, v0, v7
	v_sub_u32_e32 v4, v4, v9
	v_mul_lo_u32 v9, v4, s14
	v_mul_lo_u32 v4, v4, s15
	v_add3_u32 v2, v6, v2, v3
	v_add3_u32 v0, v11, v0, v9
	;; [unrolled: 1-line block ×3, first 2 shown]
	s_cbranch_scc0 .LBB15_556
	s_branch .LBB15_560
.LBB15_557:
	s_mov_b64 s[0:1], -1
                                        ; implicit-def: $vgpr0
                                        ; implicit-def: $vgpr2
	s_branch .LBB15_564
.LBB15_558:
	v_mov_b32_e32 v0, 0
	v_mov_b32_e32 v2, 0
	s_branch .LBB15_563
.LBB15_559:
	s_mov_b32 s71, 0
	v_mov_b32_e32 v0, 0
	v_mov_b32_e32 v2, 0
	;; [unrolled: 1-line block ×3, first 2 shown]
.LBB15_560:
	s_and_b32 s6, s76, 3
	s_cmp_eq_u32 s6, 0
	s_cbranch_scc1 .LBB15_563
; %bb.561:
	s_lshl_b32 s0, s71, 3
	s_add_u32 s0, s34, s0
	s_addc_u32 s1, s35, 0
	s_add_u32 s0, s0, 0xc4
	s_addc_u32 s1, s1, 0
	s_mul_i32 s2, s71, 12
	s_add_u32 s2, s34, s2
	s_addc_u32 s3, s35, 0
.LBB15_562:                             ; =>This Inner Loop Header: Depth=1
	s_load_dwordx2 s[8:9], s[2:3], 0x4
	s_load_dword s7, s[2:3], 0xc
	s_load_dwordx2 s[10:11], s[0:1], 0x0
	s_add_u32 s2, s2, 12
	s_addc_u32 s3, s3, 0
	s_waitcnt vmcnt(0) lgkmcnt(0)
	v_mul_hi_u32 v3, s9, v1
	s_add_u32 s0, s0, 8
	s_addc_u32 s1, s1, 0
	s_add_i32 s6, s6, -1
	v_add_u32_e32 v3, v1, v3
	v_lshrrev_b32_e32 v4, s7, v3
	v_mul_lo_u32 v3, v4, s8
	s_cmp_lg_u32 s6, 0
	v_sub_u32_e32 v3, v1, v3
	v_mad_u64_u32 v[0:1], s[8:9], v3, s10, v[0:1]
	v_mad_u64_u32 v[2:3], s[8:9], v3, s11, v[2:3]
	v_mov_b32_e32 v1, v4
	s_cbranch_scc1 .LBB15_562
.LBB15_563:
	s_mov_b64 s[0:1], 0
.LBB15_564:
	s_andn2_b64 vcc, exec, s[0:1]
	s_cbranch_vccnz .LBB15_567
; %bb.565:
	s_waitcnt lgkmcnt(0)
	v_mul_hi_u32 v0, s37, v8
	s_andn2_b64 vcc, exec, s[48:49]
	v_add_u32_e32 v0, v8, v0
	v_lshrrev_b32_e32 v1, s38, v0
	v_mul_lo_u32 v0, v1, s36
	v_sub_u32_e32 v2, v8, v0
	v_mul_lo_u32 v0, v2, s28
	v_mul_lo_u32 v2, v2, s29
	s_cbranch_vccnz .LBB15_567
; %bb.566:
	s_waitcnt vmcnt(0)
	v_mul_hi_u32 v3, s46, v1
	v_add_u32_e32 v3, v1, v3
	v_lshrrev_b32_e32 v3, s47, v3
	v_mul_lo_u32 v3, v3, s39
	v_sub_u32_e32 v3, v1, v3
	v_mad_u64_u32 v[0:1], s[0:1], v3, s30, v[0:1]
	v_mad_u64_u32 v[2:3], s[0:1], v3, s31, v[2:3]
.LBB15_567:
	s_waitcnt vmcnt(0) lgkmcnt(0)
	v_mov_b32_e32 v3, s27
	s_and_b32 s10, 0xffff, s74
	v_add_co_u32_e32 v1, vcc, s26, v2
	s_cmp_lt_i32 s10, 11
	v_addc_co_u32_e32 v2, vcc, 0, v3, vcc
	s_cbranch_scc1 .LBB15_574
; %bb.568:
	s_cmp_gt_i32 s10, 25
	s_cbranch_scc0 .LBB15_575
; %bb.569:
	s_cmp_gt_i32 s10, 28
	s_cbranch_scc0 .LBB15_576
	;; [unrolled: 3-line block ×4, first 2 shown]
; %bb.572:
	s_cmp_eq_u32 s10, 46
	s_mov_b64 s[2:3], 0
	s_cbranch_scc0 .LBB15_583
; %bb.573:
	global_load_dword v3, v[1:2], off
	s_mov_b64 s[0:1], -1
	s_mov_b64 s[8:9], 0
	s_waitcnt vmcnt(0)
	v_lshlrev_b32_e32 v3, 16, v3
	s_branch .LBB15_584
.LBB15_574:
	s_mov_b64 s[2:3], -1
	s_mov_b64 s[0:1], 0
                                        ; implicit-def: $vgpr3
	s_mov_b64 s[8:9], s[60:61]
	s_branch .LBB15_649
.LBB15_575:
	s_mov_b64 s[2:3], -1
	s_mov_b64 s[0:1], 0
	s_mov_b64 s[8:9], s[60:61]
                                        ; implicit-def: $vgpr3
	s_branch .LBB15_613
.LBB15_576:
	s_mov_b64 s[2:3], -1
	s_mov_b64 s[0:1], 0
	s_mov_b64 s[8:9], s[60:61]
                                        ; implicit-def: $vgpr3
	s_branch .LBB15_594
.LBB15_577:
	s_mov_b64 s[2:3], -1
	s_mov_b64 s[0:1], 0
	s_mov_b64 s[8:9], s[60:61]
                                        ; implicit-def: $vgpr3
	s_branch .LBB15_589
.LBB15_578:
	s_andn2_saveexec_b64 s[10:11], s[10:11]
	s_cbranch_execz .LBB15_347
.LBB15_579:
	s_mov_b32 s14, 0x46000000
	v_add_f32_e64 v3, |v2|, s14
	v_and_b32_e32 v3, 0xff, v3
	v_cmp_ne_u32_e32 vcc, 0, v3
	s_andn2_b64 s[6:7], s[6:7], exec
	s_and_b64 s[14:15], vcc, exec
	s_or_b64 s[6:7], s[6:7], s[14:15]
	s_or_b64 exec, exec, s[10:11]
	v_mov_b32_e32 v4, 0
	s_and_saveexec_b64 s[10:11], s[6:7]
	s_cbranch_execnz .LBB15_348
	s_branch .LBB15_349
.LBB15_580:
	s_mov_b64 s[2:3], -1
	s_mov_b64 s[0:1], 0
	s_mov_b64 s[8:9], s[60:61]
                                        ; implicit-def: $vgpr3
	s_branch .LBB15_584
.LBB15_581:
	s_andn2_saveexec_b64 s[10:11], s[10:11]
	s_cbranch_execz .LBB15_360
.LBB15_582:
	s_mov_b32 s14, 0x42800000
	v_add_f32_e64 v3, |v2|, s14
	v_and_b32_e32 v3, 0xff, v3
	v_cmp_ne_u32_e32 vcc, 0, v3
	s_andn2_b64 s[6:7], s[6:7], exec
	s_and_b64 s[14:15], vcc, exec
	s_or_b64 s[6:7], s[6:7], s[14:15]
	s_or_b64 exec, exec, s[10:11]
	v_mov_b32_e32 v4, 0
	s_and_saveexec_b64 s[10:11], s[6:7]
	s_cbranch_execnz .LBB15_361
	s_branch .LBB15_362
.LBB15_583:
	s_mov_b64 s[8:9], -1
                                        ; implicit-def: $vgpr3
	s_mov_b64 s[0:1], 0
.LBB15_584:
	s_and_b64 vcc, exec, s[2:3]
	s_cbranch_vccz .LBB15_588
; %bb.585:
	s_cmp_eq_u32 s10, 44
	s_cbranch_scc0 .LBB15_587
; %bb.586:
	global_load_ubyte v3, v[1:2], off
	s_movk_i32 s2, 0xff
	v_mov_b32_e32 v4, 0x7f800001
	v_mov_b32_e32 v5, 0x400000
	s_mov_b64 s[0:1], -1
	s_mov_b64 s[8:9], 0
	s_waitcnt vmcnt(0)
	v_lshlrev_b32_e32 v6, 23, v3
	v_cmp_ne_u32_e32 vcc, s2, v3
	v_cndmask_b32_e32 v4, v4, v6, vcc
	v_cmp_ne_u32_e32 vcc, 0, v3
	v_cndmask_b32_e32 v3, v5, v4, vcc
	s_branch .LBB15_588
.LBB15_587:
	s_mov_b64 s[8:9], -1
                                        ; implicit-def: $vgpr3
.LBB15_588:
	s_mov_b64 s[2:3], 0
.LBB15_589:
	s_and_b64 vcc, exec, s[2:3]
	s_cbranch_vccz .LBB15_593
; %bb.590:
	s_cmp_eq_u32 s10, 29
	s_cbranch_scc0 .LBB15_592
; %bb.591:
	global_load_dwordx2 v[3:4], v[1:2], off
	s_mov_b64 s[0:1], -1
	s_mov_b64 s[8:9], 0
	s_mov_b64 s[2:3], 0
	s_waitcnt vmcnt(0)
	v_ffbh_u32_e32 v5, v4
	v_min_u32_e32 v5, 32, v5
	v_lshlrev_b64 v[3:4], v5, v[3:4]
	v_min_u32_e32 v3, 1, v3
	v_or_b32_e32 v3, v4, v3
	v_cvt_f32_u32_e32 v3, v3
	v_sub_u32_e32 v4, 32, v5
	v_ldexp_f32 v3, v3, v4
	s_branch .LBB15_594
.LBB15_592:
	s_mov_b64 s[8:9], -1
                                        ; implicit-def: $vgpr3
.LBB15_593:
	s_mov_b64 s[2:3], 0
.LBB15_594:
	s_and_b64 vcc, exec, s[2:3]
	s_cbranch_vccz .LBB15_612
; %bb.595:
	s_cmp_lt_i32 s10, 27
	s_cbranch_scc1 .LBB15_598
; %bb.596:
	s_cmp_gt_i32 s10, 27
	s_cbranch_scc0 .LBB15_599
; %bb.597:
	global_load_dword v3, v[1:2], off
	s_mov_b64 s[0:1], 0
	s_waitcnt vmcnt(0)
	v_cvt_f32_u32_e32 v3, v3
	s_branch .LBB15_600
.LBB15_598:
	s_mov_b64 s[0:1], -1
                                        ; implicit-def: $vgpr3
	s_branch .LBB15_603
.LBB15_599:
	s_mov_b64 s[0:1], -1
                                        ; implicit-def: $vgpr3
.LBB15_600:
	s_andn2_b64 vcc, exec, s[0:1]
	s_cbranch_vccnz .LBB15_602
; %bb.601:
	global_load_ushort v3, v[1:2], off
	s_waitcnt vmcnt(0)
	v_cvt_f32_u32_e32 v3, v3
.LBB15_602:
	s_mov_b64 s[0:1], 0
.LBB15_603:
	s_andn2_b64 vcc, exec, s[0:1]
	s_cbranch_vccnz .LBB15_611
; %bb.604:
	global_load_ubyte v4, v[1:2], off
	s_movk_i32 s0, 0x7f
	s_waitcnt vmcnt(0)
	v_cmp_lt_i16_e32 vcc, s0, v4
	s_mov_b64 s[0:1], 0
	s_and_saveexec_b64 s[2:3], vcc
	s_xor_b64 s[2:3], exec, s[2:3]
	s_cbranch_execz .LBB15_625
; %bb.605:
	s_movk_i32 s0, 0x80
	v_cmp_eq_u16_e32 vcc, s0, v4
	s_mov_b64 s[0:1], -1
	s_and_saveexec_b64 s[6:7], vcc
; %bb.606:
	s_xor_b64 s[0:1], exec, -1
; %bb.607:
	s_or_b64 exec, exec, s[6:7]
	s_and_b64 s[0:1], s[0:1], exec
	s_or_saveexec_b64 s[2:3], s[2:3]
	v_mov_b32_e32 v3, 0x7f800001
	s_xor_b64 exec, exec, s[2:3]
	s_cbranch_execnz .LBB15_626
.LBB15_608:
	s_or_b64 exec, exec, s[2:3]
	s_and_saveexec_b64 s[2:3], s[0:1]
	s_cbranch_execz .LBB15_610
.LBB15_609:
	v_lshlrev_b32_e32 v3, 24, v4
	v_and_b32_e32 v4, 0xffff, v4
	v_and_b32_e32 v5, 7, v4
	v_ffbh_u32_e32 v7, v5
	v_min_u32_e32 v7, 32, v7
	v_subrev_u32_e32 v9, 28, v7
	v_bfe_u32 v6, v4, 3, 4
	v_lshlrev_b32_e32 v4, v9, v4
	v_sub_u32_e32 v7, 29, v7
	v_and_b32_e32 v4, 7, v4
	v_cmp_eq_u32_e32 vcc, 0, v6
	v_cndmask_b32_e32 v6, v6, v7, vcc
	v_cndmask_b32_e32 v4, v5, v4, vcc
	v_mov_b32_e32 v5, 0x3b800000
	v_lshlrev_b32_e32 v4, 20, v4
	v_and_b32_e32 v3, 0x80000000, v3
	v_lshl_add_u32 v5, v6, 23, v5
	v_or3_b32 v3, v3, v5, v4
.LBB15_610:
	s_or_b64 exec, exec, s[2:3]
.LBB15_611:
	s_mov_b64 s[0:1], -1
.LBB15_612:
	s_mov_b64 s[2:3], 0
.LBB15_613:
	s_and_b64 vcc, exec, s[2:3]
	s_cbranch_vccz .LBB15_648
; %bb.614:
	s_cmp_gt_i32 s10, 22
	s_cbranch_scc0 .LBB15_624
; %bb.615:
	s_cmp_lt_i32 s10, 24
	s_cbranch_scc1 .LBB15_627
; %bb.616:
	s_cmp_gt_i32 s10, 24
	s_cbranch_scc0 .LBB15_628
; %bb.617:
	global_load_ubyte v4, v[1:2], off
	s_movk_i32 s0, 0x7f
	s_waitcnt vmcnt(0)
	v_cmp_lt_i16_e32 vcc, s0, v4
	s_mov_b64 s[0:1], 0
	s_and_saveexec_b64 s[2:3], vcc
	s_xor_b64 s[2:3], exec, s[2:3]
	s_cbranch_execz .LBB15_640
; %bb.618:
	s_movk_i32 s0, 0x80
	v_cmp_eq_u16_e32 vcc, s0, v4
	s_mov_b64 s[0:1], -1
	s_and_saveexec_b64 s[6:7], vcc
; %bb.619:
	s_xor_b64 s[0:1], exec, -1
; %bb.620:
	s_or_b64 exec, exec, s[6:7]
	s_and_b64 s[0:1], s[0:1], exec
	s_or_saveexec_b64 s[2:3], s[2:3]
	v_mov_b32_e32 v3, 0x7f800001
	s_xor_b64 exec, exec, s[2:3]
	s_cbranch_execnz .LBB15_641
.LBB15_621:
	s_or_b64 exec, exec, s[2:3]
	s_and_saveexec_b64 s[2:3], s[0:1]
	s_cbranch_execz .LBB15_623
.LBB15_622:
	v_lshlrev_b32_e32 v3, 24, v4
	v_and_b32_e32 v4, 0xffff, v4
	v_and_b32_e32 v5, 3, v4
	v_ffbh_u32_e32 v7, v5
	v_min_u32_e32 v7, 32, v7
	v_subrev_u32_e32 v9, 29, v7
	v_bfe_u32 v6, v4, 2, 5
	v_lshlrev_b32_e32 v4, v9, v4
	v_sub_u32_e32 v7, 30, v7
	v_and_b32_e32 v4, 3, v4
	v_cmp_eq_u32_e32 vcc, 0, v6
	v_cndmask_b32_e32 v6, v6, v7, vcc
	v_cndmask_b32_e32 v4, v5, v4, vcc
	v_mov_b32_e32 v5, 0x37800000
	v_lshlrev_b32_e32 v4, 21, v4
	v_and_b32_e32 v3, 0x80000000, v3
	v_lshl_add_u32 v5, v6, 23, v5
	v_or3_b32 v3, v3, v5, v4
.LBB15_623:
	s_or_b64 exec, exec, s[2:3]
	s_mov_b64 s[0:1], 0
	s_branch .LBB15_629
.LBB15_624:
	s_mov_b64 s[2:3], -1
                                        ; implicit-def: $vgpr3
	s_branch .LBB15_635
.LBB15_625:
	s_or_saveexec_b64 s[2:3], s[2:3]
	v_mov_b32_e32 v3, 0x7f800001
	s_xor_b64 exec, exec, s[2:3]
	s_cbranch_execz .LBB15_608
.LBB15_626:
	v_cmp_ne_u16_e32 vcc, 0, v4
	s_andn2_b64 s[0:1], s[0:1], exec
	s_and_b64 s[6:7], vcc, exec
	v_mov_b32_e32 v3, 0
	s_or_b64 s[0:1], s[0:1], s[6:7]
	s_or_b64 exec, exec, s[2:3]
	s_and_saveexec_b64 s[2:3], s[0:1]
	s_cbranch_execnz .LBB15_609
	s_branch .LBB15_610
.LBB15_627:
	s_mov_b64 s[0:1], -1
                                        ; implicit-def: $vgpr3
	s_branch .LBB15_632
.LBB15_628:
	s_mov_b64 s[0:1], -1
                                        ; implicit-def: $vgpr3
.LBB15_629:
	s_and_b64 vcc, exec, s[0:1]
	s_cbranch_vccz .LBB15_631
; %bb.630:
	global_load_ubyte v3, v[1:2], off
	s_mov_b32 s0, 0x7f800000
	s_waitcnt vmcnt(0)
	v_lshlrev_b32_e32 v3, 24, v3
	v_and_b32_e32 v4, 0x7f000000, v3
	v_ffbh_u32_e32 v5, v4
	v_min_u32_e32 v5, 32, v5
	v_sub_u32_e64 v5, v5, 4 clamp
	v_lshlrev_b32_e32 v7, v5, v4
	v_lshlrev_b32_e32 v5, 23, v5
	v_lshrrev_b32_e32 v7, 4, v7
	v_add_u32_e32 v6, 0x1000000, v4
	v_sub_u32_e32 v5, v7, v5
	v_ashrrev_i32_e32 v6, 8, v6
	v_add_u32_e32 v5, 0x3c000000, v5
	v_and_or_b32 v5, v6, s0, v5
	v_cmp_ne_u32_e32 vcc, 0, v4
	v_cndmask_b32_e32 v4, 0, v5, vcc
	s_brev_b32 s0, 1
	v_and_or_b32 v3, v3, s0, v4
.LBB15_631:
	s_mov_b64 s[0:1], 0
.LBB15_632:
	s_andn2_b64 vcc, exec, s[0:1]
	s_cbranch_vccnz .LBB15_634
; %bb.633:
	global_load_ubyte v3, v[1:2], off
	s_movk_i32 s0, 0x7f00
	s_brev_b32 s1, 16
	s_waitcnt vmcnt(0)
	v_lshlrev_b16_e32 v4, 8, v3
	v_lshlrev_b32_e32 v3, 25, v3
	v_lshrrev_b32_e32 v5, 4, v3
	v_and_or_b32 v6, v4, s0, 0.5
	v_or_b32_e32 v5, 0x70000000, v5
	v_add_f32_e32 v6, -0.5, v6
	v_mul_f32_e32 v5, 0x7800000, v5
	v_cmp_gt_u32_e32 vcc, s1, v3
	v_bfe_i32 v4, v4, 0, 16
	v_cndmask_b32_e32 v3, v5, v6, vcc
	s_brev_b32 s0, 1
	v_and_or_b32 v3, v4, s0, v3
.LBB15_634:
	s_mov_b64 s[2:3], 0
	s_mov_b64 s[0:1], -1
.LBB15_635:
	s_andn2_b64 vcc, exec, s[2:3]
	s_cbranch_vccnz .LBB15_648
; %bb.636:
	s_cmp_gt_i32 s10, 14
	s_cbranch_scc0 .LBB15_639
; %bb.637:
	s_cmp_eq_u32 s10, 15
	s_cbranch_scc0 .LBB15_642
; %bb.638:
	global_load_ushort v3, v[1:2], off
	s_mov_b64 s[0:1], -1
	s_mov_b64 s[8:9], 0
	s_waitcnt vmcnt(0)
	v_lshlrev_b32_e32 v3, 16, v3
	s_branch .LBB15_643
.LBB15_639:
	s_mov_b64 s[2:3], -1
                                        ; implicit-def: $vgpr3
	s_branch .LBB15_644
.LBB15_640:
	s_or_saveexec_b64 s[2:3], s[2:3]
	v_mov_b32_e32 v3, 0x7f800001
	s_xor_b64 exec, exec, s[2:3]
	s_cbranch_execz .LBB15_621
.LBB15_641:
	v_cmp_ne_u16_e32 vcc, 0, v4
	s_andn2_b64 s[0:1], s[0:1], exec
	s_and_b64 s[6:7], vcc, exec
	v_mov_b32_e32 v3, 0
	s_or_b64 s[0:1], s[0:1], s[6:7]
	s_or_b64 exec, exec, s[2:3]
	s_and_saveexec_b64 s[2:3], s[0:1]
	s_cbranch_execnz .LBB15_622
	s_branch .LBB15_623
.LBB15_642:
	s_mov_b64 s[8:9], -1
                                        ; implicit-def: $vgpr3
.LBB15_643:
	s_mov_b64 s[2:3], 0
.LBB15_644:
	s_and_b64 vcc, exec, s[2:3]
	s_cbranch_vccz .LBB15_648
; %bb.645:
	s_cmp_eq_u32 s10, 11
	s_cbranch_scc0 .LBB15_647
; %bb.646:
	global_load_ubyte v3, v[1:2], off
	s_mov_b64 s[0:1], -1
	s_mov_b64 s[8:9], 0
	s_waitcnt vmcnt(0)
	v_cmp_ne_u16_e32 vcc, 0, v3
	v_cndmask_b32_e64 v3, 0, 1.0, vcc
	s_branch .LBB15_648
.LBB15_647:
	s_mov_b64 s[8:9], -1
                                        ; implicit-def: $vgpr3
.LBB15_648:
	s_mov_b64 s[2:3], 0
.LBB15_649:
	s_and_b64 vcc, exec, s[2:3]
	s_cbranch_vccz .LBB15_698
; %bb.650:
	s_cmp_lt_i32 s10, 5
	s_cbranch_scc1 .LBB15_655
; %bb.651:
	s_cmp_lt_i32 s10, 8
	s_cbranch_scc1 .LBB15_656
	;; [unrolled: 3-line block ×3, first 2 shown]
; %bb.653:
	s_cmp_gt_i32 s10, 9
	s_cbranch_scc0 .LBB15_658
; %bb.654:
	global_load_dwordx2 v[3:4], v[1:2], off
	s_mov_b64 s[0:1], 0
	s_waitcnt vmcnt(0)
	v_cvt_f32_f64_e32 v3, v[3:4]
	s_branch .LBB15_659
.LBB15_655:
	s_mov_b64 s[0:1], -1
                                        ; implicit-def: $vgpr3
	s_branch .LBB15_677
.LBB15_656:
	s_mov_b64 s[0:1], -1
                                        ; implicit-def: $vgpr3
	s_branch .LBB15_665
.LBB15_657:
	s_mov_b64 s[0:1], -1
                                        ; implicit-def: $vgpr3
	s_branch .LBB15_662
.LBB15_658:
	s_mov_b64 s[0:1], -1
                                        ; implicit-def: $vgpr3
.LBB15_659:
	s_andn2_b64 vcc, exec, s[0:1]
	s_cbranch_vccnz .LBB15_661
; %bb.660:
	global_load_dword v3, v[1:2], off
.LBB15_661:
	s_mov_b64 s[0:1], 0
.LBB15_662:
	s_andn2_b64 vcc, exec, s[0:1]
	s_cbranch_vccnz .LBB15_664
; %bb.663:
	global_load_dword v3, v[1:2], off
	s_waitcnt vmcnt(0)
	v_cvt_f32_f16_e32 v3, v3
.LBB15_664:
	s_mov_b64 s[0:1], 0
.LBB15_665:
	s_andn2_b64 vcc, exec, s[0:1]
	s_cbranch_vccnz .LBB15_676
; %bb.666:
	s_cmp_lt_i32 s10, 6
	s_cbranch_scc1 .LBB15_669
; %bb.667:
	s_cmp_gt_i32 s10, 6
	s_cbranch_scc0 .LBB15_670
; %bb.668:
	global_load_dwordx2 v[3:4], v[1:2], off
	s_mov_b64 s[0:1], 0
	s_waitcnt vmcnt(0)
	v_cvt_f32_f64_e32 v3, v[3:4]
	s_branch .LBB15_671
.LBB15_669:
	s_mov_b64 s[0:1], -1
                                        ; implicit-def: $vgpr3
	s_branch .LBB15_674
.LBB15_670:
	s_mov_b64 s[0:1], -1
                                        ; implicit-def: $vgpr3
.LBB15_671:
	s_andn2_b64 vcc, exec, s[0:1]
	s_cbranch_vccnz .LBB15_673
; %bb.672:
	global_load_dword v3, v[1:2], off
.LBB15_673:
	s_mov_b64 s[0:1], 0
.LBB15_674:
	s_andn2_b64 vcc, exec, s[0:1]
	s_cbranch_vccnz .LBB15_676
; %bb.675:
	global_load_ushort v3, v[1:2], off
	s_waitcnt vmcnt(0)
	v_cvt_f32_f16_e32 v3, v3
.LBB15_676:
	s_mov_b64 s[0:1], 0
.LBB15_677:
	s_andn2_b64 vcc, exec, s[0:1]
	s_cbranch_vccnz .LBB15_697
; %bb.678:
	s_cmp_lt_i32 s10, 2
	s_cbranch_scc1 .LBB15_682
; %bb.679:
	s_cmp_lt_i32 s10, 3
	s_cbranch_scc1 .LBB15_683
; %bb.680:
	s_cmp_gt_i32 s10, 3
	s_cbranch_scc0 .LBB15_684
; %bb.681:
	global_load_dwordx2 v[3:4], v[1:2], off
	s_mov_b64 s[0:1], 0
	s_waitcnt vmcnt(0)
	v_xor_b32_e32 v6, v3, v4
	v_ffbh_i32_e32 v5, v4
	v_ashrrev_i32_e32 v6, 31, v6
	v_add_u32_e32 v5, -1, v5
	v_add_u32_e32 v6, 32, v6
	v_min_u32_e32 v5, v5, v6
	v_lshlrev_b64 v[3:4], v5, v[3:4]
	v_min_u32_e32 v3, 1, v3
	v_or_b32_e32 v3, v4, v3
	v_cvt_f32_i32_e32 v3, v3
	v_sub_u32_e32 v4, 32, v5
	v_ldexp_f32 v3, v3, v4
	s_branch .LBB15_685
.LBB15_682:
	s_mov_b64 s[0:1], -1
                                        ; implicit-def: $vgpr3
	s_branch .LBB15_691
.LBB15_683:
	s_mov_b64 s[0:1], -1
                                        ; implicit-def: $vgpr3
	s_branch .LBB15_688
.LBB15_684:
	s_mov_b64 s[0:1], -1
                                        ; implicit-def: $vgpr3
.LBB15_685:
	s_andn2_b64 vcc, exec, s[0:1]
	s_cbranch_vccnz .LBB15_687
; %bb.686:
	global_load_dword v3, v[1:2], off
	s_waitcnt vmcnt(0)
	v_cvt_f32_i32_e32 v3, v3
.LBB15_687:
	s_mov_b64 s[0:1], 0
.LBB15_688:
	s_andn2_b64 vcc, exec, s[0:1]
	s_cbranch_vccnz .LBB15_690
; %bb.689:
	global_load_sshort v3, v[1:2], off
	s_waitcnt vmcnt(0)
	v_cvt_f32_i32_e32 v3, v3
.LBB15_690:
	s_mov_b64 s[0:1], 0
.LBB15_691:
	s_andn2_b64 vcc, exec, s[0:1]
	s_cbranch_vccnz .LBB15_697
; %bb.692:
	s_cmp_gt_i32 s10, 0
	s_cbranch_scc0 .LBB15_694
; %bb.693:
	global_load_sbyte v3, v[1:2], off
	s_mov_b64 s[0:1], 0
	s_waitcnt vmcnt(0)
	v_cvt_f32_i32_e32 v3, v3
	s_branch .LBB15_695
.LBB15_694:
	s_mov_b64 s[0:1], -1
                                        ; implicit-def: $vgpr3
.LBB15_695:
	s_andn2_b64 vcc, exec, s[0:1]
	s_cbranch_vccnz .LBB15_697
; %bb.696:
	global_load_ubyte v1, v[1:2], off
	s_waitcnt vmcnt(0)
	v_cvt_f32_ubyte0_e32 v3, v1
.LBB15_697:
	s_mov_b64 s[0:1], -1
.LBB15_698:
	s_andn2_b64 vcc, exec, s[0:1]
	s_cbranch_vccnz .LBB15_710
; %bb.699:
	s_brev_b32 s0, 18
	s_waitcnt vmcnt(0)
	v_and_b32_e32 v1, 0x7fffffff, v3
	v_cmp_nlt_f32_e64 s[0:1], |v3|, s0
                                        ; implicit-def: $vgpr2
                                        ; implicit-def: $vgpr4
	s_and_saveexec_b64 s[2:3], s[0:1]
	s_xor_b64 s[10:11], exec, s[2:3]
	s_cbranch_execz .LBB15_701
; %bb.700:
	v_and_b32_e32 v2, 0x7fffff, v1
	v_or_b32_e32 v2, 0x800000, v2
	s_mov_b32 s0, 0xfe5163ab
	v_mad_u64_u32 v[4:5], s[0:1], v2, s0, 0
	v_mov_b32_e32 v6, 0
	s_mov_b32 s0, 0x3c439041
	v_mad_u64_u32 v[9:10], s[0:1], v2, s0, v[5:6]
	s_mov_b32 s0, 0xdb629599
	v_not_b32_e32 v7, 63
	v_mov_b32_e32 v5, v10
	v_mad_u64_u32 v[10:11], s[0:1], v2, s0, v[5:6]
	s_mov_b32 s0, 0xf534ddc0
	v_not_b32_e32 v15, 31
	v_mov_b32_e32 v5, v11
	v_mad_u64_u32 v[11:12], s[0:1], v2, s0, v[5:6]
	v_lshrrev_b32_e32 v5, 23, v1
	v_add_u32_e32 v14, 0xffffff88, v5
	v_mov_b32_e32 v5, v12
	s_mov_b32 s0, 0xfc2757d1
	v_mad_u64_u32 v[12:13], s[0:1], v2, s0, v[5:6]
	v_cmp_lt_u32_e32 vcc, 63, v14
	v_cndmask_b32_e32 v5, 0, v7, vcc
	v_add_u32_e32 v7, v5, v14
	v_mov_b32_e32 v5, v13
	s_mov_b32 s0, 0x4e441529
	v_mad_u64_u32 v[13:14], s[0:1], v2, s0, v[5:6]
	v_cmp_lt_u32_e64 s[0:1], 31, v7
	v_cndmask_b32_e64 v5, 0, v15, s[0:1]
	v_add_u32_e32 v7, v5, v7
	v_mov_b32_e32 v5, v14
	s_mov_b32 s2, 0xa2f9836e
	v_mad_u64_u32 v[5:6], s[2:3], v2, s2, v[5:6]
	v_cmp_lt_u32_e64 s[2:3], 31, v7
	v_cndmask_b32_e64 v2, 0, v15, s[2:3]
	v_add_u32_e32 v2, v2, v7
	v_cndmask_b32_e32 v7, v13, v11, vcc
	v_cndmask_b32_e32 v5, v5, v12, vcc
	;; [unrolled: 1-line block ×3, first 2 shown]
	v_cndmask_b32_e64 v14, v5, v7, s[0:1]
	v_cndmask_b32_e64 v5, v6, v5, s[0:1]
	v_cndmask_b32_e32 v6, v12, v10, vcc
	v_cndmask_b32_e64 v7, v7, v6, s[0:1]
	v_cndmask_b32_e64 v5, v5, v14, s[2:3]
	;; [unrolled: 1-line block ×3, first 2 shown]
	v_sub_u32_e32 v13, 32, v2
	v_alignbit_b32 v14, v5, v12, v13
	v_cmp_eq_u32_e64 s[6:7], 0, v2
	v_cndmask_b32_e64 v2, v14, v5, s[6:7]
	v_cndmask_b32_e32 v5, v11, v9, vcc
	v_cndmask_b32_e64 v6, v6, v5, s[0:1]
	v_cndmask_b32_e64 v7, v7, v6, s[2:3]
	v_alignbit_b32 v9, v12, v7, v13
	v_cndmask_b32_e32 v4, v10, v4, vcc
	v_cndmask_b32_e64 v9, v9, v12, s[6:7]
	v_bfe_u32 v14, v2, 29, 1
	v_cndmask_b32_e64 v4, v5, v4, s[0:1]
	v_alignbit_b32 v11, v2, v9, 30
	v_sub_u32_e32 v15, 0, v14
	v_cndmask_b32_e64 v4, v6, v4, s[2:3]
	v_xor_b32_e32 v11, v11, v15
	v_alignbit_b32 v5, v7, v4, v13
	v_cndmask_b32_e64 v5, v5, v7, s[6:7]
	v_ffbh_u32_e32 v7, v11
	v_alignbit_b32 v6, v9, v5, 30
	v_min_u32_e32 v7, 32, v7
	v_alignbit_b32 v4, v5, v4, 30
	v_xor_b32_e32 v6, v6, v15
	v_sub_u32_e32 v9, 31, v7
	v_xor_b32_e32 v4, v4, v15
	v_alignbit_b32 v10, v11, v6, v9
	v_alignbit_b32 v4, v6, v4, v9
	;; [unrolled: 1-line block ×3, first 2 shown]
	v_ffbh_u32_e32 v6, v5
	v_min_u32_e32 v6, 32, v6
	v_lshrrev_b32_e32 v12, 29, v2
	v_not_b32_e32 v9, v6
	v_alignbit_b32 v4, v5, v4, v9
	v_lshlrev_b32_e32 v5, 31, v12
	v_or_b32_e32 v9, 0x33000000, v5
	v_add_lshl_u32 v6, v6, v7, 23
	v_lshrrev_b32_e32 v4, 9, v4
	v_sub_u32_e32 v6, v9, v6
	v_or_b32_e32 v5, 0.5, v5
	v_lshlrev_b32_e32 v7, 23, v7
	v_or_b32_e32 v4, v6, v4
	v_lshrrev_b32_e32 v6, 9, v10
	v_sub_u32_e32 v5, v5, v7
	v_or_b32_e32 v5, v6, v5
	s_mov_b32 s0, 0x3fc90fda
	v_mul_f32_e32 v6, 0x3fc90fda, v5
	v_fma_f32 v7, v5, s0, -v6
	v_fmac_f32_e32 v7, 0x33a22168, v5
	v_fmac_f32_e32 v7, 0x3fc90fda, v4
	v_lshrrev_b32_e32 v2, 30, v2
	v_add_f32_e32 v4, v6, v7
	v_add_u32_e32 v2, v14, v2
.LBB15_701:
	s_andn2_saveexec_b64 s[0:1], s[10:11]
	s_cbranch_execz .LBB15_703
; %bb.702:
	s_mov_b32 s2, 0x3f22f983
	v_mul_f32_e64 v2, |v3|, s2
	v_rndne_f32_e32 v5, v2
	s_mov_b32 s2, 0xbfc90fda
	v_cvt_i32_f32_e32 v2, v5
	v_fma_f32 v4, v5, s2, |v3|
	v_fmac_f32_e32 v4, 0xb3a22168, v5
	v_fmac_f32_e32 v4, 0xa7c234c4, v5
.LBB15_703:
	s_or_b64 exec, exec, s[0:1]
	v_mul_f32_e32 v5, v4, v4
	v_mov_b32_e32 v6, 0x3c0881c4
	v_fmac_f32_e32 v6, 0xb94c1982, v5
	v_mov_b32_e32 v7, 0xbe2aaa9d
	v_fmac_f32_e32 v7, v5, v6
	v_mul_f32_e32 v6, v5, v7
	v_fmac_f32_e32 v4, v4, v6
	v_mov_b32_e32 v6, 0xbab64f3b
	v_fmac_f32_e32 v6, 0x37d75334, v5
	v_mov_b32_e32 v7, 0x3d2aabf7
	;; [unrolled: 2-line block ×3, first 2 shown]
	v_fmac_f32_e32 v6, v5, v7
	v_fma_f32 v5, v5, v6, 1.0
	v_and_b32_e32 v6, 1, v2
	v_lshlrev_b32_e32 v2, 30, v2
	v_cmp_eq_u32_e32 vcc, 0, v6
	v_and_b32_e32 v2, 0x80000000, v2
	v_xor_b32_e32 v1, v1, v3
	v_cndmask_b32_e32 v4, v5, v4, vcc
	v_xor_b32_e32 v1, v1, v2
	s_movk_i32 s0, 0x1f8
	v_xor_b32_e32 v1, v1, v4
	v_mov_b32_e32 v2, 0x7fc00000
	v_cmp_class_f32_e64 vcc, v3, s0
	v_cndmask_b32_e32 v2, v2, v1, vcc
	v_mov_b32_e32 v1, s25
	s_and_b32 s12, s73, 0xff
	v_add_co_u32_e32 v0, vcc, s24, v0
	s_cmp_lt_i32 s12, 11
	v_addc_co_u32_e32 v1, vcc, 0, v1, vcc
	s_cbranch_scc1 .LBB15_711
; %bb.704:
	s_and_b32 s13, 0xffff, s12
	s_cmp_gt_i32 s13, 25
	s_cbranch_scc0 .LBB15_712
; %bb.705:
	s_cmp_gt_i32 s13, 28
	s_cbranch_scc0 .LBB15_713
; %bb.706:
	;; [unrolled: 3-line block ×4, first 2 shown]
	s_mov_b64 s[6:7], 0
	s_mov_b64 s[0:1], -1
	s_cmp_eq_u32 s13, 46
	s_mov_b64 s[2:3], 0
	s_cbranch_scc0 .LBB15_716
; %bb.709:
	v_bfe_u32 v3, v2, 16, 1
	s_movk_i32 s0, 0x7fff
	v_add3_u32 v3, v2, v3, s0
	v_cmp_o_f32_e32 vcc, v2, v2
	v_mov_b32_e32 v4, 0x7fc0
	v_cndmask_b32_sdwa v3, v4, v3, vcc dst_sel:DWORD dst_unused:UNUSED_PAD src0_sel:DWORD src1_sel:WORD_1
	global_store_dword v[0:1], v3, off
	s_mov_b64 s[2:3], -1
	s_mov_b64 s[0:1], 0
	s_branch .LBB15_716
.LBB15_710:
	s_mov_b64 s[2:3], 0
	s_mov_b64 s[0:1], s[62:63]
	s_branch .LBB15_827
.LBB15_711:
	s_mov_b64 s[6:7], -1
	s_mov_b64 s[2:3], 0
	s_mov_b64 s[0:1], s[62:63]
	s_branch .LBB15_785
.LBB15_712:
	s_mov_b64 s[6:7], -1
	s_mov_b64 s[2:3], 0
	s_mov_b64 s[0:1], s[62:63]
	s_branch .LBB15_743
.LBB15_713:
	s_mov_b64 s[6:7], -1
	s_mov_b64 s[2:3], 0
	s_mov_b64 s[0:1], s[62:63]
	s_branch .LBB15_726
.LBB15_714:
	s_mov_b64 s[6:7], -1
	s_mov_b64 s[2:3], 0
	s_mov_b64 s[0:1], s[62:63]
	s_branch .LBB15_722
.LBB15_715:
	s_mov_b64 s[6:7], -1
	s_mov_b64 s[2:3], 0
	s_mov_b64 s[0:1], s[62:63]
.LBB15_716:
	s_and_b64 vcc, exec, s[6:7]
	s_cbranch_vccz .LBB15_721
; %bb.717:
	s_cmp_eq_u32 s13, 44
	s_mov_b64 s[0:1], -1
	s_cbranch_scc0 .LBB15_721
; %bb.718:
	v_bfe_u32 v3, v2, 23, 8
	s_movk_i32 s0, 0xff
	v_cmp_ne_u32_e32 vcc, s0, v3
	v_mov_b32_e32 v4, 0xff
	s_and_saveexec_b64 s[2:3], vcc
; %bb.719:
	s_mov_b32 s0, 0x3fffff
	v_and_b32_e32 v5, 0x400000, v2
	v_and_or_b32 v3, v2, s0, v3
	v_cmp_ne_u32_e32 vcc, 0, v5
	v_cmp_ne_u32_e64 s[0:1], 0, v3
	s_and_b64 s[0:1], vcc, s[0:1]
	v_lshrrev_b32_e32 v4, 23, v2
	v_cndmask_b32_e64 v3, 0, 1, s[0:1]
	v_add_u32_e32 v4, v4, v3
; %bb.720:
	s_or_b64 exec, exec, s[2:3]
	s_mov_b64 s[2:3], -1
	s_mov_b64 s[0:1], 0
	global_store_byte v[0:1], v4, off
.LBB15_721:
	s_mov_b64 s[6:7], 0
.LBB15_722:
	s_and_b64 vcc, exec, s[6:7]
	s_cbranch_vccz .LBB15_725
; %bb.723:
	s_cmp_eq_u32 s13, 29
	s_mov_b64 s[0:1], -1
	s_cbranch_scc0 .LBB15_725
; %bb.724:
	v_trunc_f32_e32 v3, v2
	v_mul_f32_e32 v4, 0x2f800000, v3
	v_floor_f32_e32 v5, v4
	v_fmac_f32_e32 v3, 0xcf800000, v5
	v_cvt_u32_f32_e32 v4, v5
	v_cvt_u32_f32_e32 v3, v3
	s_mov_b64 s[2:3], -1
	s_mov_b64 s[0:1], 0
	s_mov_b64 s[6:7], 0
	global_store_dwordx2 v[0:1], v[3:4], off
	s_branch .LBB15_726
.LBB15_725:
	s_mov_b64 s[6:7], 0
.LBB15_726:
	s_and_b64 vcc, exec, s[6:7]
	s_cbranch_vccz .LBB15_742
; %bb.727:
	s_cmp_lt_i32 s13, 27
	s_mov_b64 s[2:3], -1
	s_cbranch_scc1 .LBB15_733
; %bb.728:
	v_cvt_u32_f32_e32 v3, v2
	s_cmp_gt_i32 s13, 27
	s_cbranch_scc0 .LBB15_730
; %bb.729:
	s_mov_b64 s[2:3], 0
	global_store_dword v[0:1], v3, off
.LBB15_730:
	s_andn2_b64 vcc, exec, s[2:3]
	s_cbranch_vccnz .LBB15_732
; %bb.731:
	global_store_short v[0:1], v3, off
.LBB15_732:
	s_mov_b64 s[2:3], 0
.LBB15_733:
	s_andn2_b64 vcc, exec, s[2:3]
	s_cbranch_vccnz .LBB15_741
; %bb.734:
	v_and_b32_e32 v3, 0x7fffffff, v2
	s_mov_b32 s2, 0x43800000
	v_cmp_gt_u32_e32 vcc, s2, v3
	v_mov_b32_e32 v4, 0x80
	s_and_saveexec_b64 s[2:3], vcc
	s_cbranch_execz .LBB15_740
; %bb.735:
	s_mov_b32 s6, 0x3bffffff
	v_cmp_lt_u32_e32 vcc, s6, v3
	s_mov_b64 s[6:7], 0
                                        ; implicit-def: $vgpr3
	s_and_saveexec_b64 s[10:11], vcc
	s_xor_b64 s[10:11], exec, s[10:11]
	s_cbranch_execz .LBB15_857
; %bb.736:
	v_bfe_u32 v3, v2, 20, 1
	s_mov_b32 s14, 0x487ffff
	v_add3_u32 v3, v2, v3, s14
	s_mov_b64 s[6:7], exec
	v_lshrrev_b32_e32 v3, 20, v3
	s_andn2_saveexec_b64 s[10:11], s[10:11]
	s_cbranch_execnz .LBB15_858
.LBB15_737:
	s_or_b64 exec, exec, s[10:11]
	v_mov_b32_e32 v4, 0
	s_and_saveexec_b64 s[10:11], s[6:7]
.LBB15_738:
	v_lshrrev_b32_e32 v4, 24, v2
	s_movk_i32 s6, 0x80
	v_and_or_b32 v4, v4, s6, v3
.LBB15_739:
	s_or_b64 exec, exec, s[10:11]
.LBB15_740:
	s_or_b64 exec, exec, s[2:3]
	global_store_byte v[0:1], v4, off
.LBB15_741:
	s_mov_b64 s[2:3], -1
.LBB15_742:
	s_mov_b64 s[6:7], 0
.LBB15_743:
	s_and_b64 vcc, exec, s[6:7]
	s_cbranch_vccz .LBB15_784
; %bb.744:
	s_cmp_gt_i32 s13, 22
	s_mov_b64 s[6:7], -1
	s_cbranch_scc0 .LBB15_776
; %bb.745:
	s_cmp_lt_i32 s13, 24
	s_mov_b64 s[2:3], -1
	s_cbranch_scc1 .LBB15_765
; %bb.746:
	s_cmp_gt_i32 s13, 24
	s_cbranch_scc0 .LBB15_754
; %bb.747:
	v_and_b32_e32 v3, 0x7fffffff, v2
	s_mov_b32 s2, 0x47800000
	v_cmp_gt_u32_e32 vcc, s2, v3
	v_mov_b32_e32 v4, 0x80
	s_and_saveexec_b64 s[2:3], vcc
	s_cbranch_execz .LBB15_753
; %bb.748:
	s_mov_b32 s6, 0x37ffffff
	v_cmp_lt_u32_e32 vcc, s6, v3
	s_mov_b64 s[6:7], 0
                                        ; implicit-def: $vgpr3
	s_and_saveexec_b64 s[10:11], vcc
	s_xor_b64 s[10:11], exec, s[10:11]
	s_cbranch_execz .LBB15_860
; %bb.749:
	v_bfe_u32 v3, v2, 21, 1
	s_mov_b32 s14, 0x88fffff
	v_add3_u32 v3, v2, v3, s14
	s_mov_b64 s[6:7], exec
	v_lshrrev_b32_e32 v3, 21, v3
	s_andn2_saveexec_b64 s[10:11], s[10:11]
	s_cbranch_execnz .LBB15_861
.LBB15_750:
	s_or_b64 exec, exec, s[10:11]
	v_mov_b32_e32 v4, 0
	s_and_saveexec_b64 s[10:11], s[6:7]
.LBB15_751:
	v_lshrrev_b32_e32 v4, 24, v2
	s_movk_i32 s6, 0x80
	v_and_or_b32 v4, v4, s6, v3
.LBB15_752:
	s_or_b64 exec, exec, s[10:11]
.LBB15_753:
	s_or_b64 exec, exec, s[2:3]
	s_mov_b64 s[2:3], 0
	global_store_byte v[0:1], v4, off
.LBB15_754:
	s_and_b64 vcc, exec, s[2:3]
	s_cbranch_vccz .LBB15_764
; %bb.755:
	v_and_b32_e32 v4, 0x7fffffff, v2
	s_mov_b32 s2, 0x43f00000
	v_cmp_gt_u32_e32 vcc, s2, v4
                                        ; implicit-def: $vgpr3
	s_and_saveexec_b64 s[2:3], vcc
	s_xor_b64 s[2:3], exec, s[2:3]
	s_cbranch_execz .LBB15_761
; %bb.756:
	s_mov_b32 s6, 0x3c7fffff
	v_cmp_lt_u32_e32 vcc, s6, v4
                                        ; implicit-def: $vgpr3
	s_and_saveexec_b64 s[6:7], vcc
	s_xor_b64 s[6:7], exec, s[6:7]
; %bb.757:
	v_bfe_u32 v3, v2, 20, 1
	s_mov_b32 s10, 0x407ffff
	v_add3_u32 v3, v2, v3, s10
	v_lshrrev_b32_e32 v4, 20, v3
	v_and_b32_e32 v3, 0xff00000, v3
	s_mov_b32 s10, 0x7f00000
	v_mov_b32_e32 v5, 0x7e
	v_cmp_ne_u32_e32 vcc, s10, v3
	v_cndmask_b32_e32 v3, v5, v4, vcc
; %bb.758:
	s_andn2_saveexec_b64 s[6:7], s[6:7]
; %bb.759:
	s_mov_b32 s10, 0x46800000
	v_add_f32_e64 v3, |v2|, s10
; %bb.760:
	s_or_b64 exec, exec, s[6:7]
                                        ; implicit-def: $vgpr4
.LBB15_761:
	s_andn2_saveexec_b64 s[2:3], s[2:3]
; %bb.762:
	s_mov_b32 s6, 0x7f800000
	v_mov_b32_e32 v3, 0x7e
	v_mov_b32_e32 v5, 0x7f
	v_cmp_lt_u32_e32 vcc, s6, v4
	v_cndmask_b32_e32 v3, v3, v5, vcc
; %bb.763:
	s_or_b64 exec, exec, s[2:3]
	v_lshrrev_b32_e32 v4, 24, v2
	s_movk_i32 s2, 0x80
	v_and_or_b32 v3, v4, s2, v3
	global_store_byte v[0:1], v3, off
.LBB15_764:
	s_mov_b64 s[2:3], 0
.LBB15_765:
	s_andn2_b64 vcc, exec, s[2:3]
	s_cbranch_vccnz .LBB15_775
; %bb.766:
	v_and_b32_e32 v4, 0x7fffffff, v2
	s_mov_b32 s2, 0x47800000
	v_cmp_gt_u32_e32 vcc, s2, v4
                                        ; implicit-def: $vgpr3
	s_and_saveexec_b64 s[2:3], vcc
	s_xor_b64 s[2:3], exec, s[2:3]
	s_cbranch_execz .LBB15_772
; %bb.767:
	s_mov_b32 s6, 0x387fffff
	v_cmp_lt_u32_e32 vcc, s6, v4
                                        ; implicit-def: $vgpr3
	s_and_saveexec_b64 s[6:7], vcc
	s_xor_b64 s[6:7], exec, s[6:7]
; %bb.768:
	v_bfe_u32 v3, v2, 21, 1
	s_mov_b32 s10, 0x80fffff
	v_add3_u32 v3, v2, v3, s10
	v_lshrrev_b32_e32 v3, 21, v3
; %bb.769:
	s_andn2_saveexec_b64 s[6:7], s[6:7]
; %bb.770:
	s_mov_b32 s10, 0x43000000
	v_add_f32_e64 v3, |v2|, s10
; %bb.771:
	s_or_b64 exec, exec, s[6:7]
                                        ; implicit-def: $vgpr4
.LBB15_772:
	s_andn2_saveexec_b64 s[2:3], s[2:3]
; %bb.773:
	s_mov_b32 s6, 0x7f800000
	v_mov_b32_e32 v3, 0x7c
	v_mov_b32_e32 v5, 0x7f
	v_cmp_lt_u32_e32 vcc, s6, v4
	v_cndmask_b32_e32 v3, v3, v5, vcc
; %bb.774:
	s_or_b64 exec, exec, s[2:3]
	v_lshrrev_b32_e32 v4, 24, v2
	s_movk_i32 s2, 0x80
	v_and_or_b32 v3, v4, s2, v3
	global_store_byte v[0:1], v3, off
.LBB15_775:
	s_mov_b64 s[6:7], 0
	s_mov_b64 s[2:3], -1
.LBB15_776:
	s_andn2_b64 vcc, exec, s[6:7]
	s_cbranch_vccnz .LBB15_784
; %bb.777:
	s_cmp_gt_i32 s13, 14
	s_mov_b64 s[6:7], -1
	s_cbranch_scc0 .LBB15_781
; %bb.778:
	s_cmp_eq_u32 s13, 15
	s_mov_b64 s[0:1], -1
	s_cbranch_scc0 .LBB15_780
; %bb.779:
	v_bfe_u32 v3, v2, 16, 1
	s_movk_i32 s0, 0x7fff
	v_add3_u32 v3, v2, v3, s0
	v_cmp_o_f32_e32 vcc, v2, v2
	v_mov_b32_e32 v4, 0x7fc0
	v_cndmask_b32_sdwa v3, v4, v3, vcc dst_sel:DWORD dst_unused:UNUSED_PAD src0_sel:DWORD src1_sel:WORD_1
	global_store_short v[0:1], v3, off
	s_mov_b64 s[2:3], -1
	s_mov_b64 s[0:1], 0
.LBB15_780:
	s_mov_b64 s[6:7], 0
.LBB15_781:
	s_and_b64 vcc, exec, s[6:7]
	s_cbranch_vccz .LBB15_784
; %bb.782:
	s_cmp_eq_u32 s13, 11
	s_mov_b64 s[0:1], -1
	s_cbranch_scc0 .LBB15_784
; %bb.783:
	v_cmp_neq_f32_e32 vcc, 0, v2
	v_cndmask_b32_e64 v3, 0, 1, vcc
	s_mov_b64 s[2:3], -1
	s_mov_b64 s[0:1], 0
	global_store_byte v[0:1], v3, off
.LBB15_784:
	s_mov_b64 s[6:7], 0
.LBB15_785:
	s_and_b64 vcc, exec, s[6:7]
	s_cbranch_vccz .LBB15_824
; %bb.786:
	s_and_b32 s6, 0xffff, s12
	s_cmp_lt_i32 s6, 5
	s_mov_b64 s[2:3], -1
	s_cbranch_scc1 .LBB15_807
; %bb.787:
	s_cmp_lt_i32 s6, 8
	s_cbranch_scc1 .LBB15_797
; %bb.788:
	s_cmp_lt_i32 s6, 9
	s_cbranch_scc1 .LBB15_794
; %bb.789:
	s_cmp_gt_i32 s6, 9
	s_cbranch_scc0 .LBB15_791
; %bb.790:
	v_cvt_f64_f32_e32 v[3:4], v2
	v_mov_b32_e32 v5, 0
	v_mov_b32_e32 v6, v5
	s_mov_b64 s[2:3], 0
	global_store_dwordx4 v[0:1], v[3:6], off
.LBB15_791:
	s_andn2_b64 vcc, exec, s[2:3]
	s_cbranch_vccnz .LBB15_793
; %bb.792:
	v_mov_b32_e32 v3, 0
	global_store_dwordx2 v[0:1], v[2:3], off
.LBB15_793:
	s_mov_b64 s[2:3], 0
.LBB15_794:
	s_andn2_b64 vcc, exec, s[2:3]
	s_cbranch_vccnz .LBB15_796
; %bb.795:
	v_cvt_f16_f32_e32 v3, v2
	global_store_dword v[0:1], v3, off
.LBB15_796:
	s_mov_b64 s[2:3], 0
.LBB15_797:
	s_andn2_b64 vcc, exec, s[2:3]
	s_cbranch_vccnz .LBB15_806
; %bb.798:
	s_cmp_lt_i32 s6, 6
	s_mov_b64 s[2:3], -1
	s_cbranch_scc1 .LBB15_804
; %bb.799:
	s_cmp_gt_i32 s6, 6
	s_cbranch_scc0 .LBB15_801
; %bb.800:
	v_cvt_f64_f32_e32 v[3:4], v2
	s_mov_b64 s[2:3], 0
	global_store_dwordx2 v[0:1], v[3:4], off
.LBB15_801:
	s_andn2_b64 vcc, exec, s[2:3]
	s_cbranch_vccnz .LBB15_803
; %bb.802:
	global_store_dword v[0:1], v2, off
.LBB15_803:
	s_mov_b64 s[2:3], 0
.LBB15_804:
	s_andn2_b64 vcc, exec, s[2:3]
	s_cbranch_vccnz .LBB15_806
; %bb.805:
	v_cvt_f16_f32_e32 v3, v2
	global_store_short v[0:1], v3, off
.LBB15_806:
	s_mov_b64 s[2:3], 0
.LBB15_807:
	s_andn2_b64 vcc, exec, s[2:3]
	s_cbranch_vccnz .LBB15_823
; %bb.808:
	s_cmp_lt_i32 s6, 2
	s_mov_b64 s[2:3], -1
	s_cbranch_scc1 .LBB15_818
; %bb.809:
	s_cmp_lt_i32 s6, 3
	s_cbranch_scc1 .LBB15_815
; %bb.810:
	s_cmp_gt_i32 s6, 3
	s_cbranch_scc0 .LBB15_812
; %bb.811:
	v_trunc_f32_e32 v3, v2
	s_mov_b32 s2, 0x2f800000
	v_mul_f32_e64 v4, |v3|, s2
	v_floor_f32_e32 v4, v4
	s_mov_b32 s2, 0xcf800000
	v_cvt_u32_f32_e32 v5, v4
	v_fma_f32 v4, v4, s2, |v3|
	v_cvt_u32_f32_e32 v4, v4
	v_ashrrev_i32_e32 v6, 31, v3
	v_xor_b32_e32 v5, v5, v6
	s_mov_b64 s[2:3], 0
	v_xor_b32_e32 v3, v4, v6
	v_sub_co_u32_e32 v3, vcc, v3, v6
	v_subb_co_u32_e32 v4, vcc, v5, v6, vcc
	global_store_dwordx2 v[0:1], v[3:4], off
.LBB15_812:
	s_andn2_b64 vcc, exec, s[2:3]
	s_cbranch_vccnz .LBB15_814
; %bb.813:
	v_cvt_i32_f32_e32 v3, v2
	global_store_dword v[0:1], v3, off
.LBB15_814:
	s_mov_b64 s[2:3], 0
.LBB15_815:
	s_andn2_b64 vcc, exec, s[2:3]
	s_cbranch_vccnz .LBB15_817
; %bb.816:
	v_cvt_i32_f32_e32 v3, v2
	global_store_short v[0:1], v3, off
.LBB15_817:
	s_mov_b64 s[2:3], 0
.LBB15_818:
	s_andn2_b64 vcc, exec, s[2:3]
	s_cbranch_vccnz .LBB15_823
; %bb.819:
	s_cmp_gt_i32 s6, 0
	s_mov_b64 s[2:3], -1
	s_cbranch_scc0 .LBB15_821
; %bb.820:
	v_cvt_i32_f32_e32 v3, v2
	s_mov_b64 s[2:3], 0
	global_store_byte v[0:1], v3, off
.LBB15_821:
	s_andn2_b64 vcc, exec, s[2:3]
	s_cbranch_vccnz .LBB15_823
; %bb.822:
	v_trunc_f32_e32 v2, v2
	s_mov_b32 s2, 0x2f800000
	v_mul_f32_e64 v3, |v2|, s2
	v_floor_f32_e32 v3, v3
	s_mov_b32 s2, 0xcf800000
	v_fma_f32 v3, v3, s2, |v2|
	v_cvt_u32_f32_e32 v3, v3
	v_ashrrev_i32_e32 v2, 31, v2
	v_xor_b32_e32 v3, v3, v2
	v_sub_u32_e32 v2, v3, v2
	global_store_byte v[0:1], v2, off
.LBB15_823:
	s_mov_b64 s[2:3], -1
.LBB15_824:
	s_andn2_b64 vcc, exec, s[2:3]
	s_cbranch_vccnz .LBB15_826
; %bb.825:
	v_add_u32_e32 v8, 0x80, v8
	s_mov_b64 s[2:3], -1
	s_branch .LBB15_828
.LBB15_826:
	s_mov_b64 s[2:3], 0
.LBB15_827:
                                        ; implicit-def: $vgpr8
.LBB15_828:
	s_andn2_b64 s[6:7], s[62:63], exec
	s_and_b64 s[0:1], s[0:1], exec
	s_or_b64 s[68:69], s[6:7], s[0:1]
	s_andn2_b64 s[0:1], s[60:61], exec
	s_and_b64 s[6:7], s[8:9], exec
	s_or_b64 s[6:7], s[0:1], s[6:7]
	s_orn2_b64 s[2:3], s[2:3], exec
.LBB15_829:
	s_or_b64 exec, exec, s[66:67]
	s_mov_b64 s[0:1], 0
	s_mov_b64 s[8:9], 0
	;; [unrolled: 1-line block ×3, first 2 shown]
                                        ; implicit-def: $vgpr1_vgpr2
                                        ; implicit-def: $vgpr0
                                        ; implicit-def: $vgpr4
	s_and_saveexec_b64 s[66:67], s[2:3]
	s_cbranch_execz .LBB15_928
; %bb.830:
	v_cmp_gt_i32_e32 vcc, s70, v8
	s_mov_b64 s[2:3], 0
	s_mov_b64 s[12:13], s[6:7]
                                        ; implicit-def: $vgpr1_vgpr2
                                        ; implicit-def: $vgpr0
                                        ; implicit-def: $vgpr4
	s_and_saveexec_b64 s[70:71], vcc
	s_cbranch_execz .LBB15_927
; %bb.831:
	s_andn2_b64 vcc, exec, s[42:43]
	s_cbranch_vccnz .LBB15_836
; %bb.832:
	s_andn2_b64 vcc, exec, s[52:53]
	s_cbranch_vccnz .LBB15_837
; %bb.833:
	s_add_i32 s76, s75, 1
	s_cmp_eq_u32 s72, 2
	s_cbranch_scc1 .LBB15_838
; %bb.834:
	s_and_b32 s75, s76, 28
	v_mov_b32_e32 v2, 0
	s_mov_b32 s77, 0
	s_mov_b64 s[52:53], s[34:35]
	v_mov_b32_e32 v0, 0
	v_mov_b32_e32 v1, v8
.LBB15_835:                             ; =>This Inner Loop Header: Depth=1
	s_load_dwordx8 s[16:23], s[52:53], 0x4
	s_load_dwordx4 s[0:3], s[52:53], 0x24
	s_load_dwordx8 s[8:15], s[50:51], 0x0
	s_add_u32 s52, s52, 48
	s_addc_u32 s53, s53, 0
	s_waitcnt vmcnt(0) lgkmcnt(0)
	v_mul_hi_u32 v3, s17, v1
	s_add_i32 s77, s77, 4
	s_add_u32 s50, s50, 32
	s_addc_u32 s51, s51, 0
	v_add_u32_e32 v3, v1, v3
	v_lshrrev_b32_e32 v3, s18, v3
	v_mul_lo_u32 v4, v3, s16
	v_mul_hi_u32 v5, s20, v3
	s_cmp_eq_u32 s75, s77
	v_sub_u32_e32 v1, v1, v4
	v_add_u32_e32 v4, v3, v5
	v_mul_lo_u32 v5, v1, s8
	v_mul_lo_u32 v6, v1, s9
	v_lshrrev_b32_e32 v1, s21, v4
	v_mul_lo_u32 v4, v1, s19
	v_mul_hi_u32 v7, s23, v1
	v_sub_u32_e32 v3, v3, v4
	v_add_u32_e32 v4, v1, v7
	v_lshrrev_b32_e32 v4, s0, v4
	v_mul_hi_u32 v9, s2, v4
	v_mul_lo_u32 v10, v4, s22
	v_mul_lo_u32 v7, v3, s10
	;; [unrolled: 1-line block ×3, first 2 shown]
	v_sub_u32_e32 v10, v1, v10
	v_add_u32_e32 v1, v4, v9
	v_lshrrev_b32_e32 v1, s3, v1
	v_mul_lo_u32 v9, v1, s1
	v_mul_lo_u32 v11, v10, s12
	;; [unrolled: 1-line block ×3, first 2 shown]
	v_add3_u32 v0, v5, v0, v7
	v_sub_u32_e32 v4, v4, v9
	v_mul_lo_u32 v9, v4, s14
	v_mul_lo_u32 v4, v4, s15
	v_add3_u32 v2, v6, v2, v3
	v_add3_u32 v0, v11, v0, v9
	;; [unrolled: 1-line block ×3, first 2 shown]
	s_cbranch_scc0 .LBB15_835
	s_branch .LBB15_839
.LBB15_836:
	s_mov_b64 s[0:1], -1
                                        ; implicit-def: $vgpr0
                                        ; implicit-def: $vgpr2
	s_branch .LBB15_843
.LBB15_837:
	v_mov_b32_e32 v0, 0
	v_mov_b32_e32 v2, 0
	s_branch .LBB15_842
.LBB15_838:
	s_mov_b32 s75, 0
	v_mov_b32_e32 v0, 0
	v_mov_b32_e32 v2, 0
	;; [unrolled: 1-line block ×3, first 2 shown]
.LBB15_839:
	s_and_b32 s8, s76, 3
	s_cmp_eq_u32 s8, 0
	s_cbranch_scc1 .LBB15_842
; %bb.840:
	s_lshl_b32 s0, s75, 3
	s_add_u32 s0, s34, s0
	s_addc_u32 s1, s35, 0
	s_add_u32 s0, s0, 0xc4
	s_addc_u32 s1, s1, 0
	s_mul_i32 s2, s75, 12
	s_add_u32 s2, s34, s2
	s_addc_u32 s3, s35, 0
.LBB15_841:                             ; =>This Inner Loop Header: Depth=1
	s_load_dwordx2 s[10:11], s[2:3], 0x4
	s_load_dword s9, s[2:3], 0xc
	s_load_dwordx2 s[12:13], s[0:1], 0x0
	s_add_u32 s2, s2, 12
	s_addc_u32 s3, s3, 0
	s_waitcnt vmcnt(0) lgkmcnt(0)
	v_mul_hi_u32 v3, s11, v1
	s_add_u32 s0, s0, 8
	s_addc_u32 s1, s1, 0
	s_add_i32 s8, s8, -1
	v_add_u32_e32 v3, v1, v3
	v_lshrrev_b32_e32 v4, s9, v3
	v_mul_lo_u32 v3, v4, s10
	s_cmp_lg_u32 s8, 0
	v_sub_u32_e32 v3, v1, v3
	v_mad_u64_u32 v[0:1], s[10:11], v3, s12, v[0:1]
	v_mad_u64_u32 v[2:3], s[10:11], v3, s13, v[2:3]
	v_mov_b32_e32 v1, v4
	s_cbranch_scc1 .LBB15_841
.LBB15_842:
	s_mov_b64 s[0:1], 0
.LBB15_843:
	s_andn2_b64 vcc, exec, s[0:1]
	s_cbranch_vccnz .LBB15_846
; %bb.844:
	s_waitcnt lgkmcnt(0)
	v_mul_hi_u32 v0, s37, v8
	s_andn2_b64 vcc, exec, s[48:49]
	v_add_u32_e32 v0, v8, v0
	v_lshrrev_b32_e32 v1, s38, v0
	v_mul_lo_u32 v0, v1, s36
	v_sub_u32_e32 v2, v8, v0
	v_mul_lo_u32 v0, v2, s28
	v_mul_lo_u32 v2, v2, s29
	s_cbranch_vccnz .LBB15_846
; %bb.845:
	s_waitcnt vmcnt(0)
	v_mul_hi_u32 v3, s46, v1
	v_add_u32_e32 v3, v1, v3
	v_lshrrev_b32_e32 v3, s47, v3
	v_mul_lo_u32 v3, v3, s39
	v_sub_u32_e32 v3, v1, v3
	v_mad_u64_u32 v[0:1], s[0:1], v3, s30, v[0:1]
	v_mad_u64_u32 v[2:3], s[0:1], v3, s31, v[2:3]
.LBB15_846:
	s_waitcnt vmcnt(0) lgkmcnt(0)
	v_mov_b32_e32 v3, s27
	s_and_b32 s14, 0xffff, s74
	v_add_co_u32_e32 v1, vcc, s26, v2
	s_cmp_lt_i32 s14, 11
	v_addc_co_u32_e32 v2, vcc, 0, v3, vcc
	s_cbranch_scc1 .LBB15_853
; %bb.847:
	s_cmp_gt_i32 s14, 25
	s_mov_b64 s[2:3], 0
	s_cbranch_scc0 .LBB15_854
; %bb.848:
	s_cmp_gt_i32 s14, 28
	s_cbranch_scc0 .LBB15_855
; %bb.849:
	s_cmp_gt_i32 s14, 43
	;; [unrolled: 3-line block ×3, first 2 shown]
	s_cbranch_scc0 .LBB15_859
; %bb.851:
	s_cmp_eq_u32 s14, 46
	s_mov_b64 s[10:11], 0
	s_cbranch_scc0 .LBB15_862
; %bb.852:
	global_load_dword v3, v[1:2], off
	s_mov_b64 s[0:1], 0
	s_mov_b64 s[8:9], -1
	s_waitcnt vmcnt(0)
	v_lshlrev_b32_e32 v4, 16, v3
	s_branch .LBB15_863
.LBB15_853:
	s_mov_b64 s[12:13], -1
	s_mov_b64 s[8:9], 0
	s_mov_b64 s[2:3], 0
	s_mov_b64 s[0:1], s[6:7]
                                        ; implicit-def: $vgpr4
	s_branch .LBB15_926
.LBB15_854:
	s_mov_b64 s[10:11], -1
	s_mov_b64 s[8:9], 0
	s_mov_b64 s[0:1], s[6:7]
                                        ; implicit-def: $vgpr4
	s_branch .LBB15_892
.LBB15_855:
	s_mov_b64 s[10:11], -1
	s_mov_b64 s[8:9], 0
	s_mov_b64 s[0:1], s[6:7]
                                        ; implicit-def: $vgpr4
	s_branch .LBB15_873
.LBB15_856:
	s_mov_b64 s[10:11], -1
	s_mov_b64 s[8:9], 0
	s_mov_b64 s[0:1], s[6:7]
                                        ; implicit-def: $vgpr4
	s_branch .LBB15_868
.LBB15_857:
	s_andn2_saveexec_b64 s[10:11], s[10:11]
	s_cbranch_execz .LBB15_737
.LBB15_858:
	s_mov_b32 s14, 0x46000000
	v_add_f32_e64 v3, |v2|, s14
	v_and_b32_e32 v3, 0xff, v3
	v_cmp_ne_u32_e32 vcc, 0, v3
	s_andn2_b64 s[6:7], s[6:7], exec
	s_and_b64 s[14:15], vcc, exec
	s_or_b64 s[6:7], s[6:7], s[14:15]
	s_or_b64 exec, exec, s[10:11]
	v_mov_b32_e32 v4, 0
	s_and_saveexec_b64 s[10:11], s[6:7]
	s_cbranch_execnz .LBB15_738
	s_branch .LBB15_739
.LBB15_859:
	s_mov_b64 s[10:11], -1
	s_mov_b64 s[8:9], 0
	s_mov_b64 s[0:1], s[6:7]
                                        ; implicit-def: $vgpr4
	s_branch .LBB15_863
.LBB15_860:
	s_andn2_saveexec_b64 s[10:11], s[10:11]
	s_cbranch_execz .LBB15_750
.LBB15_861:
	s_mov_b32 s14, 0x42800000
	v_add_f32_e64 v3, |v2|, s14
	v_and_b32_e32 v3, 0xff, v3
	v_cmp_ne_u32_e32 vcc, 0, v3
	s_andn2_b64 s[6:7], s[6:7], exec
	s_and_b64 s[14:15], vcc, exec
	s_or_b64 s[6:7], s[6:7], s[14:15]
	s_or_b64 exec, exec, s[10:11]
	v_mov_b32_e32 v4, 0
	s_and_saveexec_b64 s[10:11], s[6:7]
	s_cbranch_execnz .LBB15_751
	s_branch .LBB15_752
.LBB15_862:
	s_mov_b64 s[0:1], -1
                                        ; implicit-def: $vgpr4
	s_mov_b64 s[8:9], 0
.LBB15_863:
	s_and_b64 vcc, exec, s[10:11]
	s_cbranch_vccz .LBB15_867
; %bb.864:
	s_cmp_eq_u32 s14, 44
	s_cbranch_scc0 .LBB15_866
; %bb.865:
	global_load_ubyte v3, v[1:2], off
	s_movk_i32 s8, 0xff
	v_mov_b32_e32 v4, 0x7f800001
	v_mov_b32_e32 v5, 0x400000
	s_mov_b64 s[0:1], 0
	s_waitcnt vmcnt(0)
	v_lshlrev_b32_e32 v6, 23, v3
	v_cmp_ne_u32_e32 vcc, s8, v3
	v_cndmask_b32_e32 v4, v4, v6, vcc
	v_cmp_ne_u32_e32 vcc, 0, v3
	v_cndmask_b32_e32 v4, v5, v4, vcc
	s_mov_b64 s[8:9], -1
	s_branch .LBB15_867
.LBB15_866:
	s_mov_b64 s[0:1], -1
                                        ; implicit-def: $vgpr4
.LBB15_867:
	s_mov_b64 s[10:11], 0
.LBB15_868:
	s_and_b64 vcc, exec, s[10:11]
	s_cbranch_vccz .LBB15_872
; %bb.869:
	s_cmp_eq_u32 s14, 29
	s_cbranch_scc0 .LBB15_871
; %bb.870:
	global_load_dwordx2 v[3:4], v[1:2], off
	s_mov_b64 s[0:1], 0
	s_mov_b64 s[8:9], -1
	s_mov_b64 s[10:11], 0
	s_waitcnt vmcnt(0)
	v_ffbh_u32_e32 v5, v4
	v_min_u32_e32 v5, 32, v5
	v_lshlrev_b64 v[3:4], v5, v[3:4]
	v_min_u32_e32 v3, 1, v3
	v_or_b32_e32 v3, v4, v3
	v_cvt_f32_u32_e32 v3, v3
	v_sub_u32_e32 v4, 32, v5
	v_ldexp_f32 v4, v3, v4
	s_branch .LBB15_873
.LBB15_871:
	s_mov_b64 s[0:1], -1
                                        ; implicit-def: $vgpr4
.LBB15_872:
	s_mov_b64 s[10:11], 0
.LBB15_873:
	s_and_b64 vcc, exec, s[10:11]
	s_cbranch_vccz .LBB15_891
; %bb.874:
	s_cmp_lt_i32 s14, 27
	s_cbranch_scc1 .LBB15_877
; %bb.875:
	s_cmp_gt_i32 s14, 27
	s_cbranch_scc0 .LBB15_878
; %bb.876:
	global_load_dword v3, v[1:2], off
	s_mov_b64 s[8:9], 0
	s_waitcnt vmcnt(0)
	v_cvt_f32_u32_e32 v4, v3
	s_branch .LBB15_879
.LBB15_877:
	s_mov_b64 s[8:9], -1
                                        ; implicit-def: $vgpr4
	s_branch .LBB15_882
.LBB15_878:
	s_mov_b64 s[8:9], -1
                                        ; implicit-def: $vgpr4
.LBB15_879:
	s_andn2_b64 vcc, exec, s[8:9]
	s_cbranch_vccnz .LBB15_881
; %bb.880:
	global_load_ushort v3, v[1:2], off
	s_waitcnt vmcnt(0)
	v_cvt_f32_u32_e32 v4, v3
.LBB15_881:
	s_mov_b64 s[8:9], 0
.LBB15_882:
	s_andn2_b64 vcc, exec, s[8:9]
	s_cbranch_vccnz .LBB15_890
; %bb.883:
	global_load_ubyte v3, v[1:2], off
	s_movk_i32 s8, 0x7f
	s_waitcnt vmcnt(0)
	v_cmp_lt_i16_e32 vcc, s8, v3
	s_mov_b64 s[8:9], 0
	s_and_saveexec_b64 s[10:11], vcc
	s_xor_b64 s[10:11], exec, s[10:11]
	s_cbranch_execz .LBB15_904
; %bb.884:
	s_movk_i32 s8, 0x80
	v_cmp_eq_u16_e32 vcc, s8, v3
	s_mov_b64 s[8:9], -1
	s_and_saveexec_b64 s[12:13], vcc
; %bb.885:
	s_xor_b64 s[8:9], exec, -1
; %bb.886:
	s_or_b64 exec, exec, s[12:13]
	s_and_b64 s[8:9], s[8:9], exec
	s_or_saveexec_b64 s[10:11], s[10:11]
	v_mov_b32_e32 v4, 0x7f800001
	s_xor_b64 exec, exec, s[10:11]
	s_cbranch_execnz .LBB15_905
.LBB15_887:
	s_or_b64 exec, exec, s[10:11]
	s_and_saveexec_b64 s[10:11], s[8:9]
	s_cbranch_execz .LBB15_889
.LBB15_888:
	v_lshlrev_b32_e32 v4, 24, v3
	v_and_b32_e32 v3, 0xffff, v3
	v_and_b32_e32 v5, 7, v3
	v_ffbh_u32_e32 v7, v5
	v_min_u32_e32 v7, 32, v7
	v_subrev_u32_e32 v8, 28, v7
	v_bfe_u32 v6, v3, 3, 4
	v_lshlrev_b32_e32 v3, v8, v3
	v_sub_u32_e32 v7, 29, v7
	v_and_b32_e32 v3, 7, v3
	v_cmp_eq_u32_e32 vcc, 0, v6
	v_cndmask_b32_e32 v6, v6, v7, vcc
	v_cndmask_b32_e32 v3, v5, v3, vcc
	v_mov_b32_e32 v5, 0x3b800000
	v_lshlrev_b32_e32 v3, 20, v3
	v_and_b32_e32 v4, 0x80000000, v4
	v_lshl_add_u32 v5, v6, 23, v5
	v_or3_b32 v4, v4, v5, v3
.LBB15_889:
	s_or_b64 exec, exec, s[10:11]
.LBB15_890:
	s_mov_b64 s[8:9], -1
.LBB15_891:
	s_mov_b64 s[10:11], 0
.LBB15_892:
	s_and_b64 vcc, exec, s[10:11]
	s_cbranch_vccz .LBB15_925
; %bb.893:
	s_cmp_gt_i32 s14, 22
	s_cbranch_scc0 .LBB15_903
; %bb.894:
	s_cmp_lt_i32 s14, 24
	s_cbranch_scc1 .LBB15_906
; %bb.895:
	s_cmp_gt_i32 s14, 24
	s_cbranch_scc0 .LBB15_907
; %bb.896:
	global_load_ubyte v3, v[1:2], off
	s_movk_i32 s2, 0x7f
	s_waitcnt vmcnt(0)
	v_cmp_lt_i16_e32 vcc, s2, v3
	s_mov_b64 s[2:3], 0
	s_and_saveexec_b64 s[8:9], vcc
	s_xor_b64 s[8:9], exec, s[8:9]
	s_cbranch_execz .LBB15_919
; %bb.897:
	s_movk_i32 s2, 0x80
	v_cmp_eq_u16_e32 vcc, s2, v3
	s_mov_b64 s[2:3], -1
	s_and_saveexec_b64 s[10:11], vcc
; %bb.898:
	s_xor_b64 s[2:3], exec, -1
; %bb.899:
	s_or_b64 exec, exec, s[10:11]
	s_and_b64 s[2:3], s[2:3], exec
	s_or_saveexec_b64 s[8:9], s[8:9]
	v_mov_b32_e32 v4, 0x7f800001
	s_xor_b64 exec, exec, s[8:9]
	s_cbranch_execnz .LBB15_920
.LBB15_900:
	s_or_b64 exec, exec, s[8:9]
	s_and_saveexec_b64 s[8:9], s[2:3]
	s_cbranch_execz .LBB15_902
.LBB15_901:
	v_lshlrev_b32_e32 v4, 24, v3
	v_and_b32_e32 v3, 0xffff, v3
	v_and_b32_e32 v5, 3, v3
	v_ffbh_u32_e32 v7, v5
	v_min_u32_e32 v7, 32, v7
	v_subrev_u32_e32 v8, 29, v7
	v_bfe_u32 v6, v3, 2, 5
	v_lshlrev_b32_e32 v3, v8, v3
	v_sub_u32_e32 v7, 30, v7
	v_and_b32_e32 v3, 3, v3
	v_cmp_eq_u32_e32 vcc, 0, v6
	v_cndmask_b32_e32 v6, v6, v7, vcc
	v_cndmask_b32_e32 v3, v5, v3, vcc
	v_mov_b32_e32 v5, 0x37800000
	v_lshlrev_b32_e32 v3, 21, v3
	v_and_b32_e32 v4, 0x80000000, v4
	v_lshl_add_u32 v5, v6, 23, v5
	v_or3_b32 v4, v4, v5, v3
.LBB15_902:
	s_or_b64 exec, exec, s[8:9]
	s_mov_b64 s[2:3], 0
	s_branch .LBB15_908
.LBB15_903:
	s_mov_b64 s[2:3], -1
                                        ; implicit-def: $vgpr4
	s_branch .LBB15_914
.LBB15_904:
	s_or_saveexec_b64 s[10:11], s[10:11]
	v_mov_b32_e32 v4, 0x7f800001
	s_xor_b64 exec, exec, s[10:11]
	s_cbranch_execz .LBB15_887
.LBB15_905:
	v_cmp_ne_u16_e32 vcc, 0, v3
	s_andn2_b64 s[8:9], s[8:9], exec
	s_and_b64 s[12:13], vcc, exec
	v_mov_b32_e32 v4, 0
	s_or_b64 s[8:9], s[8:9], s[12:13]
	s_or_b64 exec, exec, s[10:11]
	s_and_saveexec_b64 s[10:11], s[8:9]
	s_cbranch_execnz .LBB15_888
	s_branch .LBB15_889
.LBB15_906:
	s_mov_b64 s[2:3], -1
                                        ; implicit-def: $vgpr4
	s_branch .LBB15_911
.LBB15_907:
	s_mov_b64 s[2:3], -1
                                        ; implicit-def: $vgpr4
.LBB15_908:
	s_and_b64 vcc, exec, s[2:3]
	s_cbranch_vccz .LBB15_910
; %bb.909:
	global_load_ubyte v3, v[1:2], off
	s_mov_b32 s2, 0x7f800000
	s_waitcnt vmcnt(0)
	v_lshlrev_b32_e32 v3, 24, v3
	v_and_b32_e32 v4, 0x7f000000, v3
	v_ffbh_u32_e32 v5, v4
	v_min_u32_e32 v5, 32, v5
	v_sub_u32_e64 v5, v5, 4 clamp
	v_lshlrev_b32_e32 v7, v5, v4
	v_lshlrev_b32_e32 v5, 23, v5
	v_lshrrev_b32_e32 v7, 4, v7
	v_add_u32_e32 v6, 0x1000000, v4
	v_sub_u32_e32 v5, v7, v5
	v_ashrrev_i32_e32 v6, 8, v6
	v_add_u32_e32 v5, 0x3c000000, v5
	v_and_or_b32 v5, v6, s2, v5
	v_cmp_ne_u32_e32 vcc, 0, v4
	v_cndmask_b32_e32 v4, 0, v5, vcc
	s_brev_b32 s2, 1
	v_and_or_b32 v4, v3, s2, v4
.LBB15_910:
	s_mov_b64 s[2:3], 0
.LBB15_911:
	s_andn2_b64 vcc, exec, s[2:3]
	s_cbranch_vccnz .LBB15_913
; %bb.912:
	global_load_ubyte v3, v[1:2], off
	s_movk_i32 s2, 0x7f00
	s_brev_b32 s3, 16
	s_waitcnt vmcnt(0)
	v_lshlrev_b16_e32 v4, 8, v3
	v_lshlrev_b32_e32 v3, 25, v3
	v_lshrrev_b32_e32 v5, 4, v3
	v_and_or_b32 v6, v4, s2, 0.5
	v_or_b32_e32 v5, 0x70000000, v5
	v_add_f32_e32 v6, -0.5, v6
	v_mul_f32_e32 v5, 0x7800000, v5
	v_cmp_gt_u32_e32 vcc, s3, v3
	v_bfe_i32 v4, v4, 0, 16
	v_cndmask_b32_e32 v3, v5, v6, vcc
	s_brev_b32 s2, 1
	v_and_or_b32 v4, v4, s2, v3
.LBB15_913:
	s_mov_b64 s[2:3], 0
	s_mov_b64 s[8:9], -1
.LBB15_914:
	s_andn2_b64 vcc, exec, s[2:3]
	s_mov_b64 s[2:3], 0
	s_cbranch_vccnz .LBB15_925
; %bb.915:
	s_cmp_gt_i32 s14, 14
	s_cbranch_scc0 .LBB15_918
; %bb.916:
	s_cmp_eq_u32 s14, 15
	s_cbranch_scc0 .LBB15_921
; %bb.917:
	global_load_ushort v3, v[1:2], off
	s_mov_b64 s[0:1], 0
	s_mov_b64 s[8:9], -1
	s_waitcnt vmcnt(0)
	v_lshlrev_b32_e32 v4, 16, v3
	s_branch .LBB15_922
.LBB15_918:
	s_mov_b64 s[10:11], -1
                                        ; implicit-def: $vgpr4
	s_branch .LBB15_923
.LBB15_919:
	s_or_saveexec_b64 s[8:9], s[8:9]
	v_mov_b32_e32 v4, 0x7f800001
	s_xor_b64 exec, exec, s[8:9]
	s_cbranch_execz .LBB15_900
.LBB15_920:
	v_cmp_ne_u16_e32 vcc, 0, v3
	s_andn2_b64 s[2:3], s[2:3], exec
	s_and_b64 s[10:11], vcc, exec
	v_mov_b32_e32 v4, 0
	s_or_b64 s[2:3], s[2:3], s[10:11]
	s_or_b64 exec, exec, s[8:9]
	s_and_saveexec_b64 s[8:9], s[2:3]
	s_cbranch_execnz .LBB15_901
	s_branch .LBB15_902
.LBB15_921:
	s_mov_b64 s[0:1], -1
                                        ; implicit-def: $vgpr4
.LBB15_922:
	s_mov_b64 s[10:11], 0
.LBB15_923:
	s_and_b64 vcc, exec, s[10:11]
	s_cbranch_vccz .LBB15_925
; %bb.924:
	s_cmp_lg_u32 s14, 11
	s_cselect_b64 s[10:11], -1, 0
	s_andn2_b64 s[0:1], s[0:1], exec
	s_and_b64 s[10:11], s[10:11], exec
	s_mov_b64 s[2:3], -1
	s_or_b64 s[0:1], s[0:1], s[10:11]
.LBB15_925:
	s_mov_b64 s[12:13], 0
.LBB15_926:
	s_and_b64 s[10:11], s[8:9], exec
	s_and_b64 s[8:9], s[12:13], exec
	s_andn2_b64 s[12:13], s[6:7], exec
	s_and_b64 s[0:1], s[0:1], exec
	s_and_b64 s[2:3], s[2:3], exec
	s_or_b64 s[12:13], s[12:13], s[0:1]
.LBB15_927:
	s_or_b64 exec, exec, s[70:71]
	s_and_b64 s[0:1], s[2:3], exec
	s_andn2_b64 s[2:3], s[6:7], exec
	s_and_b64 s[6:7], s[12:13], exec
	s_and_b64 s[10:11], s[10:11], exec
	;; [unrolled: 1-line block ×3, first 2 shown]
	s_or_b64 s[6:7], s[2:3], s[6:7]
.LBB15_928:
	s_or_b64 exec, exec, s[66:67]
	s_andn2_b64 s[2:3], s[62:63], exec
	s_and_b64 s[12:13], s[68:69], exec
	s_or_b64 s[62:63], s[2:3], s[12:13]
	s_and_b64 s[2:3], s[0:1], exec
	s_andn2_b64 s[0:1], s[60:61], exec
	s_and_b64 s[6:7], s[6:7], exec
	s_and_b64 s[10:11], s[10:11], exec
	;; [unrolled: 1-line block ×3, first 2 shown]
	s_or_b64 s[60:61], s[0:1], s[6:7]
.LBB15_929:
	s_or_b64 exec, exec, s[64:65]
	s_andn2_b64 s[0:1], s[54:55], exec
	s_and_b64 s[6:7], s[62:63], exec
	s_or_b64 s[54:55], s[0:1], s[6:7]
	s_and_b64 s[6:7], s[8:9], exec
	s_and_b64 s[62:63], s[2:3], exec
	s_andn2_b64 s[2:3], s[56:57], exec
	s_and_b64 s[8:9], s[60:61], exec
	s_and_b64 s[0:1], s[10:11], exec
	s_or_b64 s[56:57], s[2:3], s[8:9]
	s_or_b64 exec, exec, s[58:59]
	s_mov_b64 s[8:9], 0
	s_and_saveexec_b64 s[2:3], s[56:57]
	s_cbranch_execz .LBB15_278
.LBB15_930:
	s_mov_b64 s[8:9], exec
	s_andn2_b64 s[62:63], s[62:63], exec
	s_trap 2
	s_or_b64 exec, exec, s[2:3]
	s_and_saveexec_b64 s[2:3], s[62:63]
	s_xor_b64 s[2:3], exec, s[2:3]
	s_cbranch_execnz .LBB15_279
.LBB15_931:
	s_or_b64 exec, exec, s[2:3]
	s_and_saveexec_b64 s[2:3], s[6:7]
	s_cbranch_execz .LBB15_977
.LBB15_932:
	s_sext_i32_i16 s6, s74
	s_cmp_lt_i32 s6, 5
	s_cbranch_scc1 .LBB15_937
; %bb.933:
	s_cmp_lt_i32 s6, 8
	s_cbranch_scc1 .LBB15_938
; %bb.934:
	;; [unrolled: 3-line block ×3, first 2 shown]
	s_cmp_gt_i32 s6, 9
	s_cbranch_scc0 .LBB15_940
; %bb.936:
	global_load_dwordx2 v[3:4], v[1:2], off
	s_mov_b64 s[6:7], 0
	s_waitcnt vmcnt(0)
	v_cvt_f32_f64_e32 v4, v[3:4]
	s_branch .LBB15_941
.LBB15_937:
                                        ; implicit-def: $vgpr4
	s_branch .LBB15_958
.LBB15_938:
                                        ; implicit-def: $vgpr4
	s_branch .LBB15_947
.LBB15_939:
	s_mov_b64 s[6:7], -1
                                        ; implicit-def: $vgpr4
	s_branch .LBB15_944
.LBB15_940:
	s_mov_b64 s[6:7], -1
                                        ; implicit-def: $vgpr4
.LBB15_941:
	s_andn2_b64 vcc, exec, s[6:7]
	s_cbranch_vccnz .LBB15_943
; %bb.942:
	global_load_dword v4, v[1:2], off
.LBB15_943:
	s_mov_b64 s[6:7], 0
.LBB15_944:
	s_andn2_b64 vcc, exec, s[6:7]
	s_cbranch_vccnz .LBB15_946
; %bb.945:
	global_load_dword v3, v[1:2], off
	s_waitcnt vmcnt(0)
	v_cvt_f32_f16_e32 v4, v3
.LBB15_946:
	s_cbranch_execnz .LBB15_957
.LBB15_947:
	s_sext_i32_i16 s6, s74
	s_cmp_lt_i32 s6, 6
	s_cbranch_scc1 .LBB15_950
; %bb.948:
	s_cmp_gt_i32 s6, 6
	s_cbranch_scc0 .LBB15_951
; %bb.949:
	global_load_dwordx2 v[3:4], v[1:2], off
	s_mov_b64 s[6:7], 0
	s_waitcnt vmcnt(0)
	v_cvt_f32_f64_e32 v4, v[3:4]
	s_branch .LBB15_952
.LBB15_950:
	s_mov_b64 s[6:7], -1
                                        ; implicit-def: $vgpr4
	s_branch .LBB15_955
.LBB15_951:
	s_mov_b64 s[6:7], -1
                                        ; implicit-def: $vgpr4
.LBB15_952:
	s_andn2_b64 vcc, exec, s[6:7]
	s_cbranch_vccnz .LBB15_954
; %bb.953:
	global_load_dword v4, v[1:2], off
.LBB15_954:
	s_mov_b64 s[6:7], 0
.LBB15_955:
	s_andn2_b64 vcc, exec, s[6:7]
	s_cbranch_vccnz .LBB15_957
; %bb.956:
	global_load_ushort v3, v[1:2], off
	s_waitcnt vmcnt(0)
	v_cvt_f32_f16_e32 v4, v3
.LBB15_957:
	s_cbranch_execnz .LBB15_976
.LBB15_958:
	s_sext_i32_i16 s6, s74
	s_cmp_lt_i32 s6, 2
	s_cbranch_scc1 .LBB15_962
; %bb.959:
	s_cmp_lt_i32 s6, 3
	s_cbranch_scc1 .LBB15_963
; %bb.960:
	s_cmp_gt_i32 s6, 3
	s_cbranch_scc0 .LBB15_964
; %bb.961:
	global_load_dwordx2 v[3:4], v[1:2], off
	s_mov_b64 s[6:7], 0
	s_waitcnt vmcnt(0)
	v_xor_b32_e32 v6, v3, v4
	v_ffbh_i32_e32 v5, v4
	v_ashrrev_i32_e32 v6, 31, v6
	v_add_u32_e32 v5, -1, v5
	v_add_u32_e32 v6, 32, v6
	v_min_u32_e32 v5, v5, v6
	v_lshlrev_b64 v[3:4], v5, v[3:4]
	v_min_u32_e32 v3, 1, v3
	v_or_b32_e32 v3, v4, v3
	v_cvt_f32_i32_e32 v3, v3
	v_sub_u32_e32 v4, 32, v5
	v_ldexp_f32 v4, v3, v4
	s_branch .LBB15_965
.LBB15_962:
                                        ; implicit-def: $vgpr4
	s_branch .LBB15_971
.LBB15_963:
	s_mov_b64 s[6:7], -1
                                        ; implicit-def: $vgpr4
	s_branch .LBB15_968
.LBB15_964:
	s_mov_b64 s[6:7], -1
                                        ; implicit-def: $vgpr4
.LBB15_965:
	s_andn2_b64 vcc, exec, s[6:7]
	s_cbranch_vccnz .LBB15_967
; %bb.966:
	global_load_dword v3, v[1:2], off
	s_waitcnt vmcnt(0)
	v_cvt_f32_i32_e32 v4, v3
.LBB15_967:
	s_mov_b64 s[6:7], 0
.LBB15_968:
	s_andn2_b64 vcc, exec, s[6:7]
	s_cbranch_vccnz .LBB15_970
; %bb.969:
	global_load_sshort v3, v[1:2], off
	s_waitcnt vmcnt(0)
	v_cvt_f32_i32_e32 v4, v3
.LBB15_970:
	s_cbranch_execnz .LBB15_976
.LBB15_971:
	s_sext_i32_i16 s6, s74
	s_cmp_gt_i32 s6, 0
	s_cbranch_scc0 .LBB15_973
; %bb.972:
	global_load_sbyte v3, v[1:2], off
	s_mov_b64 s[6:7], 0
	s_waitcnt vmcnt(0)
	v_cvt_f32_i32_e32 v4, v3
	s_branch .LBB15_974
.LBB15_973:
	s_mov_b64 s[6:7], -1
                                        ; implicit-def: $vgpr4
.LBB15_974:
	s_andn2_b64 vcc, exec, s[6:7]
	s_cbranch_vccnz .LBB15_976
; %bb.975:
	global_load_ubyte v1, v[1:2], off
	s_waitcnt vmcnt(0)
	v_cvt_f32_ubyte0_e32 v4, v1
.LBB15_976:
	s_or_b64 s[0:1], s[0:1], exec
.LBB15_977:
	s_or_b64 exec, exec, s[2:3]
	s_mov_b64 s[6:7], 0
	s_mov_b64 s[2:3], 0
                                        ; implicit-def: $sgpr16
                                        ; implicit-def: $vgpr1_vgpr2
                                        ; implicit-def: $vgpr3
	s_and_saveexec_b64 s[10:11], s[0:1]
	s_cbranch_execz .LBB15_999
; %bb.978:
	s_brev_b32 s0, 18
	s_waitcnt vmcnt(0)
	v_and_b32_e32 v1, 0x7fffffff, v4
	v_cmp_nlt_f32_e64 s[0:1], |v4|, s0
                                        ; implicit-def: $vgpr2
                                        ; implicit-def: $vgpr3
	s_and_saveexec_b64 s[2:3], s[0:1]
	s_xor_b64 s[12:13], exec, s[2:3]
	s_cbranch_execz .LBB15_980
; %bb.979:
	v_and_b32_e32 v2, 0x7fffff, v1
	v_or_b32_e32 v13, 0x800000, v2
	s_mov_b32 s0, 0xfe5163ab
	v_mad_u64_u32 v[2:3], s[0:1], v13, s0, 0
	v_mov_b32_e32 v6, 0
	s_mov_b32 s0, 0x3c439041
	v_mov_b32_e32 v5, v3
	v_mad_u64_u32 v[7:8], s[0:1], v13, s0, v[5:6]
	s_mov_b32 s0, 0xdb629599
	v_lshrrev_b32_e32 v3, 23, v1
	v_mov_b32_e32 v5, v8
	v_mad_u64_u32 v[8:9], s[0:1], v13, s0, v[5:6]
	s_mov_b32 s0, 0xf534ddc0
	v_add_u32_e32 v3, 0xffffff88, v3
	v_mov_b32_e32 v5, v9
	v_mad_u64_u32 v[9:10], s[0:1], v13, s0, v[5:6]
	s_mov_b32 s0, 0xfc2757d1
	v_not_b32_e32 v12, 63
	v_mov_b32_e32 v5, v10
	v_mad_u64_u32 v[10:11], s[0:1], v13, s0, v[5:6]
	v_cmp_lt_u32_e32 vcc, 63, v3
	v_cndmask_b32_e32 v5, 0, v12, vcc
	v_add_u32_e32 v3, v5, v3
	v_mov_b32_e32 v5, v11
	s_mov_b32 s0, 0x4e441529
	v_mad_u64_u32 v[11:12], s[0:1], v13, s0, v[5:6]
	v_not_b32_e32 v14, 31
	v_cmp_lt_u32_e64 s[0:1], 31, v3
	v_cndmask_b32_e64 v5, 0, v14, s[0:1]
	v_add_u32_e32 v3, v5, v3
	v_mov_b32_e32 v5, v12
	s_mov_b32 s2, 0xa2f9836e
	v_mad_u64_u32 v[5:6], s[2:3], v13, s2, v[5:6]
	v_cmp_lt_u32_e64 s[2:3], 31, v3
	v_cndmask_b32_e64 v12, 0, v14, s[2:3]
	v_add_u32_e32 v3, v12, v3
	v_cndmask_b32_e32 v12, v11, v9, vcc
	v_cndmask_b32_e32 v5, v5, v10, vcc
	;; [unrolled: 1-line block ×3, first 2 shown]
	v_cndmask_b32_e64 v13, v5, v12, s[0:1]
	v_cndmask_b32_e64 v5, v6, v5, s[0:1]
	v_cndmask_b32_e32 v6, v10, v8, vcc
	v_cndmask_b32_e64 v10, v12, v6, s[0:1]
	v_sub_u32_e32 v12, 32, v3
	v_cmp_eq_u32_e64 s[6:7], 0, v3
	v_cndmask_b32_e32 v3, v9, v7, vcc
	v_cndmask_b32_e64 v5, v5, v13, s[2:3]
	v_cndmask_b32_e64 v11, v13, v10, s[2:3]
	;; [unrolled: 1-line block ×3, first 2 shown]
	v_alignbit_b32 v13, v5, v11, v12
	v_cndmask_b32_e64 v7, v10, v6, s[2:3]
	v_cndmask_b32_e64 v5, v13, v5, s[6:7]
	v_alignbit_b32 v9, v11, v7, v12
	v_cndmask_b32_e32 v2, v8, v2, vcc
	v_cndmask_b32_e64 v9, v9, v11, s[6:7]
	v_bfe_u32 v13, v5, 29, 1
	v_cndmask_b32_e64 v2, v3, v2, s[0:1]
	v_alignbit_b32 v10, v5, v9, 30
	v_sub_u32_e32 v14, 0, v13
	v_cndmask_b32_e64 v2, v6, v2, s[2:3]
	v_xor_b32_e32 v10, v10, v14
	v_alignbit_b32 v3, v7, v2, v12
	v_cndmask_b32_e64 v3, v3, v7, s[6:7]
	v_ffbh_u32_e32 v7, v10
	v_alignbit_b32 v6, v9, v3, 30
	v_min_u32_e32 v7, 32, v7
	v_alignbit_b32 v2, v3, v2, 30
	v_xor_b32_e32 v6, v6, v14
	v_sub_u32_e32 v8, 31, v7
	v_xor_b32_e32 v2, v2, v14
	v_alignbit_b32 v9, v10, v6, v8
	v_alignbit_b32 v2, v6, v2, v8
	;; [unrolled: 1-line block ×3, first 2 shown]
	v_ffbh_u32_e32 v6, v3
	v_min_u32_e32 v6, 32, v6
	v_lshrrev_b32_e32 v11, 29, v5
	v_not_b32_e32 v8, v6
	v_alignbit_b32 v2, v3, v2, v8
	v_lshlrev_b32_e32 v3, 31, v11
	v_or_b32_e32 v8, 0x33000000, v3
	v_add_lshl_u32 v6, v6, v7, 23
	v_lshrrev_b32_e32 v2, 9, v2
	v_sub_u32_e32 v6, v8, v6
	v_or_b32_e32 v3, 0.5, v3
	v_lshlrev_b32_e32 v7, 23, v7
	v_or_b32_e32 v2, v6, v2
	v_lshrrev_b32_e32 v6, 9, v9
	v_sub_u32_e32 v3, v3, v7
	v_or_b32_e32 v3, v6, v3
	s_mov_b32 s0, 0x3fc90fda
	v_mul_f32_e32 v6, 0x3fc90fda, v3
	v_fma_f32 v7, v3, s0, -v6
	v_fmac_f32_e32 v7, 0x33a22168, v3
	v_fmac_f32_e32 v7, 0x3fc90fda, v2
	v_lshrrev_b32_e32 v2, 30, v5
	v_add_f32_e32 v3, v6, v7
	v_add_u32_e32 v2, v13, v2
.LBB15_980:
	s_andn2_saveexec_b64 s[0:1], s[12:13]
	s_cbranch_execz .LBB15_982
; %bb.981:
	s_mov_b32 s2, 0x3f22f983
	v_mul_f32_e64 v2, |v4|, s2
	v_rndne_f32_e32 v5, v2
	s_mov_b32 s2, 0xbfc90fda
	v_cvt_i32_f32_e32 v2, v5
	v_fma_f32 v3, v5, s2, |v4|
	v_fmac_f32_e32 v3, 0xb3a22168, v5
	v_fmac_f32_e32 v3, 0xa7c234c4, v5
.LBB15_982:
	s_or_b64 exec, exec, s[0:1]
	v_mul_f32_e32 v5, v3, v3
	v_mov_b32_e32 v6, 0x3c0881c4
	v_fmac_f32_e32 v6, 0xb94c1982, v5
	v_mov_b32_e32 v7, 0xbe2aaa9d
	v_fmac_f32_e32 v7, v5, v6
	v_mul_f32_e32 v6, v5, v7
	v_fmac_f32_e32 v3, v3, v6
	v_mov_b32_e32 v6, 0xbab64f3b
	v_fmac_f32_e32 v6, 0x37d75334, v5
	v_mov_b32_e32 v7, 0x3d2aabf7
	v_fmac_f32_e32 v7, v5, v6
	v_mov_b32_e32 v6, 0xbf000004
	v_fmac_f32_e32 v6, v5, v7
	v_fma_f32 v5, v5, v6, 1.0
	v_and_b32_e32 v6, 1, v2
	v_lshlrev_b32_e32 v2, 30, v2
	v_cmp_eq_u32_e32 vcc, 0, v6
	v_and_b32_e32 v2, 0x80000000, v2
	v_xor_b32_e32 v1, v1, v4
	v_cndmask_b32_e32 v3, v5, v3, vcc
	v_xor_b32_e32 v1, v1, v2
	s_movk_i32 s0, 0x1f8
	v_xor_b32_e32 v1, v1, v3
	v_mov_b32_e32 v2, 0x7fc00000
	v_cmp_class_f32_e64 vcc, v4, s0
	v_cndmask_b32_e32 v3, v2, v1, vcc
	s_waitcnt lgkmcnt(0)
	v_mov_b32_e32 v2, s25
	s_and_b32 s16, s73, 0xff
	v_add_co_u32_e32 v1, vcc, s24, v0
	s_cmp_lt_i32 s16, 11
	v_addc_co_u32_e32 v2, vcc, 0, v2, vcc
	s_cbranch_scc1 .LBB15_1002
; %bb.983:
	s_and_b32 s17, 0xffff, s16
	s_mov_b64 s[6:7], -1
	s_cmp_gt_i32 s17, 25
	s_mov_b64 s[0:1], s[54:55]
	s_cbranch_scc0 .LBB15_1020
; %bb.984:
	s_mov_b64 s[2:3], -1
	s_cmp_gt_i32 s17, 28
	s_mov_b64 s[0:1], s[54:55]
	s_cbranch_scc0 .LBB15_1004
; %bb.985:
	s_cmp_gt_i32 s17, 43
	s_mov_b64 s[0:1], s[54:55]
	s_cbranch_scc0 .LBB15_996
; %bb.986:
	;; [unrolled: 4-line block ×3, first 2 shown]
	s_cmp_eq_u32 s17, 46
	s_mov_b64 s[0:1], -1
	s_cbranch_scc0 .LBB15_989
; %bb.988:
	v_bfe_u32 v0, v3, 16, 1
	s_movk_i32 s0, 0x7fff
	v_add3_u32 v0, v3, v0, s0
	v_cmp_o_f32_e32 vcc, v3, v3
	v_mov_b32_e32 v4, 0x7fc0
	v_cndmask_b32_sdwa v0, v4, v0, vcc dst_sel:DWORD dst_unused:UNUSED_PAD src0_sel:DWORD src1_sel:WORD_1
	global_store_dword v[1:2], v0, off
	s_mov_b64 s[0:1], 0
.LBB15_989:
	s_mov_b64 s[2:3], 0
.LBB15_990:
	s_and_b64 vcc, exec, s[2:3]
	s_cbranch_vccz .LBB15_995
; %bb.991:
	s_cmp_eq_u32 s17, 44
	s_mov_b64 s[0:1], -1
	s_cbranch_scc0 .LBB15_995
; %bb.992:
	v_bfe_u32 v0, v3, 23, 8
	s_movk_i32 s0, 0xff
	v_cmp_ne_u32_e32 vcc, s0, v0
	v_mov_b32_e32 v4, 0xff
	s_and_saveexec_b64 s[2:3], vcc
; %bb.993:
	s_mov_b32 s0, 0x3fffff
	v_and_b32_e32 v5, 0x400000, v3
	v_and_or_b32 v0, v3, s0, v0
	v_cmp_ne_u32_e32 vcc, 0, v5
	v_cmp_ne_u32_e64 s[0:1], 0, v0
	s_and_b64 s[0:1], vcc, s[0:1]
	v_lshrrev_b32_e32 v4, 23, v3
	v_cndmask_b32_e64 v0, 0, 1, s[0:1]
	v_add_u32_e32 v4, v4, v0
; %bb.994:
	s_or_b64 exec, exec, s[2:3]
	s_mov_b64 s[0:1], 0
	global_store_byte v[1:2], v4, off
.LBB15_995:
	s_mov_b64 s[2:3], 0
.LBB15_996:
	s_and_b64 vcc, exec, s[2:3]
	s_cbranch_vccz .LBB15_1003
; %bb.997:
	s_cmp_eq_u32 s17, 29
	s_mov_b64 s[0:1], -1
	s_cbranch_scc0 .LBB15_1003
; %bb.998:
	v_trunc_f32_e32 v0, v3
	v_mul_f32_e32 v4, 0x2f800000, v0
	v_floor_f32_e32 v4, v4
	v_fmac_f32_e32 v0, 0xcf800000, v4
	v_cvt_u32_f32_e32 v5, v4
	v_cvt_u32_f32_e32 v4, v0
	s_mov_b64 s[0:1], 0
	s_mov_b64 s[2:3], 0
	global_store_dwordx2 v[1:2], v[4:5], off
	s_branch .LBB15_1004
.LBB15_999:
	s_or_b64 exec, exec, s[10:11]
	s_and_saveexec_b64 s[0:1], s[54:55]
	s_cbranch_execnz .LBB15_1062
.LBB15_1000:
	s_or_b64 exec, exec, s[0:1]
	s_and_saveexec_b64 s[0:1], s[6:7]
	s_xor_b64 s[0:1], exec, s[0:1]
	s_cbranch_execz .LBB15_1063
.LBB15_1001:
	s_waitcnt vmcnt(0)
	v_cmp_neq_f32_e32 vcc, 0, v3
	v_cndmask_b32_e64 v0, 0, 1, vcc
	global_store_byte v[1:2], v0, off
	s_or_b64 exec, exec, s[0:1]
	s_and_saveexec_b64 s[0:1], s[2:3]
	s_xor_b64 s[0:1], exec, s[0:1]
	s_cbranch_execz .LBB15_1101
	s_branch .LBB15_1064
.LBB15_1002:
	s_mov_b64 s[6:7], 0
	s_mov_b64 s[2:3], -1
	s_mov_b64 s[0:1], s[54:55]
	s_branch .LBB15_1061
.LBB15_1003:
	s_mov_b64 s[2:3], 0
.LBB15_1004:
	s_and_b64 vcc, exec, s[2:3]
	s_cbranch_vccz .LBB15_1019
; %bb.1005:
	s_cmp_lt_i32 s17, 27
	s_mov_b64 s[2:3], -1
	s_cbranch_scc1 .LBB15_1011
; %bb.1006:
	s_cmp_gt_i32 s17, 27
	s_cbranch_scc0 .LBB15_1008
; %bb.1007:
	v_cvt_u32_f32_e32 v0, v3
	s_mov_b64 s[2:3], 0
	global_store_dword v[1:2], v0, off
.LBB15_1008:
	s_andn2_b64 vcc, exec, s[2:3]
	s_cbranch_vccnz .LBB15_1010
; %bb.1009:
	v_cvt_u32_f32_e32 v0, v3
	global_store_short v[1:2], v0, off
.LBB15_1010:
	s_mov_b64 s[2:3], 0
.LBB15_1011:
	s_andn2_b64 vcc, exec, s[2:3]
	s_cbranch_vccnz .LBB15_1019
; %bb.1012:
	v_and_b32_e32 v0, 0x7fffffff, v3
	s_mov_b32 s2, 0x43800000
	v_cmp_gt_u32_e32 vcc, s2, v0
	v_mov_b32_e32 v4, 0x80
	s_and_saveexec_b64 s[2:3], vcc
	s_cbranch_execz .LBB15_1018
; %bb.1013:
	s_mov_b32 s6, 0x3bffffff
	v_cmp_lt_u32_e32 vcc, s6, v0
	s_mov_b64 s[6:7], 0
                                        ; implicit-def: $vgpr0
	s_and_saveexec_b64 s[12:13], vcc
	s_xor_b64 s[12:13], exec, s[12:13]
	s_cbranch_execz .LBB15_1172
; %bb.1014:
	v_bfe_u32 v0, v3, 20, 1
	s_mov_b32 s14, 0x487ffff
	v_add3_u32 v0, v3, v0, s14
	s_mov_b64 s[6:7], exec
	v_lshrrev_b32_e32 v0, 20, v0
	s_andn2_saveexec_b64 s[12:13], s[12:13]
	s_cbranch_execnz .LBB15_1173
.LBB15_1015:
	s_or_b64 exec, exec, s[12:13]
	v_mov_b32_e32 v4, 0
	s_and_saveexec_b64 s[12:13], s[6:7]
.LBB15_1016:
	v_lshrrev_b32_e32 v4, 24, v3
	s_movk_i32 s6, 0x80
	v_and_or_b32 v4, v4, s6, v0
.LBB15_1017:
	s_or_b64 exec, exec, s[12:13]
.LBB15_1018:
	s_or_b64 exec, exec, s[2:3]
	global_store_byte v[1:2], v4, off
.LBB15_1019:
	s_mov_b64 s[6:7], 0
.LBB15_1020:
	s_mov_b64 s[2:3], 0
	s_and_b64 vcc, exec, s[6:7]
	s_cbranch_vccz .LBB15_1060
; %bb.1021:
	s_cmp_gt_i32 s17, 22
	s_mov_b64 s[6:7], -1
	s_cbranch_scc0 .LBB15_1053
; %bb.1022:
	s_cmp_lt_i32 s17, 24
	s_cbranch_scc1 .LBB15_1042
; %bb.1023:
	s_cmp_gt_i32 s17, 24
	s_cbranch_scc0 .LBB15_1031
; %bb.1024:
	v_and_b32_e32 v0, 0x7fffffff, v3
	s_mov_b32 s6, 0x47800000
	v_cmp_gt_u32_e32 vcc, s6, v0
	v_mov_b32_e32 v4, 0x80
	s_and_saveexec_b64 s[6:7], vcc
	s_cbranch_execz .LBB15_1030
; %bb.1025:
	s_mov_b32 s12, 0x37ffffff
	v_cmp_lt_u32_e32 vcc, s12, v0
	s_mov_b64 s[12:13], 0
                                        ; implicit-def: $vgpr0
	s_and_saveexec_b64 s[14:15], vcc
	s_xor_b64 s[14:15], exec, s[14:15]
	s_cbranch_execz .LBB15_1301
; %bb.1026:
	v_bfe_u32 v0, v3, 21, 1
	s_mov_b32 s18, 0x88fffff
	v_add3_u32 v0, v3, v0, s18
	s_mov_b64 s[12:13], exec
	v_lshrrev_b32_e32 v0, 21, v0
	s_andn2_saveexec_b64 s[14:15], s[14:15]
	s_cbranch_execnz .LBB15_1302
.LBB15_1027:
	s_or_b64 exec, exec, s[14:15]
	v_mov_b32_e32 v4, 0
	s_and_saveexec_b64 s[14:15], s[12:13]
.LBB15_1028:
	v_lshrrev_b32_e32 v4, 24, v3
	s_movk_i32 s12, 0x80
	v_and_or_b32 v4, v4, s12, v0
.LBB15_1029:
	s_or_b64 exec, exec, s[14:15]
.LBB15_1030:
	s_or_b64 exec, exec, s[6:7]
	s_mov_b64 s[6:7], 0
	global_store_byte v[1:2], v4, off
.LBB15_1031:
	s_and_b64 vcc, exec, s[6:7]
	s_cbranch_vccz .LBB15_1041
; %bb.1032:
	v_and_b32_e32 v4, 0x7fffffff, v3
	s_mov_b32 s6, 0x43f00000
	v_cmp_gt_u32_e32 vcc, s6, v4
                                        ; implicit-def: $vgpr0
	s_and_saveexec_b64 s[6:7], vcc
	s_xor_b64 s[6:7], exec, s[6:7]
	s_cbranch_execz .LBB15_1038
; %bb.1033:
	s_mov_b32 s12, 0x3c7fffff
	v_cmp_lt_u32_e32 vcc, s12, v4
                                        ; implicit-def: $vgpr0
	s_and_saveexec_b64 s[12:13], vcc
	s_xor_b64 s[12:13], exec, s[12:13]
; %bb.1034:
	v_bfe_u32 v0, v3, 20, 1
	s_mov_b32 s14, 0x407ffff
	v_add3_u32 v0, v3, v0, s14
	v_lshrrev_b32_e32 v4, 20, v0
	v_and_b32_e32 v0, 0xff00000, v0
	s_mov_b32 s14, 0x7f00000
	v_mov_b32_e32 v5, 0x7e
	v_cmp_ne_u32_e32 vcc, s14, v0
	v_cndmask_b32_e32 v0, v5, v4, vcc
; %bb.1035:
	s_andn2_saveexec_b64 s[12:13], s[12:13]
; %bb.1036:
	s_mov_b32 s14, 0x46800000
	v_add_f32_e64 v0, |v3|, s14
; %bb.1037:
	s_or_b64 exec, exec, s[12:13]
                                        ; implicit-def: $vgpr4
.LBB15_1038:
	s_andn2_saveexec_b64 s[6:7], s[6:7]
; %bb.1039:
	s_mov_b32 s12, 0x7f800000
	v_mov_b32_e32 v0, 0x7e
	v_mov_b32_e32 v5, 0x7f
	v_cmp_lt_u32_e32 vcc, s12, v4
	v_cndmask_b32_e32 v0, v0, v5, vcc
; %bb.1040:
	s_or_b64 exec, exec, s[6:7]
	v_lshrrev_b32_e32 v4, 24, v3
	s_movk_i32 s6, 0x80
	v_and_or_b32 v0, v4, s6, v0
	global_store_byte v[1:2], v0, off
.LBB15_1041:
	s_mov_b64 s[6:7], 0
.LBB15_1042:
	s_andn2_b64 vcc, exec, s[6:7]
	s_cbranch_vccnz .LBB15_1052
; %bb.1043:
	v_and_b32_e32 v4, 0x7fffffff, v3
	s_mov_b32 s6, 0x47800000
	v_cmp_gt_u32_e32 vcc, s6, v4
                                        ; implicit-def: $vgpr0
	s_and_saveexec_b64 s[6:7], vcc
	s_xor_b64 s[6:7], exec, s[6:7]
	s_cbranch_execz .LBB15_1049
; %bb.1044:
	s_mov_b32 s12, 0x387fffff
	v_cmp_lt_u32_e32 vcc, s12, v4
                                        ; implicit-def: $vgpr0
	s_and_saveexec_b64 s[12:13], vcc
	s_xor_b64 s[12:13], exec, s[12:13]
; %bb.1045:
	v_bfe_u32 v0, v3, 21, 1
	s_mov_b32 s14, 0x80fffff
	v_add3_u32 v0, v3, v0, s14
	v_lshrrev_b32_e32 v0, 21, v0
; %bb.1046:
	s_andn2_saveexec_b64 s[12:13], s[12:13]
; %bb.1047:
	s_mov_b32 s14, 0x43000000
	v_add_f32_e64 v0, |v3|, s14
; %bb.1048:
	s_or_b64 exec, exec, s[12:13]
                                        ; implicit-def: $vgpr4
.LBB15_1049:
	s_andn2_saveexec_b64 s[6:7], s[6:7]
; %bb.1050:
	s_mov_b32 s12, 0x7f800000
	v_mov_b32_e32 v0, 0x7c
	v_mov_b32_e32 v5, 0x7f
	v_cmp_lt_u32_e32 vcc, s12, v4
	v_cndmask_b32_e32 v0, v0, v5, vcc
; %bb.1051:
	s_or_b64 exec, exec, s[6:7]
	v_lshrrev_b32_e32 v4, 24, v3
	s_movk_i32 s6, 0x80
	v_and_or_b32 v0, v4, s6, v0
	global_store_byte v[1:2], v0, off
.LBB15_1052:
	s_mov_b64 s[6:7], 0
.LBB15_1053:
	s_andn2_b64 vcc, exec, s[6:7]
	s_mov_b64 s[6:7], 0
	s_cbranch_vccnz .LBB15_1061
; %bb.1054:
	s_cmp_gt_i32 s17, 14
	s_mov_b64 s[12:13], -1
	s_cbranch_scc0 .LBB15_1058
; %bb.1055:
	s_cmp_eq_u32 s17, 15
	s_mov_b64 s[0:1], -1
	s_cbranch_scc0 .LBB15_1057
; %bb.1056:
	v_bfe_u32 v0, v3, 16, 1
	s_movk_i32 s0, 0x7fff
	v_add3_u32 v0, v3, v0, s0
	v_cmp_o_f32_e32 vcc, v3, v3
	v_mov_b32_e32 v4, 0x7fc0
	v_cndmask_b32_sdwa v0, v4, v0, vcc dst_sel:DWORD dst_unused:UNUSED_PAD src0_sel:DWORD src1_sel:WORD_1
	global_store_short v[1:2], v0, off
	s_mov_b64 s[0:1], 0
.LBB15_1057:
	s_mov_b64 s[12:13], 0
.LBB15_1058:
	s_and_b64 vcc, exec, s[12:13]
	s_cbranch_vccz .LBB15_1061
; %bb.1059:
	s_cmp_lg_u32 s17, 11
	s_cselect_b64 s[12:13], -1, 0
	s_andn2_b64 s[0:1], s[0:1], exec
	s_and_b64 s[12:13], s[12:13], exec
	s_mov_b64 s[6:7], -1
	s_or_b64 s[0:1], s[0:1], s[12:13]
	s_branch .LBB15_1061
.LBB15_1060:
	s_mov_b64 s[6:7], 0
.LBB15_1061:
	s_andn2_b64 s[12:13], s[54:55], exec
	s_and_b64 s[0:1], s[0:1], exec
	s_and_b64 s[2:3], s[2:3], exec
	;; [unrolled: 1-line block ×3, first 2 shown]
	s_or_b64 s[54:55], s[12:13], s[0:1]
	s_or_b64 exec, exec, s[10:11]
	s_and_saveexec_b64 s[0:1], s[54:55]
	s_cbranch_execz .LBB15_1000
.LBB15_1062:
	s_or_b64 s[8:9], s[8:9], exec
	s_andn2_b64 s[6:7], s[6:7], exec
	s_trap 2
	s_or_b64 exec, exec, s[0:1]
	s_and_saveexec_b64 s[0:1], s[6:7]
	s_xor_b64 s[0:1], exec, s[0:1]
	s_cbranch_execnz .LBB15_1001
.LBB15_1063:
	s_or_b64 exec, exec, s[0:1]
	s_and_saveexec_b64 s[0:1], s[2:3]
	s_xor_b64 s[0:1], exec, s[0:1]
	s_cbranch_execz .LBB15_1101
.LBB15_1064:
	s_sext_i32_i16 s6, s16
	s_cmp_lt_i32 s6, 5
	s_mov_b64 s[2:3], -1
	s_cbranch_scc1 .LBB15_1085
; %bb.1065:
	s_cmp_lt_i32 s6, 8
	s_cbranch_scc1 .LBB15_1075
; %bb.1066:
	s_cmp_lt_i32 s6, 9
	s_cbranch_scc1 .LBB15_1072
; %bb.1067:
	s_cmp_gt_i32 s6, 9
	s_cbranch_scc0 .LBB15_1069
; %bb.1068:
	s_waitcnt vmcnt(0)
	v_cvt_f64_f32_e32 v[4:5], v3
	v_mov_b32_e32 v6, 0
	v_mov_b32_e32 v7, v6
	s_mov_b64 s[2:3], 0
	global_store_dwordx4 v[1:2], v[4:7], off
.LBB15_1069:
	s_andn2_b64 vcc, exec, s[2:3]
	s_cbranch_vccnz .LBB15_1071
; %bb.1070:
	s_waitcnt vmcnt(0)
	v_mov_b32_e32 v4, 0
	global_store_dwordx2 v[1:2], v[3:4], off
.LBB15_1071:
	s_mov_b64 s[2:3], 0
.LBB15_1072:
	s_andn2_b64 vcc, exec, s[2:3]
	s_cbranch_vccnz .LBB15_1074
; %bb.1073:
	s_waitcnt vmcnt(0)
	v_cvt_f16_f32_e32 v0, v3
	global_store_dword v[1:2], v0, off
.LBB15_1074:
	s_mov_b64 s[2:3], 0
.LBB15_1075:
	s_andn2_b64 vcc, exec, s[2:3]
	s_cbranch_vccnz .LBB15_1084
; %bb.1076:
	s_sext_i32_i16 s6, s16
	s_cmp_lt_i32 s6, 6
	s_mov_b64 s[2:3], -1
	s_cbranch_scc1 .LBB15_1082
; %bb.1077:
	s_cmp_gt_i32 s6, 6
	s_cbranch_scc0 .LBB15_1079
; %bb.1078:
	s_waitcnt vmcnt(0)
	v_cvt_f64_f32_e32 v[4:5], v3
	s_mov_b64 s[2:3], 0
	global_store_dwordx2 v[1:2], v[4:5], off
.LBB15_1079:
	s_andn2_b64 vcc, exec, s[2:3]
	s_cbranch_vccnz .LBB15_1081
; %bb.1080:
	s_waitcnt vmcnt(0)
	global_store_dword v[1:2], v3, off
.LBB15_1081:
	s_mov_b64 s[2:3], 0
.LBB15_1082:
	s_andn2_b64 vcc, exec, s[2:3]
	s_cbranch_vccnz .LBB15_1084
; %bb.1083:
	s_waitcnt vmcnt(0)
	v_cvt_f16_f32_e32 v0, v3
	global_store_short v[1:2], v0, off
.LBB15_1084:
	s_mov_b64 s[2:3], 0
.LBB15_1085:
	s_andn2_b64 vcc, exec, s[2:3]
	s_cbranch_vccnz .LBB15_1101
; %bb.1086:
	s_sext_i32_i16 s6, s16
	s_cmp_lt_i32 s6, 2
	s_mov_b64 s[2:3], -1
	s_cbranch_scc1 .LBB15_1096
; %bb.1087:
	s_cmp_lt_i32 s6, 3
	s_cbranch_scc1 .LBB15_1093
; %bb.1088:
	s_cmp_gt_i32 s6, 3
	s_cbranch_scc0 .LBB15_1090
; %bb.1089:
	s_waitcnt vmcnt(0)
	v_trunc_f32_e32 v0, v3
	s_mov_b32 s2, 0x2f800000
	v_mul_f32_e64 v4, |v0|, s2
	v_floor_f32_e32 v4, v4
	s_mov_b32 s2, 0xcf800000
	v_cvt_u32_f32_e32 v5, v4
	v_fma_f32 v4, v4, s2, |v0|
	v_cvt_u32_f32_e32 v4, v4
	v_ashrrev_i32_e32 v0, 31, v0
	v_xor_b32_e32 v5, v5, v0
	s_mov_b64 s[2:3], 0
	v_xor_b32_e32 v4, v4, v0
	v_sub_co_u32_e32 v4, vcc, v4, v0
	v_subb_co_u32_e32 v5, vcc, v5, v0, vcc
	global_store_dwordx2 v[1:2], v[4:5], off
.LBB15_1090:
	s_andn2_b64 vcc, exec, s[2:3]
	s_cbranch_vccnz .LBB15_1092
; %bb.1091:
	s_waitcnt vmcnt(0)
	v_cvt_i32_f32_e32 v0, v3
	global_store_dword v[1:2], v0, off
.LBB15_1092:
	s_mov_b64 s[2:3], 0
.LBB15_1093:
	s_andn2_b64 vcc, exec, s[2:3]
	s_cbranch_vccnz .LBB15_1095
; %bb.1094:
	s_waitcnt vmcnt(0)
	v_cvt_i32_f32_e32 v0, v3
	global_store_short v[1:2], v0, off
.LBB15_1095:
	s_mov_b64 s[2:3], 0
.LBB15_1096:
	s_andn2_b64 vcc, exec, s[2:3]
	s_cbranch_vccnz .LBB15_1101
; %bb.1097:
	s_sext_i32_i16 s2, s16
	s_cmp_gt_i32 s2, 0
	s_mov_b64 s[2:3], -1
	s_cbranch_scc0 .LBB15_1099
; %bb.1098:
	s_waitcnt vmcnt(0)
	v_cvt_i32_f32_e32 v0, v3
	s_mov_b64 s[2:3], 0
	global_store_byte v[1:2], v0, off
.LBB15_1099:
	s_andn2_b64 vcc, exec, s[2:3]
	s_cbranch_vccnz .LBB15_1101
; %bb.1100:
	s_waitcnt vmcnt(0)
	v_trunc_f32_e32 v0, v3
	s_mov_b32 s2, 0x2f800000
	v_mul_f32_e64 v3, |v0|, s2
	v_floor_f32_e32 v3, v3
	s_mov_b32 s2, 0xcf800000
	v_fma_f32 v3, v3, s2, |v0|
	v_cvt_u32_f32_e32 v3, v3
	v_ashrrev_i32_e32 v0, 31, v0
	v_xor_b32_e32 v3, v3, v0
	v_sub_u32_e32 v0, v3, v0
	global_store_byte v[1:2], v0, off
.LBB15_1101:
	s_or_b64 exec, exec, s[0:1]
	s_and_b64 s[6:7], s[8:9], exec
                                        ; implicit-def: $vgpr15
                                        ; implicit-def: $vgpr8
.LBB15_1102:
	s_waitcnt lgkmcnt(0)
	s_or_saveexec_b64 s[28:29], s[44:45]
	s_mov_b64 s[0:1], 0
                                        ; implicit-def: $vgpr0_vgpr1
                                        ; implicit-def: $sgpr16
                                        ; implicit-def: $vgpr2
	s_xor_b64 exec, exec, s[28:29]
	s_cbranch_execz .LBB15_2122
; %bb.1103:
	v_cndmask_b32_e64 v0, 0, 1, s[42:43]
	v_cmp_ne_u32_e64 s[0:1], 1, v0
	s_andn2_b64 vcc, exec, s[42:43]
	s_cbranch_vccnz .LBB15_1109
; %bb.1104:
	s_cmp_lg_u32 s33, 0
	s_mov_b32 s36, 0
	s_cbranch_scc0 .LBB15_1110
; %bb.1105:
	s_min_u32 s37, s72, 15
	s_add_i32 s37, s37, 1
	s_cmp_eq_u32 s72, 2
	s_cbranch_scc1 .LBB15_1111
; %bb.1106:
	s_and_b32 s36, s37, 28
	s_add_u32 s2, s34, 0xc4
	s_addc_u32 s3, s35, 0
	v_mov_b32_e32 v13, 0
	s_mov_b32 s38, 0
	s_mov_b64 s[30:31], s[34:35]
	v_mov_b32_e32 v6, 0
	v_mov_b32_e32 v0, v8
.LBB15_1107:                            ; =>This Inner Loop Header: Depth=1
	s_load_dwordx8 s[16:23], s[30:31], 0x4
	s_load_dwordx4 s[24:27], s[30:31], 0x24
	s_load_dwordx8 s[8:15], s[2:3], 0x0
	s_add_u32 s30, s30, 48
	s_addc_u32 s31, s31, 0
	s_waitcnt lgkmcnt(0)
	v_mul_hi_u32 v1, s17, v0
	s_add_i32 s38, s38, 4
	s_add_u32 s2, s2, 32
	s_addc_u32 s3, s3, 0
	v_add_u32_e32 v1, v0, v1
	v_lshrrev_b32_e32 v1, s18, v1
	v_mul_lo_u32 v2, v1, s16
	s_waitcnt vmcnt(0)
	v_mul_hi_u32 v3, s20, v1
	s_cmp_lg_u32 s36, s38
	v_sub_u32_e32 v0, v0, v2
	v_add_u32_e32 v2, v1, v3
	v_mul_lo_u32 v3, v0, s8
	v_mul_lo_u32 v4, v0, s9
	v_lshrrev_b32_e32 v0, s21, v2
	v_mul_lo_u32 v2, v0, s19
	v_mul_hi_u32 v5, s23, v0
	v_sub_u32_e32 v1, v1, v2
	v_add_u32_e32 v2, v0, v5
	v_lshrrev_b32_e32 v2, s24, v2
	v_mul_hi_u32 v7, s26, v2
	v_mul_lo_u32 v9, v2, s22
	v_mul_lo_u32 v5, v1, s10
	;; [unrolled: 1-line block ×3, first 2 shown]
	v_sub_u32_e32 v9, v0, v9
	v_add_u32_e32 v0, v2, v7
	v_lshrrev_b32_e32 v0, s27, v0
	v_mul_lo_u32 v7, v0, s25
	v_mul_lo_u32 v10, v9, s12
	;; [unrolled: 1-line block ×3, first 2 shown]
	v_add3_u32 v3, v3, v6, v5
	v_sub_u32_e32 v2, v2, v7
	v_mul_lo_u32 v7, v2, s14
	v_mul_lo_u32 v2, v2, s15
	v_add3_u32 v1, v4, v13, v1
	v_add3_u32 v6, v10, v3, v7
	;; [unrolled: 1-line block ×3, first 2 shown]
	s_cbranch_scc1 .LBB15_1107
; %bb.1108:
	s_and_b32 s10, s37, 3
	s_cmp_eq_u32 s10, 0
	s_cbranch_scc0 .LBB15_1112
	s_branch .LBB15_1114
.LBB15_1109:
                                        ; implicit-def: $vgpr6
                                        ; implicit-def: $vgpr13
	s_branch .LBB15_1115
.LBB15_1110:
	v_mov_b32_e32 v6, 0
	v_mov_b32_e32 v13, 0
	s_branch .LBB15_1114
.LBB15_1111:
	v_mov_b32_e32 v6, 0
	v_mov_b32_e32 v13, 0
	;; [unrolled: 1-line block ×3, first 2 shown]
	s_and_b32 s10, s37, 3
	s_cmp_eq_u32 s10, 0
	s_cbranch_scc1 .LBB15_1114
.LBB15_1112:
	s_lshl_b32 s2, s36, 3
	s_add_u32 s2, s34, s2
	s_addc_u32 s3, s35, 0
	s_add_u32 s2, s2, 0xc4
	s_addc_u32 s3, s3, 0
	s_mul_i32 s8, s36, 12
	s_add_u32 s8, s34, s8
	s_addc_u32 s9, s35, 0
.LBB15_1113:                            ; =>This Inner Loop Header: Depth=1
	s_load_dwordx2 s[12:13], s[8:9], 0x4
	s_load_dword s11, s[8:9], 0xc
	s_load_dwordx2 s[14:15], s[2:3], 0x0
	s_add_u32 s8, s8, 12
	s_addc_u32 s9, s9, 0
	s_waitcnt lgkmcnt(0)
	v_mul_hi_u32 v1, s13, v0
	s_add_u32 s2, s2, 8
	s_addc_u32 s3, s3, 0
	s_add_i32 s10, s10, -1
	v_add_u32_e32 v1, v0, v1
	v_lshrrev_b32_e32 v1, s11, v1
	v_mul_lo_u32 v2, v1, s12
	s_cmp_lg_u32 s10, 0
	v_sub_u32_e32 v0, v0, v2
	v_mad_u64_u32 v[6:7], s[12:13], v0, s14, v[6:7]
	v_mad_u64_u32 v[13:14], s[12:13], v0, s15, v[13:14]
	v_mov_b32_e32 v0, v1
	s_cbranch_scc1 .LBB15_1113
.LBB15_1114:
	s_cbranch_execnz .LBB15_1117
.LBB15_1115:
	s_load_dwordx4 s[8:11], s[34:35], 0x4
	s_load_dwordx2 s[2:3], s[34:35], 0xc4
	s_cmp_lt_u32 s33, 2
	s_waitcnt lgkmcnt(0)
	v_mul_hi_u32 v0, s9, v8
	v_add_u32_e32 v0, v8, v0
	v_lshrrev_b32_e32 v0, s10, v0
	v_mul_lo_u32 v1, v0, s8
	v_sub_u32_e32 v1, v8, v1
	v_mul_lo_u32 v6, v1, s2
	v_mul_lo_u32 v13, v1, s3
	s_cbranch_scc1 .LBB15_1117
; %bb.1116:
	s_load_dwordx4 s[8:11], s[34:35], 0x10
	s_load_dwordx2 s[2:3], s[34:35], 0xcc
	s_waitcnt lgkmcnt(0)
	v_mul_hi_u32 v1, s9, v0
	v_add_u32_e32 v1, v0, v1
	v_lshrrev_b32_e32 v1, s10, v1
	v_mul_lo_u32 v1, v1, s8
	v_sub_u32_e32 v0, v0, v1
	v_mad_u64_u32 v[6:7], s[8:9], v0, s2, v[6:7]
	v_mad_u64_u32 v[13:14], s[2:3], v0, s3, v[13:14]
.LBB15_1117:
	s_and_b64 vcc, exec, s[0:1]
	v_add_u32_e32 v0, 0x80, v8
	s_cbranch_vccnz .LBB15_1123
; %bb.1118:
	s_cmp_lg_u32 s33, 0
	s_mov_b32 s36, 0
	s_cbranch_scc0 .LBB15_1124
; %bb.1119:
	s_min_u32 s37, s72, 15
	s_add_i32 s37, s37, 1
	s_cmp_eq_u32 s72, 2
	s_cbranch_scc1 .LBB15_1125
; %bb.1120:
	s_and_b32 s36, s37, 28
	s_add_u32 s2, s34, 0xc4
	s_addc_u32 s3, s35, 0
	v_mov_b32_e32 v11, 0
	s_mov_b32 s38, 0
	s_mov_b64 s[30:31], s[34:35]
	s_waitcnt vmcnt(0)
	v_mov_b32_e32 v4, 0
	v_mov_b32_e32 v1, v0
.LBB15_1121:                            ; =>This Inner Loop Header: Depth=1
	s_load_dwordx8 s[16:23], s[30:31], 0x4
	s_load_dwordx4 s[24:27], s[30:31], 0x24
	s_load_dwordx8 s[8:15], s[2:3], 0x0
	s_add_u32 s30, s30, 48
	s_addc_u32 s31, s31, 0
	s_waitcnt lgkmcnt(0)
	v_mul_hi_u32 v2, s17, v1
	s_add_i32 s38, s38, 4
	s_add_u32 s2, s2, 32
	s_addc_u32 s3, s3, 0
	v_add_u32_e32 v2, v1, v2
	v_lshrrev_b32_e32 v2, s18, v2
	v_mul_lo_u32 v3, v2, s16
	v_mul_hi_u32 v5, s20, v2
	s_cmp_lg_u32 s36, s38
	v_sub_u32_e32 v1, v1, v3
	v_add_u32_e32 v3, v2, v5
	v_mul_lo_u32 v5, v1, s8
	v_mul_lo_u32 v7, v1, s9
	v_lshrrev_b32_e32 v1, s21, v3
	v_mul_lo_u32 v3, v1, s19
	v_mul_hi_u32 v9, s23, v1
	v_sub_u32_e32 v2, v2, v3
	v_add_u32_e32 v3, v1, v9
	v_lshrrev_b32_e32 v3, s24, v3
	v_mul_hi_u32 v10, s26, v3
	v_mul_lo_u32 v12, v3, s22
	v_mul_lo_u32 v9, v2, s10
	;; [unrolled: 1-line block ×3, first 2 shown]
	v_sub_u32_e32 v12, v1, v12
	v_add_u32_e32 v1, v3, v10
	v_lshrrev_b32_e32 v1, s27, v1
	v_mul_lo_u32 v10, v1, s25
	v_mul_lo_u32 v14, v12, s12
	;; [unrolled: 1-line block ×3, first 2 shown]
	v_add3_u32 v4, v5, v4, v9
	v_sub_u32_e32 v3, v3, v10
	v_mul_lo_u32 v10, v3, s14
	v_mul_lo_u32 v3, v3, s15
	v_add3_u32 v2, v7, v11, v2
	v_add3_u32 v4, v14, v4, v10
	;; [unrolled: 1-line block ×3, first 2 shown]
	s_cbranch_scc1 .LBB15_1121
; %bb.1122:
	s_and_b32 s10, s37, 3
	s_cmp_eq_u32 s10, 0
	s_cbranch_scc0 .LBB15_1126
	s_branch .LBB15_1128
.LBB15_1123:
                                        ; implicit-def: $vgpr4
                                        ; implicit-def: $vgpr11
	s_branch .LBB15_1129
.LBB15_1124:
	s_waitcnt vmcnt(0)
	v_mov_b32_e32 v4, 0
	v_mov_b32_e32 v11, 0
	s_branch .LBB15_1128
.LBB15_1125:
	s_waitcnt vmcnt(0)
	v_mov_b32_e32 v4, 0
	v_mov_b32_e32 v11, 0
	v_mov_b32_e32 v1, v0
	s_and_b32 s10, s37, 3
	s_cmp_eq_u32 s10, 0
	s_cbranch_scc1 .LBB15_1128
.LBB15_1126:
	s_lshl_b32 s2, s36, 3
	s_add_u32 s2, s34, s2
	s_addc_u32 s3, s35, 0
	s_add_u32 s2, s2, 0xc4
	s_addc_u32 s3, s3, 0
	s_mul_i32 s8, s36, 12
	s_add_u32 s8, s34, s8
	s_addc_u32 s9, s35, 0
.LBB15_1127:                            ; =>This Inner Loop Header: Depth=1
	s_load_dwordx2 s[12:13], s[8:9], 0x4
	s_load_dword s11, s[8:9], 0xc
	s_load_dwordx2 s[14:15], s[2:3], 0x0
	s_add_u32 s8, s8, 12
	s_addc_u32 s9, s9, 0
	s_waitcnt lgkmcnt(0)
	v_mul_hi_u32 v2, s13, v1
	s_add_u32 s2, s2, 8
	s_addc_u32 s3, s3, 0
	s_add_i32 s10, s10, -1
	v_add_u32_e32 v2, v1, v2
	v_lshrrev_b32_e32 v2, s11, v2
	v_mul_lo_u32 v3, v2, s12
	s_cmp_lg_u32 s10, 0
	v_sub_u32_e32 v1, v1, v3
	v_mad_u64_u32 v[4:5], s[12:13], v1, s14, v[4:5]
	v_mad_u64_u32 v[11:12], s[12:13], v1, s15, v[11:12]
	v_mov_b32_e32 v1, v2
	s_cbranch_scc1 .LBB15_1127
.LBB15_1128:
	s_cbranch_execnz .LBB15_1131
.LBB15_1129:
	s_load_dwordx4 s[8:11], s[34:35], 0x4
	s_load_dwordx2 s[2:3], s[34:35], 0xc4
	s_cmp_lt_u32 s33, 2
	s_waitcnt lgkmcnt(0)
	v_mul_hi_u32 v1, s9, v0
	v_add_u32_e32 v1, v0, v1
	v_lshrrev_b32_e32 v1, s10, v1
	v_mul_lo_u32 v2, v1, s8
	v_sub_u32_e32 v0, v0, v2
	s_waitcnt vmcnt(0)
	v_mul_lo_u32 v4, v0, s2
	v_mul_lo_u32 v11, v0, s3
	s_cbranch_scc1 .LBB15_1131
; %bb.1130:
	s_load_dwordx4 s[8:11], s[34:35], 0x10
	s_load_dwordx2 s[2:3], s[34:35], 0xcc
	s_waitcnt lgkmcnt(0)
	v_mul_hi_u32 v0, s9, v1
	v_add_u32_e32 v0, v1, v0
	v_lshrrev_b32_e32 v0, s10, v0
	v_mul_lo_u32 v0, v0, s8
	v_sub_u32_e32 v0, v1, v0
	v_mad_u64_u32 v[4:5], s[8:9], v0, s2, v[4:5]
	v_mad_u64_u32 v[11:12], s[2:3], v0, s3, v[11:12]
.LBB15_1131:
	s_and_b64 vcc, exec, s[0:1]
	v_add_u32_e32 v0, 0x100, v8
	s_cbranch_vccnz .LBB15_1137
; %bb.1132:
	s_cmp_lg_u32 s33, 0
	s_mov_b32 s36, 0
	s_cbranch_scc0 .LBB15_1138
; %bb.1133:
	s_min_u32 s37, s72, 15
	s_add_i32 s37, s37, 1
	s_cmp_eq_u32 s72, 2
	s_cbranch_scc1 .LBB15_1139
; %bb.1134:
	s_and_b32 s36, s37, 28
	s_add_u32 s2, s34, 0xc4
	s_addc_u32 s3, s35, 0
	v_mov_b32_e32 v9, 0
	s_mov_b32 s38, 0
	s_mov_b64 s[30:31], s[34:35]
	v_mov_b32_e32 v2, 0
	v_mov_b32_e32 v1, v0
.LBB15_1135:                            ; =>This Inner Loop Header: Depth=1
	s_load_dwordx8 s[16:23], s[30:31], 0x4
	s_load_dwordx4 s[24:27], s[30:31], 0x24
	s_load_dwordx8 s[8:15], s[2:3], 0x0
	s_add_u32 s30, s30, 48
	s_addc_u32 s31, s31, 0
	s_waitcnt vmcnt(0) lgkmcnt(0)
	v_mul_hi_u32 v3, s17, v1
	s_add_i32 s38, s38, 4
	s_add_u32 s2, s2, 32
	s_addc_u32 s3, s3, 0
	v_add_u32_e32 v3, v1, v3
	v_lshrrev_b32_e32 v3, s18, v3
	v_mul_lo_u32 v5, v3, s16
	v_mul_hi_u32 v7, s20, v3
	s_cmp_lg_u32 s36, s38
	v_sub_u32_e32 v1, v1, v5
	v_add_u32_e32 v5, v3, v7
	v_mul_lo_u32 v7, v1, s8
	v_mul_lo_u32 v8, v1, s9
	v_lshrrev_b32_e32 v1, s21, v5
	v_mul_lo_u32 v5, v1, s19
	v_mul_hi_u32 v10, s23, v1
	v_sub_u32_e32 v3, v3, v5
	v_add_u32_e32 v5, v1, v10
	v_lshrrev_b32_e32 v5, s24, v5
	v_mul_hi_u32 v12, s26, v5
	v_mul_lo_u32 v14, v5, s22
	v_mul_lo_u32 v10, v3, s10
	;; [unrolled: 1-line block ×3, first 2 shown]
	v_sub_u32_e32 v14, v1, v14
	v_add_u32_e32 v1, v5, v12
	v_lshrrev_b32_e32 v1, s27, v1
	v_mul_lo_u32 v12, v1, s25
	v_mul_lo_u32 v16, v14, s12
	;; [unrolled: 1-line block ×3, first 2 shown]
	v_add3_u32 v2, v7, v2, v10
	v_sub_u32_e32 v5, v5, v12
	v_mul_lo_u32 v12, v5, s14
	v_mul_lo_u32 v5, v5, s15
	v_add3_u32 v3, v8, v9, v3
	v_add3_u32 v2, v16, v2, v12
	;; [unrolled: 1-line block ×3, first 2 shown]
	s_cbranch_scc1 .LBB15_1135
; %bb.1136:
	s_and_b32 s10, s37, 3
	s_cmp_eq_u32 s10, 0
	s_cbranch_scc0 .LBB15_1140
	s_branch .LBB15_1142
.LBB15_1137:
                                        ; implicit-def: $vgpr2
                                        ; implicit-def: $vgpr9
	s_branch .LBB15_1143
.LBB15_1138:
	v_mov_b32_e32 v2, 0
	v_mov_b32_e32 v9, 0
	s_branch .LBB15_1142
.LBB15_1139:
	v_mov_b32_e32 v2, 0
	v_mov_b32_e32 v9, 0
	v_mov_b32_e32 v1, v0
	s_and_b32 s10, s37, 3
	s_cmp_eq_u32 s10, 0
	s_cbranch_scc1 .LBB15_1142
.LBB15_1140:
	s_lshl_b32 s2, s36, 3
	s_add_u32 s2, s34, s2
	s_addc_u32 s3, s35, 0
	s_add_u32 s2, s2, 0xc4
	s_addc_u32 s3, s3, 0
	s_mul_i32 s8, s36, 12
	s_add_u32 s8, s34, s8
	s_addc_u32 s9, s35, 0
.LBB15_1141:                            ; =>This Inner Loop Header: Depth=1
	s_load_dwordx2 s[12:13], s[8:9], 0x4
	s_load_dword s11, s[8:9], 0xc
	s_load_dwordx2 s[14:15], s[2:3], 0x0
	s_add_u32 s8, s8, 12
	s_addc_u32 s9, s9, 0
	s_waitcnt vmcnt(0) lgkmcnt(0)
	v_mul_hi_u32 v3, s13, v1
	s_add_u32 s2, s2, 8
	s_addc_u32 s3, s3, 0
	s_add_i32 s10, s10, -1
	v_add_u32_e32 v3, v1, v3
	v_lshrrev_b32_e32 v5, s11, v3
	v_mul_lo_u32 v3, v5, s12
	s_cmp_lg_u32 s10, 0
	v_sub_u32_e32 v1, v1, v3
	v_mad_u64_u32 v[2:3], s[12:13], v1, s14, v[2:3]
	v_mad_u64_u32 v[9:10], s[12:13], v1, s15, v[9:10]
	v_mov_b32_e32 v1, v5
	s_cbranch_scc1 .LBB15_1141
.LBB15_1142:
	s_cbranch_execnz .LBB15_1145
.LBB15_1143:
	s_load_dwordx4 s[8:11], s[34:35], 0x4
	s_load_dwordx2 s[2:3], s[34:35], 0xc4
	s_cmp_lt_u32 s33, 2
	s_waitcnt lgkmcnt(0)
	v_mul_hi_u32 v1, s9, v0
	v_add_u32_e32 v1, v0, v1
	v_lshrrev_b32_e32 v1, s10, v1
	v_mul_lo_u32 v2, v1, s8
	v_sub_u32_e32 v0, v0, v2
	v_mul_lo_u32 v2, v0, s2
	v_mul_lo_u32 v9, v0, s3
	s_cbranch_scc1 .LBB15_1145
; %bb.1144:
	s_load_dwordx4 s[8:11], s[34:35], 0x10
	s_load_dwordx2 s[2:3], s[34:35], 0xcc
	s_waitcnt lgkmcnt(0)
	v_mul_hi_u32 v0, s9, v1
	v_add_u32_e32 v0, v1, v0
	v_lshrrev_b32_e32 v0, s10, v0
	v_mul_lo_u32 v0, v0, s8
	v_sub_u32_e32 v0, v1, v0
	s_waitcnt vmcnt(0)
	v_mad_u64_u32 v[2:3], s[8:9], v0, s2, v[2:3]
	v_mad_u64_u32 v[9:10], s[2:3], v0, s3, v[9:10]
.LBB15_1145:
	s_and_b64 vcc, exec, s[0:1]
	s_cbranch_vccnz .LBB15_1151
; %bb.1146:
	s_cmp_lg_u32 s33, 0
	s_mov_b32 s30, 0
	s_cbranch_scc0 .LBB15_1152
; %bb.1147:
	s_min_u32 s31, s72, 15
	s_add_i32 s31, s31, 1
	s_cmp_eq_u32 s72, 2
	s_cbranch_scc1 .LBB15_1153
; %bb.1148:
	s_and_b32 s30, s31, 28
	s_add_u32 s24, s34, 0xc4
	s_addc_u32 s25, s35, 0
	v_mov_b32_e32 v7, 0
	s_mov_b32 s36, 0
	s_mov_b64 s[26:27], s[34:35]
	v_mov_b32_e32 v0, 0
	v_mov_b32_e32 v1, v15
.LBB15_1149:                            ; =>This Inner Loop Header: Depth=1
	s_load_dwordx8 s[16:23], s[26:27], 0x4
	s_load_dwordx4 s[0:3], s[26:27], 0x24
	s_load_dwordx8 s[8:15], s[24:25], 0x0
	s_add_u32 s26, s26, 48
	s_addc_u32 s27, s27, 0
	s_waitcnt vmcnt(0) lgkmcnt(0)
	v_mul_hi_u32 v3, s17, v1
	s_add_i32 s36, s36, 4
	s_add_u32 s24, s24, 32
	s_addc_u32 s25, s25, 0
	v_add_u32_e32 v3, v1, v3
	v_lshrrev_b32_e32 v3, s18, v3
	v_mul_lo_u32 v5, v3, s16
	v_mul_hi_u32 v8, s20, v3
	s_cmp_lg_u32 s30, s36
	v_sub_u32_e32 v1, v1, v5
	v_add_u32_e32 v5, v3, v8
	v_mul_lo_u32 v8, v1, s8
	v_mul_lo_u32 v10, v1, s9
	v_lshrrev_b32_e32 v1, s21, v5
	v_mul_lo_u32 v5, v1, s19
	v_mul_hi_u32 v12, s23, v1
	v_sub_u32_e32 v3, v3, v5
	v_add_u32_e32 v5, v1, v12
	v_lshrrev_b32_e32 v5, s0, v5
	v_mul_hi_u32 v14, s2, v5
	v_mul_lo_u32 v16, v5, s22
	v_mul_lo_u32 v12, v3, s10
	;; [unrolled: 1-line block ×3, first 2 shown]
	v_sub_u32_e32 v16, v1, v16
	v_add_u32_e32 v1, v5, v14
	v_lshrrev_b32_e32 v1, s3, v1
	v_mul_lo_u32 v14, v1, s1
	v_mul_lo_u32 v17, v16, s12
	;; [unrolled: 1-line block ×3, first 2 shown]
	v_add3_u32 v0, v8, v0, v12
	v_sub_u32_e32 v5, v5, v14
	v_mul_lo_u32 v14, v5, s14
	v_mul_lo_u32 v5, v5, s15
	v_add3_u32 v3, v10, v7, v3
	v_add3_u32 v0, v17, v0, v14
	;; [unrolled: 1-line block ×3, first 2 shown]
	s_cbranch_scc1 .LBB15_1149
; %bb.1150:
	s_and_b32 s8, s31, 3
	s_cmp_eq_u32 s8, 0
	s_cbranch_scc0 .LBB15_1154
	s_branch .LBB15_1156
.LBB15_1151:
                                        ; implicit-def: $vgpr0
                                        ; implicit-def: $vgpr7
	s_branch .LBB15_1157
.LBB15_1152:
	v_mov_b32_e32 v0, 0
	v_mov_b32_e32 v7, 0
	s_branch .LBB15_1156
.LBB15_1153:
	v_mov_b32_e32 v0, 0
	v_mov_b32_e32 v7, 0
	v_mov_b32_e32 v1, v15
	s_and_b32 s8, s31, 3
	s_cmp_eq_u32 s8, 0
	s_cbranch_scc1 .LBB15_1156
.LBB15_1154:
	s_lshl_b32 s0, s30, 3
	s_add_u32 s0, s34, s0
	s_addc_u32 s1, s35, 0
	s_add_u32 s0, s0, 0xc4
	s_addc_u32 s1, s1, 0
	s_mul_i32 s2, s30, 12
	s_add_u32 s2, s34, s2
	s_addc_u32 s3, s35, 0
.LBB15_1155:                            ; =>This Inner Loop Header: Depth=1
	s_load_dwordx2 s[10:11], s[2:3], 0x4
	s_load_dword s9, s[2:3], 0xc
	s_load_dwordx2 s[12:13], s[0:1], 0x0
	s_add_u32 s2, s2, 12
	s_addc_u32 s3, s3, 0
	s_waitcnt vmcnt(0) lgkmcnt(0)
	v_mul_hi_u32 v3, s11, v1
	s_add_u32 s0, s0, 8
	s_addc_u32 s1, s1, 0
	s_add_i32 s8, s8, -1
	v_add_u32_e32 v3, v1, v3
	v_lshrrev_b32_e32 v3, s9, v3
	v_mul_lo_u32 v5, v3, s10
	s_cmp_lg_u32 s8, 0
	v_sub_u32_e32 v5, v1, v5
	v_mad_u64_u32 v[0:1], s[10:11], v5, s12, v[0:1]
	v_mad_u64_u32 v[7:8], s[10:11], v5, s13, v[7:8]
	v_mov_b32_e32 v1, v3
	s_cbranch_scc1 .LBB15_1155
.LBB15_1156:
	s_cbranch_execnz .LBB15_1159
.LBB15_1157:
	s_load_dwordx4 s[0:3], s[34:35], 0x4
	s_load_dwordx2 s[8:9], s[34:35], 0xc4
	s_cmp_lt_u32 s33, 2
	s_waitcnt lgkmcnt(0)
	v_mul_hi_u32 v0, s1, v15
	v_add_u32_e32 v0, v15, v0
	v_lshrrev_b32_e32 v1, s2, v0
	v_mul_lo_u32 v0, v1, s0
	s_waitcnt vmcnt(0)
	v_sub_u32_e32 v3, v15, v0
	v_mul_lo_u32 v0, v3, s8
	v_mul_lo_u32 v7, v3, s9
	s_cbranch_scc1 .LBB15_1159
; %bb.1158:
	s_load_dwordx4 s[0:3], s[34:35], 0x10
	s_load_dwordx2 s[8:9], s[34:35], 0xcc
	s_waitcnt lgkmcnt(0)
	v_mul_hi_u32 v3, s1, v1
	v_add_u32_e32 v3, v1, v3
	v_lshrrev_b32_e32 v3, s2, v3
	v_mul_lo_u32 v3, v3, s0
	v_sub_u32_e32 v3, v1, v3
	v_mad_u64_u32 v[0:1], s[0:1], v3, s8, v[0:1]
	v_mad_u64_u32 v[7:8], s[0:1], v3, s9, v[7:8]
.LBB15_1159:
	s_load_dwordx4 s[8:11], s[34:35], 0x148
	s_load_dword s18, s[4:5], 0x160
	s_waitcnt lgkmcnt(0)
	v_mov_b32_e32 v1, s11
	s_bfe_u32 s16, s18, 0x80010
	v_add_co_u32_e32 v12, vcc, s10, v13
	s_cmp_lt_i32 s16, 11
	v_addc_co_u32_e32 v13, vcc, 0, v1, vcc
	s_cbranch_scc1 .LBB15_1166
; %bb.1160:
	s_and_b32 s17, 0xffff, s16
	s_cmp_gt_i32 s17, 25
	s_mov_b64 s[2:3], 0
	s_cbranch_scc0 .LBB15_1168
; %bb.1161:
	s_cmp_gt_i32 s17, 28
	s_cbranch_scc0 .LBB15_1169
; %bb.1162:
	s_cmp_gt_i32 s17, 43
	;; [unrolled: 3-line block ×3, first 2 shown]
	s_cbranch_scc0 .LBB15_1171
; %bb.1164:
	s_cmp_eq_u32 s17, 46
	s_mov_b64 s[12:13], 0
	s_cbranch_scc0 .LBB15_1174
; %bb.1165:
	global_load_dword v1, v[12:13], off
	s_mov_b64 s[0:1], 0
	s_mov_b64 s[4:5], -1
	s_waitcnt vmcnt(0)
	v_lshlrev_b32_e32 v1, 16, v1
	s_branch .LBB15_1175
.LBB15_1166:
	s_mov_b64 s[4:5], 0
                                        ; implicit-def: $vgpr1
	s_mov_b64 s[12:13], s[6:7]
	s_cbranch_execnz .LBB15_1238
.LBB15_1167:
	s_andn2_b64 vcc, exec, s[4:5]
	s_cbranch_vccz .LBB15_1283
	s_branch .LBB15_2120
.LBB15_1168:
	s_mov_b64 s[4:5], 0
	s_mov_b64 s[0:1], 0
                                        ; implicit-def: $vgpr1
	s_cbranch_execnz .LBB15_1203
	s_branch .LBB15_1234
.LBB15_1169:
	s_mov_b64 s[12:13], -1
	s_mov_b64 s[4:5], 0
	s_mov_b64 s[0:1], 0
                                        ; implicit-def: $vgpr1
	s_branch .LBB15_1184
.LBB15_1170:
	s_mov_b64 s[4:5], 0
	s_mov_b64 s[0:1], 0
                                        ; implicit-def: $vgpr1
	s_cbranch_execnz .LBB15_1180
	s_branch .LBB15_1183
.LBB15_1171:
	s_mov_b64 s[12:13], -1
	s_mov_b64 s[4:5], 0
	s_mov_b64 s[0:1], 0
                                        ; implicit-def: $vgpr1
	s_branch .LBB15_1175
.LBB15_1172:
	s_andn2_saveexec_b64 s[12:13], s[12:13]
	s_cbranch_execz .LBB15_1015
.LBB15_1173:
	s_mov_b32 s14, 0x46000000
	v_add_f32_e64 v0, |v3|, s14
	v_and_b32_e32 v0, 0xff, v0
	v_cmp_ne_u32_e32 vcc, 0, v0
	s_andn2_b64 s[6:7], s[6:7], exec
	s_and_b64 s[14:15], vcc, exec
	s_or_b64 s[6:7], s[6:7], s[14:15]
	s_or_b64 exec, exec, s[12:13]
	v_mov_b32_e32 v4, 0
	s_and_saveexec_b64 s[12:13], s[6:7]
	s_cbranch_execnz .LBB15_1016
	s_branch .LBB15_1017
.LBB15_1174:
	s_mov_b64 s[0:1], -1
                                        ; implicit-def: $vgpr1
	s_mov_b64 s[4:5], 0
.LBB15_1175:
	s_and_b64 vcc, exec, s[12:13]
	s_cbranch_vccz .LBB15_1178
; %bb.1176:
	s_cmp_eq_u32 s17, 44
	s_cbranch_scc0 .LBB15_1179
; %bb.1177:
	global_load_ubyte v1, v[12:13], off
	s_movk_i32 s4, 0xff
	s_waitcnt vmcnt(1)
	v_mov_b32_e32 v3, 0x7f800001
	v_mov_b32_e32 v5, 0x400000
	s_mov_b64 s[0:1], 0
	s_waitcnt vmcnt(0)
	v_lshlrev_b32_e32 v8, 23, v1
	v_cmp_ne_u32_e32 vcc, s4, v1
	v_cndmask_b32_e32 v3, v3, v8, vcc
	v_cmp_ne_u32_e32 vcc, 0, v1
	v_cndmask_b32_e32 v1, v5, v3, vcc
	s_mov_b64 s[4:5], -1
.LBB15_1178:
	s_branch .LBB15_1183
.LBB15_1179:
	s_mov_b64 s[0:1], -1
                                        ; implicit-def: $vgpr1
	s_branch .LBB15_1183
.LBB15_1180:
	s_cmp_eq_u32 s17, 29
	s_cbranch_scc0 .LBB15_1182
; %bb.1181:
	global_load_dwordx2 v[14:15], v[12:13], off
	s_mov_b64 s[0:1], 0
	s_mov_b64 s[4:5], -1
	s_mov_b64 s[12:13], 0
	s_waitcnt vmcnt(0)
	v_ffbh_u32_e32 v1, v15
	v_min_u32_e32 v1, 32, v1
	v_lshlrev_b64 v[14:15], v1, v[14:15]
	v_sub_u32_e32 v1, 32, v1
	v_min_u32_e32 v3, 1, v14
	v_or_b32_e32 v3, v15, v3
	v_cvt_f32_u32_e32 v3, v3
	v_ldexp_f32 v1, v3, v1
	s_branch .LBB15_1184
.LBB15_1182:
	s_mov_b64 s[0:1], -1
                                        ; implicit-def: $vgpr1
.LBB15_1183:
	s_mov_b64 s[12:13], 0
.LBB15_1184:
	s_and_b64 vcc, exec, s[12:13]
	s_cbranch_vccz .LBB15_1202
; %bb.1185:
	s_cmp_lt_i32 s17, 27
	s_cbranch_scc1 .LBB15_1188
; %bb.1186:
	s_cmp_gt_i32 s17, 27
	s_cbranch_scc0 .LBB15_1189
; %bb.1187:
	global_load_dword v1, v[12:13], off
	s_mov_b64 s[4:5], 0
	s_waitcnt vmcnt(0)
	v_cvt_f32_u32_e32 v1, v1
	s_branch .LBB15_1190
.LBB15_1188:
	s_mov_b64 s[4:5], -1
                                        ; implicit-def: $vgpr1
	s_branch .LBB15_1193
.LBB15_1189:
	s_mov_b64 s[4:5], -1
                                        ; implicit-def: $vgpr1
.LBB15_1190:
	s_andn2_b64 vcc, exec, s[4:5]
	s_cbranch_vccnz .LBB15_1192
; %bb.1191:
	global_load_ushort v1, v[12:13], off
	s_waitcnt vmcnt(0)
	v_cvt_f32_u32_e32 v1, v1
.LBB15_1192:
	s_mov_b64 s[4:5], 0
.LBB15_1193:
	s_andn2_b64 vcc, exec, s[4:5]
	s_cbranch_vccnz .LBB15_1201
; %bb.1194:
	global_load_ubyte v3, v[12:13], off
	s_movk_i32 s4, 0x7f
	s_waitcnt vmcnt(0)
	v_cmp_lt_i16_e32 vcc, s4, v3
	s_mov_b64 s[4:5], 0
	s_and_saveexec_b64 s[12:13], vcc
	s_xor_b64 s[12:13], exec, s[12:13]
	s_cbranch_execz .LBB15_1214
; %bb.1195:
	s_movk_i32 s4, 0x80
	v_cmp_eq_u16_e32 vcc, s4, v3
	s_mov_b64 s[4:5], -1
	s_and_saveexec_b64 s[14:15], vcc
; %bb.1196:
	s_xor_b64 s[4:5], exec, -1
; %bb.1197:
	s_or_b64 exec, exec, s[14:15]
	s_and_b64 s[4:5], s[4:5], exec
	s_or_saveexec_b64 s[12:13], s[12:13]
	v_mov_b32_e32 v1, 0x7f800001
	s_xor_b64 exec, exec, s[12:13]
	s_cbranch_execnz .LBB15_1215
.LBB15_1198:
	s_or_b64 exec, exec, s[12:13]
	s_and_saveexec_b64 s[12:13], s[4:5]
	s_cbranch_execz .LBB15_1200
.LBB15_1199:
	v_lshlrev_b32_e32 v1, 24, v3
	v_and_b32_e32 v3, 0xffff, v3
	v_and_b32_e32 v5, 7, v3
	v_ffbh_u32_e32 v10, v5
	v_min_u32_e32 v10, 32, v10
	v_subrev_u32_e32 v14, 28, v10
	v_bfe_u32 v8, v3, 3, 4
	v_lshlrev_b32_e32 v3, v14, v3
	v_sub_u32_e32 v10, 29, v10
	v_and_b32_e32 v3, 7, v3
	v_cmp_eq_u32_e32 vcc, 0, v8
	v_cndmask_b32_e32 v8, v8, v10, vcc
	v_cndmask_b32_e32 v3, v5, v3, vcc
	v_mov_b32_e32 v5, 0x3b800000
	v_lshlrev_b32_e32 v3, 20, v3
	v_and_b32_e32 v1, 0x80000000, v1
	v_lshl_add_u32 v5, v8, 23, v5
	v_or3_b32 v1, v1, v5, v3
.LBB15_1200:
	s_or_b64 exec, exec, s[12:13]
.LBB15_1201:
	s_mov_b64 s[4:5], -1
.LBB15_1202:
	s_branch .LBB15_1234
.LBB15_1203:
	s_cmp_gt_i32 s17, 22
	s_cbranch_scc0 .LBB15_1213
; %bb.1204:
	s_cmp_lt_i32 s17, 24
	s_cbranch_scc1 .LBB15_1216
; %bb.1205:
	s_cmp_gt_i32 s17, 24
	s_cbranch_scc0 .LBB15_1217
; %bb.1206:
	global_load_ubyte v3, v[12:13], off
	s_movk_i32 s2, 0x7f
	s_waitcnt vmcnt(0)
	v_cmp_lt_i16_e32 vcc, s2, v3
	s_mov_b64 s[2:3], 0
	s_and_saveexec_b64 s[4:5], vcc
	s_xor_b64 s[4:5], exec, s[4:5]
	s_cbranch_execz .LBB15_1228
; %bb.1207:
	s_movk_i32 s2, 0x80
	v_cmp_eq_u16_e32 vcc, s2, v3
	s_mov_b64 s[2:3], -1
	s_and_saveexec_b64 s[12:13], vcc
; %bb.1208:
	s_xor_b64 s[2:3], exec, -1
; %bb.1209:
	s_or_b64 exec, exec, s[12:13]
	s_and_b64 s[2:3], s[2:3], exec
	s_or_saveexec_b64 s[4:5], s[4:5]
	v_mov_b32_e32 v1, 0x7f800001
	s_xor_b64 exec, exec, s[4:5]
	s_cbranch_execnz .LBB15_1229
.LBB15_1210:
	s_or_b64 exec, exec, s[4:5]
	s_and_saveexec_b64 s[4:5], s[2:3]
	s_cbranch_execz .LBB15_1212
.LBB15_1211:
	v_lshlrev_b32_e32 v1, 24, v3
	v_and_b32_e32 v3, 0xffff, v3
	v_and_b32_e32 v5, 3, v3
	v_ffbh_u32_e32 v10, v5
	v_min_u32_e32 v10, 32, v10
	v_subrev_u32_e32 v14, 29, v10
	v_bfe_u32 v8, v3, 2, 5
	v_lshlrev_b32_e32 v3, v14, v3
	v_sub_u32_e32 v10, 30, v10
	v_and_b32_e32 v3, 3, v3
	v_cmp_eq_u32_e32 vcc, 0, v8
	v_cndmask_b32_e32 v8, v8, v10, vcc
	v_cndmask_b32_e32 v3, v5, v3, vcc
	v_mov_b32_e32 v5, 0x37800000
	v_lshlrev_b32_e32 v3, 21, v3
	v_and_b32_e32 v1, 0x80000000, v1
	v_lshl_add_u32 v5, v8, 23, v5
	v_or3_b32 v1, v1, v5, v3
.LBB15_1212:
	s_or_b64 exec, exec, s[4:5]
	s_mov_b64 s[2:3], 0
	s_branch .LBB15_1218
.LBB15_1213:
                                        ; implicit-def: $vgpr1
	s_mov_b64 s[2:3], 0
	s_branch .LBB15_1224
.LBB15_1214:
	s_or_saveexec_b64 s[12:13], s[12:13]
	v_mov_b32_e32 v1, 0x7f800001
	s_xor_b64 exec, exec, s[12:13]
	s_cbranch_execz .LBB15_1198
.LBB15_1215:
	v_cmp_ne_u16_e32 vcc, 0, v3
	s_andn2_b64 s[4:5], s[4:5], exec
	s_and_b64 s[14:15], vcc, exec
	v_mov_b32_e32 v1, 0
	s_or_b64 s[4:5], s[4:5], s[14:15]
	s_or_b64 exec, exec, s[12:13]
	s_and_saveexec_b64 s[12:13], s[4:5]
	s_cbranch_execnz .LBB15_1199
	s_branch .LBB15_1200
.LBB15_1216:
	s_mov_b64 s[2:3], -1
                                        ; implicit-def: $vgpr1
	s_branch .LBB15_1221
.LBB15_1217:
	s_mov_b64 s[2:3], -1
                                        ; implicit-def: $vgpr1
.LBB15_1218:
	s_and_b64 vcc, exec, s[2:3]
	s_cbranch_vccz .LBB15_1220
; %bb.1219:
	global_load_ubyte v1, v[12:13], off
	s_mov_b32 s2, 0x7f800000
	s_waitcnt vmcnt(0)
	v_lshlrev_b32_e32 v1, 24, v1
	v_and_b32_e32 v3, 0x7f000000, v1
	v_ffbh_u32_e32 v5, v3
	v_min_u32_e32 v5, 32, v5
	v_sub_u32_e64 v5, v5, 4 clamp
	v_lshlrev_b32_e32 v10, v5, v3
	v_lshlrev_b32_e32 v5, 23, v5
	v_lshrrev_b32_e32 v10, 4, v10
	v_add_u32_e32 v8, 0x1000000, v3
	v_sub_u32_e32 v5, v10, v5
	v_ashrrev_i32_e32 v8, 8, v8
	v_add_u32_e32 v5, 0x3c000000, v5
	v_and_or_b32 v5, v8, s2, v5
	v_cmp_ne_u32_e32 vcc, 0, v3
	v_cndmask_b32_e32 v3, 0, v5, vcc
	s_brev_b32 s2, 1
	v_and_or_b32 v1, v1, s2, v3
.LBB15_1220:
	s_mov_b64 s[2:3], 0
.LBB15_1221:
	s_andn2_b64 vcc, exec, s[2:3]
	s_cbranch_vccnz .LBB15_1223
; %bb.1222:
	global_load_ubyte v1, v[12:13], off
	s_movk_i32 s2, 0x7f00
	s_brev_b32 s3, 16
	s_waitcnt vmcnt(0)
	v_lshlrev_b16_e32 v3, 8, v1
	v_lshlrev_b32_e32 v1, 25, v1
	v_lshrrev_b32_e32 v5, 4, v1
	v_and_or_b32 v8, v3, s2, 0.5
	v_or_b32_e32 v5, 0x70000000, v5
	v_add_f32_e32 v8, -0.5, v8
	v_mul_f32_e32 v5, 0x7800000, v5
	v_cmp_gt_u32_e32 vcc, s3, v1
	v_bfe_i32 v3, v3, 0, 16
	v_cndmask_b32_e32 v1, v5, v8, vcc
	s_brev_b32 s2, 1
	v_and_or_b32 v1, v3, s2, v1
.LBB15_1223:
	s_mov_b64 s[4:5], -1
	s_mov_b64 s[2:3], 0
	s_cbranch_execnz .LBB15_1234
.LBB15_1224:
	s_cmp_gt_i32 s17, 14
	s_cbranch_scc0 .LBB15_1227
; %bb.1225:
	s_cmp_eq_u32 s17, 15
	s_cbranch_scc0 .LBB15_1230
; %bb.1226:
	global_load_ushort v1, v[12:13], off
	s_mov_b64 s[0:1], 0
	s_mov_b64 s[4:5], -1
	s_waitcnt vmcnt(0)
	v_lshlrev_b32_e32 v1, 16, v1
	s_branch .LBB15_1231
.LBB15_1227:
	s_mov_b64 s[12:13], -1
                                        ; implicit-def: $vgpr1
	s_branch .LBB15_1232
.LBB15_1228:
	s_or_saveexec_b64 s[4:5], s[4:5]
	v_mov_b32_e32 v1, 0x7f800001
	s_xor_b64 exec, exec, s[4:5]
	s_cbranch_execz .LBB15_1210
.LBB15_1229:
	v_cmp_ne_u16_e32 vcc, 0, v3
	s_andn2_b64 s[2:3], s[2:3], exec
	s_and_b64 s[12:13], vcc, exec
	v_mov_b32_e32 v1, 0
	s_or_b64 s[2:3], s[2:3], s[12:13]
	s_or_b64 exec, exec, s[4:5]
	s_and_saveexec_b64 s[4:5], s[2:3]
	s_cbranch_execnz .LBB15_1211
	s_branch .LBB15_1212
.LBB15_1230:
	s_mov_b64 s[0:1], -1
                                        ; implicit-def: $vgpr1
.LBB15_1231:
	s_mov_b64 s[12:13], 0
.LBB15_1232:
	s_and_b64 vcc, exec, s[12:13]
	s_cbranch_vccz .LBB15_1234
; %bb.1233:
	s_cmp_lg_u32 s17, 11
	s_mov_b64 s[2:3], -1
	s_cselect_b64 s[0:1], -1, 0
.LBB15_1234:
	s_and_b64 vcc, exec, s[0:1]
	s_mov_b64 s[12:13], s[6:7]
	s_cbranch_vccnz .LBB15_1299
; %bb.1235:
	s_andn2_b64 vcc, exec, s[2:3]
	s_cbranch_vccnz .LBB15_1237
.LBB15_1236:
	global_load_ubyte v1, v[12:13], off
	s_mov_b64 s[4:5], -1
	s_waitcnt vmcnt(0)
	v_cmp_ne_u16_e32 vcc, 0, v1
	v_cndmask_b32_e64 v1, 0, 1.0, vcc
.LBB15_1237:
	s_branch .LBB15_1167
.LBB15_1238:
	s_and_b32 s2, 0xffff, s16
	s_cmp_lt_i32 s2, 5
	s_cbranch_scc1 .LBB15_1243
; %bb.1239:
	s_cmp_lt_i32 s2, 8
	s_cbranch_scc1 .LBB15_1244
; %bb.1240:
	;; [unrolled: 3-line block ×3, first 2 shown]
	s_cmp_gt_i32 s2, 9
	s_cbranch_scc0 .LBB15_1246
; %bb.1242:
	global_load_dwordx2 v[14:15], v[12:13], off
	s_mov_b64 s[0:1], 0
	s_waitcnt vmcnt(0)
	v_cvt_f32_f64_e32 v1, v[14:15]
	s_branch .LBB15_1247
.LBB15_1243:
                                        ; implicit-def: $vgpr1
	s_branch .LBB15_1264
.LBB15_1244:
                                        ; implicit-def: $vgpr1
	s_branch .LBB15_1253
.LBB15_1245:
	s_mov_b64 s[0:1], -1
                                        ; implicit-def: $vgpr1
	s_branch .LBB15_1250
.LBB15_1246:
	s_mov_b64 s[0:1], -1
                                        ; implicit-def: $vgpr1
.LBB15_1247:
	s_andn2_b64 vcc, exec, s[0:1]
	s_cbranch_vccnz .LBB15_1249
; %bb.1248:
	global_load_dword v1, v[12:13], off
.LBB15_1249:
	s_mov_b64 s[0:1], 0
.LBB15_1250:
	s_andn2_b64 vcc, exec, s[0:1]
	s_cbranch_vccnz .LBB15_1252
; %bb.1251:
	global_load_dword v1, v[12:13], off
	s_waitcnt vmcnt(0)
	v_cvt_f32_f16_e32 v1, v1
.LBB15_1252:
	s_cbranch_execnz .LBB15_1263
.LBB15_1253:
	s_cmp_lt_i32 s2, 6
	s_cbranch_scc1 .LBB15_1256
; %bb.1254:
	s_cmp_gt_i32 s2, 6
	s_cbranch_scc0 .LBB15_1257
; %bb.1255:
	global_load_dwordx2 v[14:15], v[12:13], off
	s_mov_b64 s[0:1], 0
	s_waitcnt vmcnt(0)
	v_cvt_f32_f64_e32 v1, v[14:15]
	s_branch .LBB15_1258
.LBB15_1256:
	s_mov_b64 s[0:1], -1
                                        ; implicit-def: $vgpr1
	s_branch .LBB15_1261
.LBB15_1257:
	s_mov_b64 s[0:1], -1
                                        ; implicit-def: $vgpr1
.LBB15_1258:
	s_andn2_b64 vcc, exec, s[0:1]
	s_cbranch_vccnz .LBB15_1260
; %bb.1259:
	global_load_dword v1, v[12:13], off
.LBB15_1260:
	s_mov_b64 s[0:1], 0
.LBB15_1261:
	s_andn2_b64 vcc, exec, s[0:1]
	s_cbranch_vccnz .LBB15_1263
; %bb.1262:
	global_load_ushort v1, v[12:13], off
	s_waitcnt vmcnt(0)
	v_cvt_f32_f16_e32 v1, v1
.LBB15_1263:
	s_cbranch_execnz .LBB15_1282
.LBB15_1264:
	s_cmp_lt_i32 s2, 2
	s_cbranch_scc1 .LBB15_1268
; %bb.1265:
	s_cmp_lt_i32 s2, 3
	s_cbranch_scc1 .LBB15_1269
; %bb.1266:
	s_cmp_gt_i32 s2, 3
	s_cbranch_scc0 .LBB15_1270
; %bb.1267:
	global_load_dwordx2 v[14:15], v[12:13], off
	s_mov_b64 s[0:1], 0
	s_waitcnt vmcnt(0)
	v_xor_b32_e32 v3, v14, v15
	v_ffbh_i32_e32 v1, v15
	v_ashrrev_i32_e32 v3, 31, v3
	v_add_u32_e32 v1, -1, v1
	v_add_u32_e32 v3, 32, v3
	v_min_u32_e32 v1, v1, v3
	v_lshlrev_b64 v[14:15], v1, v[14:15]
	v_sub_u32_e32 v1, 32, v1
	v_min_u32_e32 v3, 1, v14
	v_or_b32_e32 v3, v15, v3
	v_cvt_f32_i32_e32 v3, v3
	v_ldexp_f32 v1, v3, v1
	s_branch .LBB15_1271
.LBB15_1268:
                                        ; implicit-def: $vgpr1
	s_branch .LBB15_1277
.LBB15_1269:
	s_mov_b64 s[0:1], -1
                                        ; implicit-def: $vgpr1
	s_branch .LBB15_1274
.LBB15_1270:
	s_mov_b64 s[0:1], -1
                                        ; implicit-def: $vgpr1
.LBB15_1271:
	s_andn2_b64 vcc, exec, s[0:1]
	s_cbranch_vccnz .LBB15_1273
; %bb.1272:
	global_load_dword v1, v[12:13], off
	s_waitcnt vmcnt(0)
	v_cvt_f32_i32_e32 v1, v1
.LBB15_1273:
	s_mov_b64 s[0:1], 0
.LBB15_1274:
	s_andn2_b64 vcc, exec, s[0:1]
	s_cbranch_vccnz .LBB15_1276
; %bb.1275:
	global_load_sshort v1, v[12:13], off
	s_waitcnt vmcnt(0)
	v_cvt_f32_i32_e32 v1, v1
.LBB15_1276:
	s_cbranch_execnz .LBB15_1282
.LBB15_1277:
	s_cmp_gt_i32 s2, 0
	s_cbranch_scc0 .LBB15_1279
; %bb.1278:
	global_load_sbyte v1, v[12:13], off
	s_mov_b64 s[0:1], 0
	s_waitcnt vmcnt(0)
	v_cvt_f32_i32_e32 v1, v1
	s_branch .LBB15_1280
.LBB15_1279:
	s_mov_b64 s[0:1], -1
                                        ; implicit-def: $vgpr1
.LBB15_1280:
	s_andn2_b64 vcc, exec, s[0:1]
	s_cbranch_vccnz .LBB15_1282
; %bb.1281:
	global_load_ubyte v1, v[12:13], off
	s_waitcnt vmcnt(0)
	v_cvt_f32_ubyte0_e32 v1, v1
.LBB15_1282:
.LBB15_1283:
	s_brev_b32 s0, 18
	s_waitcnt vmcnt(0)
	v_and_b32_e32 v5, 0x7fffffff, v1
	v_cmp_nlt_f32_e64 s[0:1], |v1|, s0
                                        ; implicit-def: $vgpr12
                                        ; implicit-def: $vgpr13
	s_and_saveexec_b64 s[2:3], s[0:1]
	s_xor_b64 s[14:15], exec, s[2:3]
	s_cbranch_execz .LBB15_1285
; %bb.1284:
	v_and_b32_e32 v3, 0x7fffff, v5
	v_or_b32_e32 v3, 0x800000, v3
	s_mov_b32 s0, 0xfe5163ab
	v_mad_u64_u32 v[12:13], s[0:1], v3, s0, 0
	v_mov_b32_e32 v14, 0
	s_mov_b32 s0, 0x3c439041
	v_mad_u64_u32 v[15:16], s[0:1], v3, s0, v[13:14]
	s_mov_b32 s0, 0xdb629599
	v_lshrrev_b32_e32 v8, 23, v5
	v_mov_b32_e32 v13, v16
	v_mad_u64_u32 v[16:17], s[0:1], v3, s0, v[13:14]
	s_mov_b32 s0, 0xf534ddc0
	v_add_u32_e32 v8, 0xffffff88, v8
	v_mov_b32_e32 v13, v17
	v_mad_u64_u32 v[17:18], s[0:1], v3, s0, v[13:14]
	s_mov_b32 s0, 0xfc2757d1
	v_not_b32_e32 v10, 63
	v_mov_b32_e32 v13, v18
	v_mad_u64_u32 v[18:19], s[0:1], v3, s0, v[13:14]
	v_cmp_lt_u32_e32 vcc, 63, v8
	s_mov_b32 s0, 0x4e441529
	v_mov_b32_e32 v13, v19
	v_cndmask_b32_e32 v10, 0, v10, vcc
	v_mad_u64_u32 v[19:20], s[0:1], v3, s0, v[13:14]
	v_add_u32_e32 v8, v10, v8
	v_not_b32_e32 v10, 31
	v_cmp_lt_u32_e64 s[0:1], 31, v8
	v_cndmask_b32_e64 v13, 0, v10, s[0:1]
	v_add_u32_e32 v8, v13, v8
	v_mov_b32_e32 v13, v20
	s_mov_b32 s2, 0xa2f9836e
	v_mad_u64_u32 v[13:14], s[2:3], v3, s2, v[13:14]
	v_cmp_lt_u32_e64 s[2:3], 31, v8
	v_cndmask_b32_e64 v3, 0, v10, s[2:3]
	v_add_u32_e32 v3, v3, v8
	v_cndmask_b32_e32 v8, v19, v17, vcc
	v_cndmask_b32_e32 v10, v13, v18, vcc
	;; [unrolled: 1-line block ×3, first 2 shown]
	v_cndmask_b32_e64 v13, v10, v8, s[0:1]
	v_cndmask_b32_e64 v10, v14, v10, s[0:1]
	v_cndmask_b32_e32 v14, v18, v16, vcc
	v_cndmask_b32_e64 v8, v8, v14, s[0:1]
	v_cndmask_b32_e64 v10, v10, v13, s[2:3]
	;; [unrolled: 1-line block ×3, first 2 shown]
	v_sub_u32_e32 v18, 32, v3
	v_alignbit_b32 v19, v10, v13, v18
	v_cmp_eq_u32_e64 s[4:5], 0, v3
	v_cndmask_b32_e64 v3, v19, v10, s[4:5]
	v_cndmask_b32_e32 v10, v17, v15, vcc
	v_cndmask_b32_e64 v14, v14, v10, s[0:1]
	v_cndmask_b32_e64 v8, v8, v14, s[2:3]
	v_cndmask_b32_e32 v12, v16, v12, vcc
	v_alignbit_b32 v15, v13, v8, v18
	v_cndmask_b32_e64 v10, v10, v12, s[0:1]
	v_cndmask_b32_e64 v13, v15, v13, s[4:5]
	v_bfe_u32 v19, v3, 29, 1
	v_cndmask_b32_e64 v10, v14, v10, s[2:3]
	v_alignbit_b32 v15, v3, v13, 30
	v_sub_u32_e32 v20, 0, v19
	v_alignbit_b32 v12, v8, v10, v18
	v_xor_b32_e32 v15, v15, v20
	v_cndmask_b32_e64 v8, v12, v8, s[4:5]
	v_alignbit_b32 v12, v13, v8, 30
	v_ffbh_u32_e32 v13, v15
	v_min_u32_e32 v13, 32, v13
	v_alignbit_b32 v8, v8, v10, 30
	v_xor_b32_e32 v12, v12, v20
	v_sub_u32_e32 v14, 31, v13
	v_xor_b32_e32 v8, v8, v20
	v_alignbit_b32 v15, v15, v12, v14
	v_alignbit_b32 v8, v12, v8, v14
	;; [unrolled: 1-line block ×3, first 2 shown]
	v_ffbh_u32_e32 v12, v10
	v_min_u32_e32 v12, 32, v12
	v_lshrrev_b32_e32 v17, 29, v3
	v_not_b32_e32 v14, v12
	v_alignbit_b32 v8, v10, v8, v14
	v_lshlrev_b32_e32 v10, 31, v17
	v_or_b32_e32 v14, 0x33000000, v10
	v_add_lshl_u32 v12, v12, v13, 23
	v_lshrrev_b32_e32 v8, 9, v8
	v_sub_u32_e32 v12, v14, v12
	v_or_b32_e32 v10, 0.5, v10
	v_lshlrev_b32_e32 v13, 23, v13
	v_or_b32_e32 v8, v12, v8
	v_lshrrev_b32_e32 v12, 9, v15
	v_sub_u32_e32 v10, v10, v13
	v_or_b32_e32 v10, v12, v10
	s_mov_b32 s0, 0x3fc90fda
	v_mul_f32_e32 v12, 0x3fc90fda, v10
	v_fma_f32 v13, v10, s0, -v12
	v_fmac_f32_e32 v13, 0x33a22168, v10
	v_fmac_f32_e32 v13, 0x3fc90fda, v8
	v_lshrrev_b32_e32 v3, 30, v3
	v_add_f32_e32 v13, v12, v13
	v_add_u32_e32 v12, v19, v3
.LBB15_1285:
	s_andn2_saveexec_b64 s[0:1], s[14:15]
	s_cbranch_execz .LBB15_1287
; %bb.1286:
	s_mov_b32 s2, 0x3f22f983
	v_mul_f32_e64 v3, |v1|, s2
	v_rndne_f32_e32 v3, v3
	s_mov_b32 s2, 0xbfc90fda
	v_cvt_i32_f32_e32 v12, v3
	v_fma_f32 v13, v3, s2, |v1|
	v_fmac_f32_e32 v13, 0xb3a22168, v3
	v_fmac_f32_e32 v13, 0xa7c234c4, v3
.LBB15_1287:
	s_or_b64 exec, exec, s[0:1]
	s_lshr_b32 s0, s18, 16
	v_mov_b32_e32 v3, s11
	s_and_b32 s19, s0, 0xff
	v_add_co_u32_e32 v10, vcc, s10, v11
	s_cmp_lt_i32 s19, 11
	v_addc_co_u32_e32 v11, vcc, 0, v3, vcc
	s_cbranch_scc1 .LBB15_1294
; %bb.1288:
	s_and_b32 s20, 0xffff, s19
	s_cmp_gt_i32 s20, 25
	s_mov_b64 s[2:3], 0
	s_cbranch_scc0 .LBB15_1296
; %bb.1289:
	s_cmp_gt_i32 s20, 28
	s_cbranch_scc0 .LBB15_1297
; %bb.1290:
	s_cmp_gt_i32 s20, 43
	;; [unrolled: 3-line block ×3, first 2 shown]
	s_cbranch_scc0 .LBB15_1300
; %bb.1292:
	s_cmp_eq_u32 s20, 46
	s_mov_b64 s[14:15], 0
	s_cbranch_scc0 .LBB15_1303
; %bb.1293:
	global_load_dword v3, v[10:11], off
	s_mov_b64 s[0:1], 0
	s_mov_b64 s[4:5], -1
	s_waitcnt vmcnt(0)
	v_lshlrev_b32_e32 v3, 16, v3
	s_branch .LBB15_1304
.LBB15_1294:
	s_mov_b64 s[4:5], 0
                                        ; implicit-def: $vgpr3
	s_cbranch_execnz .LBB15_1369
.LBB15_1295:
	s_andn2_b64 vcc, exec, s[4:5]
	s_cbranch_vccnz .LBB15_2120
	s_branch .LBB15_1416
.LBB15_1296:
	s_mov_b64 s[4:5], 0
	s_mov_b64 s[0:1], 0
                                        ; implicit-def: $vgpr3
	s_cbranch_execnz .LBB15_1333
	s_branch .LBB15_1365
.LBB15_1297:
	s_mov_b64 s[14:15], -1
	s_mov_b64 s[4:5], 0
	s_mov_b64 s[0:1], 0
                                        ; implicit-def: $vgpr3
	s_branch .LBB15_1314
.LBB15_1298:
	s_mov_b64 s[14:15], -1
	s_mov_b64 s[4:5], 0
	s_mov_b64 s[0:1], 0
                                        ; implicit-def: $vgpr3
	s_branch .LBB15_1309
.LBB15_1299:
	s_or_b64 s[12:13], s[6:7], exec
	s_trap 2
	s_cbranch_execz .LBB15_1236
	s_branch .LBB15_1237
.LBB15_1300:
	s_mov_b64 s[14:15], -1
	s_mov_b64 s[4:5], 0
	s_mov_b64 s[0:1], 0
                                        ; implicit-def: $vgpr3
	s_branch .LBB15_1304
.LBB15_1301:
	s_andn2_saveexec_b64 s[14:15], s[14:15]
	s_cbranch_execz .LBB15_1027
.LBB15_1302:
	s_mov_b32 s18, 0x42800000
	v_add_f32_e64 v0, |v3|, s18
	v_and_b32_e32 v0, 0xff, v0
	v_cmp_ne_u32_e32 vcc, 0, v0
	s_andn2_b64 s[12:13], s[12:13], exec
	s_and_b64 s[18:19], vcc, exec
	s_or_b64 s[12:13], s[12:13], s[18:19]
	s_or_b64 exec, exec, s[14:15]
	v_mov_b32_e32 v4, 0
	s_and_saveexec_b64 s[14:15], s[12:13]
	s_cbranch_execnz .LBB15_1028
	s_branch .LBB15_1029
.LBB15_1303:
	s_mov_b64 s[0:1], -1
                                        ; implicit-def: $vgpr3
	s_mov_b64 s[4:5], 0
.LBB15_1304:
	s_and_b64 vcc, exec, s[14:15]
	s_cbranch_vccz .LBB15_1308
; %bb.1305:
	s_cmp_eq_u32 s20, 44
	s_cbranch_scc0 .LBB15_1307
; %bb.1306:
	global_load_ubyte v3, v[10:11], off
	s_movk_i32 s4, 0xff
	v_mov_b32_e32 v8, 0x7f800001
	v_mov_b32_e32 v14, 0x400000
	s_mov_b64 s[0:1], 0
	s_waitcnt vmcnt(0)
	v_lshlrev_b32_e32 v15, 23, v3
	v_cmp_ne_u32_e32 vcc, s4, v3
	v_cndmask_b32_e32 v8, v8, v15, vcc
	v_cmp_ne_u32_e32 vcc, 0, v3
	v_cndmask_b32_e32 v3, v14, v8, vcc
	s_mov_b64 s[4:5], -1
	s_branch .LBB15_1308
.LBB15_1307:
	s_mov_b64 s[0:1], -1
                                        ; implicit-def: $vgpr3
.LBB15_1308:
	s_mov_b64 s[14:15], 0
.LBB15_1309:
	s_and_b64 vcc, exec, s[14:15]
	s_cbranch_vccz .LBB15_1313
; %bb.1310:
	s_cmp_eq_u32 s20, 29
	s_cbranch_scc0 .LBB15_1312
; %bb.1311:
	global_load_dwordx2 v[14:15], v[10:11], off
	s_mov_b64 s[0:1], 0
	s_mov_b64 s[4:5], -1
	s_mov_b64 s[14:15], 0
	s_waitcnt vmcnt(0)
	v_ffbh_u32_e32 v3, v15
	v_min_u32_e32 v3, 32, v3
	v_lshlrev_b64 v[14:15], v3, v[14:15]
	v_sub_u32_e32 v3, 32, v3
	v_min_u32_e32 v8, 1, v14
	v_or_b32_e32 v8, v15, v8
	v_cvt_f32_u32_e32 v8, v8
	v_ldexp_f32 v3, v8, v3
	s_branch .LBB15_1314
.LBB15_1312:
	s_mov_b64 s[0:1], -1
                                        ; implicit-def: $vgpr3
.LBB15_1313:
	s_mov_b64 s[14:15], 0
.LBB15_1314:
	s_and_b64 vcc, exec, s[14:15]
	s_cbranch_vccz .LBB15_1332
; %bb.1315:
	s_cmp_lt_i32 s20, 27
	s_cbranch_scc1 .LBB15_1318
; %bb.1316:
	s_cmp_gt_i32 s20, 27
	s_cbranch_scc0 .LBB15_1319
; %bb.1317:
	global_load_dword v3, v[10:11], off
	s_mov_b64 s[4:5], 0
	s_waitcnt vmcnt(0)
	v_cvt_f32_u32_e32 v3, v3
	s_branch .LBB15_1320
.LBB15_1318:
	s_mov_b64 s[4:5], -1
                                        ; implicit-def: $vgpr3
	s_branch .LBB15_1323
.LBB15_1319:
	s_mov_b64 s[4:5], -1
                                        ; implicit-def: $vgpr3
.LBB15_1320:
	s_andn2_b64 vcc, exec, s[4:5]
	s_cbranch_vccnz .LBB15_1322
; %bb.1321:
	global_load_ushort v3, v[10:11], off
	s_waitcnt vmcnt(0)
	v_cvt_f32_u32_e32 v3, v3
.LBB15_1322:
	s_mov_b64 s[4:5], 0
.LBB15_1323:
	s_andn2_b64 vcc, exec, s[4:5]
	s_cbranch_vccnz .LBB15_1331
; %bb.1324:
	global_load_ubyte v8, v[10:11], off
	s_movk_i32 s4, 0x7f
	s_waitcnt vmcnt(0)
	v_cmp_lt_i16_e32 vcc, s4, v8
	s_mov_b64 s[4:5], 0
	s_and_saveexec_b64 s[14:15], vcc
	s_xor_b64 s[14:15], exec, s[14:15]
	s_cbranch_execz .LBB15_1344
; %bb.1325:
	s_movk_i32 s4, 0x80
	v_cmp_eq_u16_e32 vcc, s4, v8
	s_mov_b64 s[4:5], -1
	s_and_saveexec_b64 s[16:17], vcc
; %bb.1326:
	s_xor_b64 s[4:5], exec, -1
; %bb.1327:
	s_or_b64 exec, exec, s[16:17]
	s_and_b64 s[4:5], s[4:5], exec
	s_or_saveexec_b64 s[14:15], s[14:15]
	v_mov_b32_e32 v3, 0x7f800001
	s_xor_b64 exec, exec, s[14:15]
	s_cbranch_execnz .LBB15_1345
.LBB15_1328:
	s_or_b64 exec, exec, s[14:15]
	s_and_saveexec_b64 s[14:15], s[4:5]
	s_cbranch_execz .LBB15_1330
.LBB15_1329:
	v_lshlrev_b32_e32 v3, 24, v8
	v_and_b32_e32 v8, 0xffff, v8
	v_and_b32_e32 v14, 7, v8
	v_ffbh_u32_e32 v16, v14
	v_min_u32_e32 v16, 32, v16
	v_subrev_u32_e32 v17, 28, v16
	v_bfe_u32 v15, v8, 3, 4
	v_lshlrev_b32_e32 v8, v17, v8
	v_sub_u32_e32 v16, 29, v16
	v_and_b32_e32 v8, 7, v8
	v_cmp_eq_u32_e32 vcc, 0, v15
	v_cndmask_b32_e32 v15, v15, v16, vcc
	v_cndmask_b32_e32 v8, v14, v8, vcc
	v_mov_b32_e32 v14, 0x3b800000
	v_lshlrev_b32_e32 v8, 20, v8
	v_and_b32_e32 v3, 0x80000000, v3
	v_lshl_add_u32 v14, v15, 23, v14
	v_or3_b32 v3, v3, v14, v8
.LBB15_1330:
	s_or_b64 exec, exec, s[14:15]
.LBB15_1331:
	s_mov_b64 s[4:5], -1
.LBB15_1332:
	s_branch .LBB15_1365
.LBB15_1333:
	s_cmp_gt_i32 s20, 22
	s_cbranch_scc0 .LBB15_1343
; %bb.1334:
	s_cmp_lt_i32 s20, 24
	s_cbranch_scc1 .LBB15_1346
; %bb.1335:
	s_cmp_gt_i32 s20, 24
	s_cbranch_scc0 .LBB15_1347
; %bb.1336:
	global_load_ubyte v8, v[10:11], off
	s_movk_i32 s2, 0x7f
	s_waitcnt vmcnt(0)
	v_cmp_lt_i16_e32 vcc, s2, v8
	s_mov_b64 s[2:3], 0
	s_and_saveexec_b64 s[4:5], vcc
	s_xor_b64 s[4:5], exec, s[4:5]
	s_cbranch_execz .LBB15_1359
; %bb.1337:
	s_movk_i32 s2, 0x80
	v_cmp_eq_u16_e32 vcc, s2, v8
	s_mov_b64 s[2:3], -1
	s_and_saveexec_b64 s[14:15], vcc
; %bb.1338:
	s_xor_b64 s[2:3], exec, -1
; %bb.1339:
	s_or_b64 exec, exec, s[14:15]
	s_and_b64 s[2:3], s[2:3], exec
	s_or_saveexec_b64 s[4:5], s[4:5]
	v_mov_b32_e32 v3, 0x7f800001
	s_xor_b64 exec, exec, s[4:5]
	s_cbranch_execnz .LBB15_1360
.LBB15_1340:
	s_or_b64 exec, exec, s[4:5]
	s_and_saveexec_b64 s[4:5], s[2:3]
	s_cbranch_execz .LBB15_1342
.LBB15_1341:
	v_lshlrev_b32_e32 v3, 24, v8
	v_and_b32_e32 v8, 0xffff, v8
	v_and_b32_e32 v14, 3, v8
	v_ffbh_u32_e32 v16, v14
	v_min_u32_e32 v16, 32, v16
	v_subrev_u32_e32 v17, 29, v16
	v_bfe_u32 v15, v8, 2, 5
	v_lshlrev_b32_e32 v8, v17, v8
	v_sub_u32_e32 v16, 30, v16
	v_and_b32_e32 v8, 3, v8
	v_cmp_eq_u32_e32 vcc, 0, v15
	v_cndmask_b32_e32 v15, v15, v16, vcc
	v_cndmask_b32_e32 v8, v14, v8, vcc
	v_mov_b32_e32 v14, 0x37800000
	v_lshlrev_b32_e32 v8, 21, v8
	v_and_b32_e32 v3, 0x80000000, v3
	v_lshl_add_u32 v14, v15, 23, v14
	v_or3_b32 v3, v3, v14, v8
.LBB15_1342:
	s_or_b64 exec, exec, s[4:5]
	s_mov_b64 s[2:3], 0
	s_branch .LBB15_1348
.LBB15_1343:
	s_mov_b64 s[2:3], -1
                                        ; implicit-def: $vgpr3
	s_branch .LBB15_1354
.LBB15_1344:
	s_or_saveexec_b64 s[14:15], s[14:15]
	v_mov_b32_e32 v3, 0x7f800001
	s_xor_b64 exec, exec, s[14:15]
	s_cbranch_execz .LBB15_1328
.LBB15_1345:
	v_cmp_ne_u16_e32 vcc, 0, v8
	s_andn2_b64 s[4:5], s[4:5], exec
	s_and_b64 s[16:17], vcc, exec
	v_mov_b32_e32 v3, 0
	s_or_b64 s[4:5], s[4:5], s[16:17]
	s_or_b64 exec, exec, s[14:15]
	s_and_saveexec_b64 s[14:15], s[4:5]
	s_cbranch_execnz .LBB15_1329
	s_branch .LBB15_1330
.LBB15_1346:
	s_mov_b64 s[2:3], -1
                                        ; implicit-def: $vgpr3
	s_branch .LBB15_1351
.LBB15_1347:
	s_mov_b64 s[2:3], -1
                                        ; implicit-def: $vgpr3
.LBB15_1348:
	s_and_b64 vcc, exec, s[2:3]
	s_cbranch_vccz .LBB15_1350
; %bb.1349:
	global_load_ubyte v3, v[10:11], off
	s_mov_b32 s2, 0x7f800000
	s_waitcnt vmcnt(0)
	v_lshlrev_b32_e32 v3, 24, v3
	v_and_b32_e32 v8, 0x7f000000, v3
	v_ffbh_u32_e32 v14, v8
	v_min_u32_e32 v14, 32, v14
	v_sub_u32_e64 v14, v14, 4 clamp
	v_lshlrev_b32_e32 v16, v14, v8
	v_lshlrev_b32_e32 v14, 23, v14
	v_lshrrev_b32_e32 v16, 4, v16
	v_add_u32_e32 v15, 0x1000000, v8
	v_sub_u32_e32 v14, v16, v14
	v_ashrrev_i32_e32 v15, 8, v15
	v_add_u32_e32 v14, 0x3c000000, v14
	v_and_or_b32 v14, v15, s2, v14
	v_cmp_ne_u32_e32 vcc, 0, v8
	v_cndmask_b32_e32 v8, 0, v14, vcc
	s_brev_b32 s2, 1
	v_and_or_b32 v3, v3, s2, v8
.LBB15_1350:
	s_mov_b64 s[2:3], 0
.LBB15_1351:
	s_andn2_b64 vcc, exec, s[2:3]
	s_cbranch_vccnz .LBB15_1353
; %bb.1352:
	global_load_ubyte v3, v[10:11], off
	s_movk_i32 s2, 0x7f00
	s_brev_b32 s3, 16
	s_waitcnt vmcnt(0)
	v_lshlrev_b16_e32 v8, 8, v3
	v_lshlrev_b32_e32 v3, 25, v3
	v_lshrrev_b32_e32 v14, 4, v3
	v_and_or_b32 v15, v8, s2, 0.5
	v_or_b32_e32 v14, 0x70000000, v14
	v_add_f32_e32 v15, -0.5, v15
	v_mul_f32_e32 v14, 0x7800000, v14
	v_cmp_gt_u32_e32 vcc, s3, v3
	v_bfe_i32 v8, v8, 0, 16
	v_cndmask_b32_e32 v3, v14, v15, vcc
	s_brev_b32 s2, 1
	v_and_or_b32 v3, v8, s2, v3
.LBB15_1353:
	s_mov_b64 s[2:3], 0
	s_mov_b64 s[4:5], -1
.LBB15_1354:
	s_andn2_b64 vcc, exec, s[2:3]
	s_mov_b64 s[2:3], 0
	s_cbranch_vccnz .LBB15_1365
; %bb.1355:
	s_cmp_gt_i32 s20, 14
	s_cbranch_scc0 .LBB15_1358
; %bb.1356:
	s_cmp_eq_u32 s20, 15
	s_cbranch_scc0 .LBB15_1361
; %bb.1357:
	global_load_ushort v3, v[10:11], off
	s_mov_b64 s[0:1], 0
	s_mov_b64 s[4:5], -1
	s_waitcnt vmcnt(0)
	v_lshlrev_b32_e32 v3, 16, v3
	s_branch .LBB15_1362
.LBB15_1358:
	s_mov_b64 s[14:15], -1
                                        ; implicit-def: $vgpr3
	s_branch .LBB15_1363
.LBB15_1359:
	s_or_saveexec_b64 s[4:5], s[4:5]
	v_mov_b32_e32 v3, 0x7f800001
	s_xor_b64 exec, exec, s[4:5]
	s_cbranch_execz .LBB15_1340
.LBB15_1360:
	v_cmp_ne_u16_e32 vcc, 0, v8
	s_andn2_b64 s[2:3], s[2:3], exec
	s_and_b64 s[14:15], vcc, exec
	v_mov_b32_e32 v3, 0
	s_or_b64 s[2:3], s[2:3], s[14:15]
	s_or_b64 exec, exec, s[4:5]
	s_and_saveexec_b64 s[4:5], s[2:3]
	s_cbranch_execnz .LBB15_1341
	s_branch .LBB15_1342
.LBB15_1361:
	s_mov_b64 s[0:1], -1
                                        ; implicit-def: $vgpr3
.LBB15_1362:
	s_mov_b64 s[14:15], 0
.LBB15_1363:
	s_and_b64 vcc, exec, s[14:15]
	s_cbranch_vccz .LBB15_1365
; %bb.1364:
	s_cmp_lg_u32 s20, 11
	s_mov_b64 s[2:3], -1
	s_cselect_b64 s[0:1], -1, 0
.LBB15_1365:
	s_and_b64 vcc, exec, s[0:1]
	s_cbranch_vccnz .LBB15_1432
; %bb.1366:
	s_andn2_b64 vcc, exec, s[2:3]
	s_cbranch_vccnz .LBB15_1368
.LBB15_1367:
	global_load_ubyte v3, v[10:11], off
	s_mov_b64 s[4:5], -1
	s_waitcnt vmcnt(0)
	v_cmp_ne_u16_e32 vcc, 0, v3
	v_cndmask_b32_e64 v3, 0, 1.0, vcc
.LBB15_1368:
	s_branch .LBB15_1295
.LBB15_1369:
	s_and_b32 s2, 0xffff, s19
	s_cmp_lt_i32 s2, 5
	s_cbranch_scc1 .LBB15_1374
; %bb.1370:
	s_cmp_lt_i32 s2, 8
	s_cbranch_scc1 .LBB15_1375
; %bb.1371:
	;; [unrolled: 3-line block ×3, first 2 shown]
	s_cmp_gt_i32 s2, 9
	s_cbranch_scc0 .LBB15_1377
; %bb.1373:
	global_load_dwordx2 v[14:15], v[10:11], off
	s_mov_b64 s[0:1], 0
	s_waitcnt vmcnt(0)
	v_cvt_f32_f64_e32 v3, v[14:15]
	s_branch .LBB15_1378
.LBB15_1374:
                                        ; implicit-def: $vgpr3
	s_branch .LBB15_1396
.LBB15_1375:
	s_mov_b64 s[0:1], -1
                                        ; implicit-def: $vgpr3
	s_branch .LBB15_1384
.LBB15_1376:
	s_mov_b64 s[0:1], -1
                                        ; implicit-def: $vgpr3
	s_branch .LBB15_1381
.LBB15_1377:
	s_mov_b64 s[0:1], -1
                                        ; implicit-def: $vgpr3
.LBB15_1378:
	s_andn2_b64 vcc, exec, s[0:1]
	s_cbranch_vccnz .LBB15_1380
; %bb.1379:
	global_load_dword v3, v[10:11], off
.LBB15_1380:
	s_mov_b64 s[0:1], 0
.LBB15_1381:
	s_andn2_b64 vcc, exec, s[0:1]
	s_cbranch_vccnz .LBB15_1383
; %bb.1382:
	global_load_dword v3, v[10:11], off
	s_waitcnt vmcnt(0)
	v_cvt_f32_f16_e32 v3, v3
.LBB15_1383:
	s_mov_b64 s[0:1], 0
.LBB15_1384:
	s_andn2_b64 vcc, exec, s[0:1]
	s_cbranch_vccnz .LBB15_1395
; %bb.1385:
	s_cmp_lt_i32 s2, 6
	s_cbranch_scc1 .LBB15_1388
; %bb.1386:
	s_cmp_gt_i32 s2, 6
	s_cbranch_scc0 .LBB15_1389
; %bb.1387:
	global_load_dwordx2 v[14:15], v[10:11], off
	s_mov_b64 s[0:1], 0
	s_waitcnt vmcnt(0)
	v_cvt_f32_f64_e32 v3, v[14:15]
	s_branch .LBB15_1390
.LBB15_1388:
	s_mov_b64 s[0:1], -1
                                        ; implicit-def: $vgpr3
	s_branch .LBB15_1393
.LBB15_1389:
	s_mov_b64 s[0:1], -1
                                        ; implicit-def: $vgpr3
.LBB15_1390:
	s_andn2_b64 vcc, exec, s[0:1]
	s_cbranch_vccnz .LBB15_1392
; %bb.1391:
	global_load_dword v3, v[10:11], off
.LBB15_1392:
	s_mov_b64 s[0:1], 0
.LBB15_1393:
	s_andn2_b64 vcc, exec, s[0:1]
	s_cbranch_vccnz .LBB15_1395
; %bb.1394:
	global_load_ushort v3, v[10:11], off
	s_waitcnt vmcnt(0)
	v_cvt_f32_f16_e32 v3, v3
.LBB15_1395:
	s_cbranch_execnz .LBB15_1415
.LBB15_1396:
	s_cmp_lt_i32 s2, 2
	s_cbranch_scc1 .LBB15_1400
; %bb.1397:
	s_cmp_lt_i32 s2, 3
	s_cbranch_scc1 .LBB15_1401
; %bb.1398:
	s_cmp_gt_i32 s2, 3
	s_cbranch_scc0 .LBB15_1402
; %bb.1399:
	global_load_dwordx2 v[14:15], v[10:11], off
	s_mov_b64 s[0:1], 0
	s_waitcnt vmcnt(0)
	v_xor_b32_e32 v8, v14, v15
	v_ffbh_i32_e32 v3, v15
	v_ashrrev_i32_e32 v8, 31, v8
	v_add_u32_e32 v3, -1, v3
	v_add_u32_e32 v8, 32, v8
	v_min_u32_e32 v3, v3, v8
	v_lshlrev_b64 v[14:15], v3, v[14:15]
	v_sub_u32_e32 v3, 32, v3
	v_min_u32_e32 v8, 1, v14
	v_or_b32_e32 v8, v15, v8
	v_cvt_f32_i32_e32 v8, v8
	v_ldexp_f32 v3, v8, v3
	s_branch .LBB15_1403
.LBB15_1400:
	s_mov_b64 s[0:1], -1
                                        ; implicit-def: $vgpr3
	s_branch .LBB15_1409
.LBB15_1401:
	s_mov_b64 s[0:1], -1
                                        ; implicit-def: $vgpr3
	s_branch .LBB15_1406
.LBB15_1402:
	s_mov_b64 s[0:1], -1
                                        ; implicit-def: $vgpr3
.LBB15_1403:
	s_andn2_b64 vcc, exec, s[0:1]
	s_cbranch_vccnz .LBB15_1405
; %bb.1404:
	global_load_dword v3, v[10:11], off
	s_waitcnt vmcnt(0)
	v_cvt_f32_i32_e32 v3, v3
.LBB15_1405:
	s_mov_b64 s[0:1], 0
.LBB15_1406:
	s_andn2_b64 vcc, exec, s[0:1]
	s_cbranch_vccnz .LBB15_1408
; %bb.1407:
	global_load_sshort v3, v[10:11], off
	s_waitcnt vmcnt(0)
	v_cvt_f32_i32_e32 v3, v3
.LBB15_1408:
	s_mov_b64 s[0:1], 0
.LBB15_1409:
	s_andn2_b64 vcc, exec, s[0:1]
	s_cbranch_vccnz .LBB15_1415
; %bb.1410:
	s_cmp_gt_i32 s2, 0
	s_cbranch_scc0 .LBB15_1412
; %bb.1411:
	global_load_sbyte v3, v[10:11], off
	s_mov_b64 s[0:1], 0
	s_waitcnt vmcnt(0)
	v_cvt_f32_i32_e32 v3, v3
	s_branch .LBB15_1413
.LBB15_1412:
	s_mov_b64 s[0:1], -1
                                        ; implicit-def: $vgpr3
.LBB15_1413:
	s_andn2_b64 vcc, exec, s[0:1]
	s_cbranch_vccnz .LBB15_1415
; %bb.1414:
	global_load_ubyte v3, v[10:11], off
	s_waitcnt vmcnt(0)
	v_cvt_f32_ubyte0_e32 v3, v3
.LBB15_1415:
.LBB15_1416:
	s_brev_b32 s0, 18
	s_waitcnt vmcnt(0)
	v_and_b32_e32 v11, 0x7fffffff, v3
	v_cmp_nlt_f32_e64 s[0:1], |v3|, s0
                                        ; implicit-def: $vgpr14
                                        ; implicit-def: $vgpr15
	s_and_saveexec_b64 s[2:3], s[0:1]
	s_xor_b64 s[14:15], exec, s[2:3]
	s_cbranch_execz .LBB15_1418
; %bb.1417:
	v_and_b32_e32 v8, 0x7fffff, v11
	v_or_b32_e32 v8, 0x800000, v8
	s_mov_b32 s0, 0xfe5163ab
	v_mad_u64_u32 v[14:15], s[0:1], v8, s0, 0
	v_mov_b32_e32 v16, 0
	s_mov_b32 s0, 0x3c439041
	v_mad_u64_u32 v[17:18], s[0:1], v8, s0, v[15:16]
	s_mov_b32 s0, 0xdb629599
	v_lshrrev_b32_e32 v10, 23, v11
	v_mov_b32_e32 v15, v18
	v_mad_u64_u32 v[18:19], s[0:1], v8, s0, v[15:16]
	s_mov_b32 s0, 0xf534ddc0
	v_add_u32_e32 v10, 0xffffff88, v10
	v_mov_b32_e32 v15, v19
	v_mad_u64_u32 v[19:20], s[0:1], v8, s0, v[15:16]
	s_mov_b32 s0, 0xfc2757d1
	v_not_b32_e32 v22, 63
	v_mov_b32_e32 v15, v20
	v_mad_u64_u32 v[20:21], s[0:1], v8, s0, v[15:16]
	v_cmp_lt_u32_e32 vcc, 63, v10
	v_cndmask_b32_e32 v15, 0, v22, vcc
	v_add_u32_e32 v10, v15, v10
	v_mov_b32_e32 v15, v21
	s_mov_b32 s0, 0x4e441529
	v_mad_u64_u32 v[21:22], s[0:1], v8, s0, v[15:16]
	v_not_b32_e32 v23, 31
	v_cmp_lt_u32_e64 s[0:1], 31, v10
	v_cndmask_b32_e64 v15, 0, v23, s[0:1]
	v_add_u32_e32 v10, v15, v10
	v_mov_b32_e32 v15, v22
	s_mov_b32 s2, 0xa2f9836e
	v_mad_u64_u32 v[15:16], s[2:3], v8, s2, v[15:16]
	v_cmp_lt_u32_e64 s[2:3], 31, v10
	v_cndmask_b32_e64 v8, 0, v23, s[2:3]
	v_add_u32_e32 v8, v8, v10
	v_cndmask_b32_e32 v10, v21, v19, vcc
	v_cndmask_b32_e32 v15, v15, v20, vcc
	;; [unrolled: 1-line block ×3, first 2 shown]
	v_cndmask_b32_e64 v22, v15, v10, s[0:1]
	v_cndmask_b32_e64 v15, v16, v15, s[0:1]
	v_cndmask_b32_e32 v16, v20, v18, vcc
	v_cndmask_b32_e64 v10, v10, v16, s[0:1]
	v_cndmask_b32_e64 v15, v15, v22, s[2:3]
	;; [unrolled: 1-line block ×3, first 2 shown]
	v_sub_u32_e32 v21, 32, v8
	v_alignbit_b32 v22, v15, v20, v21
	v_cmp_eq_u32_e64 s[4:5], 0, v8
	v_cndmask_b32_e64 v8, v22, v15, s[4:5]
	v_cndmask_b32_e32 v15, v19, v17, vcc
	v_cndmask_b32_e64 v16, v16, v15, s[0:1]
	v_cndmask_b32_e64 v10, v10, v16, s[2:3]
	v_alignbit_b32 v17, v20, v10, v21
	v_cndmask_b32_e32 v14, v18, v14, vcc
	v_cndmask_b32_e64 v17, v17, v20, s[4:5]
	v_bfe_u32 v22, v8, 29, 1
	v_cndmask_b32_e64 v14, v15, v14, s[0:1]
	v_alignbit_b32 v19, v8, v17, 30
	v_sub_u32_e32 v23, 0, v22
	v_cndmask_b32_e64 v14, v16, v14, s[2:3]
	v_xor_b32_e32 v19, v19, v23
	v_alignbit_b32 v15, v10, v14, v21
	v_cndmask_b32_e64 v10, v15, v10, s[4:5]
	v_ffbh_u32_e32 v16, v19
	v_alignbit_b32 v15, v17, v10, 30
	v_min_u32_e32 v16, 32, v16
	v_alignbit_b32 v10, v10, v14, 30
	v_xor_b32_e32 v15, v15, v23
	v_sub_u32_e32 v17, 31, v16
	v_xor_b32_e32 v10, v10, v23
	v_alignbit_b32 v18, v19, v15, v17
	v_alignbit_b32 v10, v15, v10, v17
	v_alignbit_b32 v14, v18, v10, 9
	v_ffbh_u32_e32 v15, v14
	v_min_u32_e32 v15, 32, v15
	v_lshrrev_b32_e32 v20, 29, v8
	v_not_b32_e32 v17, v15
	v_alignbit_b32 v10, v14, v10, v17
	v_lshlrev_b32_e32 v14, 31, v20
	v_or_b32_e32 v17, 0x33000000, v14
	v_add_lshl_u32 v15, v15, v16, 23
	v_lshrrev_b32_e32 v10, 9, v10
	v_sub_u32_e32 v15, v17, v15
	v_or_b32_e32 v14, 0.5, v14
	v_lshlrev_b32_e32 v16, 23, v16
	v_or_b32_e32 v10, v15, v10
	v_lshrrev_b32_e32 v15, 9, v18
	v_sub_u32_e32 v14, v14, v16
	v_or_b32_e32 v14, v15, v14
	s_mov_b32 s0, 0x3fc90fda
	v_mul_f32_e32 v15, 0x3fc90fda, v14
	v_fma_f32 v16, v14, s0, -v15
	v_fmac_f32_e32 v16, 0x33a22168, v14
	v_fmac_f32_e32 v16, 0x3fc90fda, v10
	v_lshrrev_b32_e32 v8, 30, v8
	v_add_f32_e32 v15, v15, v16
	v_add_u32_e32 v14, v22, v8
.LBB15_1418:
	s_andn2_saveexec_b64 s[0:1], s[14:15]
	s_cbranch_execz .LBB15_1420
; %bb.1419:
	s_mov_b32 s2, 0x3f22f983
	v_mul_f32_e64 v8, |v3|, s2
	v_rndne_f32_e32 v8, v8
	s_mov_b32 s2, 0xbfc90fda
	v_cvt_i32_f32_e32 v14, v8
	v_fma_f32 v15, v8, s2, |v3|
	v_fmac_f32_e32 v15, 0xb3a22168, v8
	v_fmac_f32_e32 v15, 0xa7c234c4, v8
.LBB15_1420:
	s_or_b64 exec, exec, s[0:1]
	v_mov_b32_e32 v10, s11
	v_add_co_u32_e32 v8, vcc, s10, v9
	s_cmp_lt_i32 s19, 11
	v_addc_co_u32_e32 v9, vcc, 0, v10, vcc
	s_cbranch_scc1 .LBB15_1427
; %bb.1421:
	s_and_b32 s20, 0xffff, s19
	s_cmp_gt_i32 s20, 25
	s_mov_b64 s[2:3], 0
	s_cbranch_scc0 .LBB15_1429
; %bb.1422:
	s_cmp_gt_i32 s20, 28
	s_cbranch_scc0 .LBB15_1430
; %bb.1423:
	s_cmp_gt_i32 s20, 43
	;; [unrolled: 3-line block ×3, first 2 shown]
	s_cbranch_scc0 .LBB15_1433
; %bb.1425:
	s_cmp_eq_u32 s20, 46
	s_mov_b64 s[14:15], 0
	s_cbranch_scc0 .LBB15_1434
; %bb.1426:
	global_load_dword v10, v[8:9], off
	s_mov_b64 s[0:1], 0
	s_mov_b64 s[4:5], -1
	s_waitcnt vmcnt(0)
	v_lshlrev_b32_e32 v10, 16, v10
	s_branch .LBB15_1435
.LBB15_1427:
	s_mov_b64 s[4:5], 0
                                        ; implicit-def: $vgpr10
	s_cbranch_execnz .LBB15_1501
.LBB15_1428:
	s_andn2_b64 vcc, exec, s[4:5]
	s_cbranch_vccnz .LBB15_2120
	s_branch .LBB15_1549
.LBB15_1429:
	s_mov_b64 s[14:15], -1
	s_mov_b64 s[4:5], 0
	s_mov_b64 s[0:1], 0
                                        ; implicit-def: $vgpr10
	s_branch .LBB15_1464
.LBB15_1430:
	s_mov_b64 s[14:15], -1
	s_mov_b64 s[4:5], 0
	s_mov_b64 s[0:1], 0
                                        ; implicit-def: $vgpr10
	s_branch .LBB15_1445
.LBB15_1431:
	s_mov_b64 s[14:15], -1
	s_mov_b64 s[4:5], 0
	s_mov_b64 s[0:1], 0
                                        ; implicit-def: $vgpr10
	s_branch .LBB15_1440
.LBB15_1432:
	s_trap 2
	s_or_b64 s[12:13], s[12:13], exec
	s_cbranch_execz .LBB15_1367
	s_branch .LBB15_1368
.LBB15_1433:
	s_mov_b64 s[14:15], -1
	s_mov_b64 s[4:5], 0
	s_mov_b64 s[0:1], 0
                                        ; implicit-def: $vgpr10
	s_branch .LBB15_1435
.LBB15_1434:
	s_mov_b64 s[0:1], -1
                                        ; implicit-def: $vgpr10
	s_mov_b64 s[4:5], 0
.LBB15_1435:
	s_and_b64 vcc, exec, s[14:15]
	s_cbranch_vccz .LBB15_1439
; %bb.1436:
	s_cmp_eq_u32 s20, 44
	s_cbranch_scc0 .LBB15_1438
; %bb.1437:
	global_load_ubyte v10, v[8:9], off
	s_movk_i32 s4, 0xff
	v_mov_b32_e32 v16, 0x7f800001
	v_mov_b32_e32 v17, 0x400000
	s_mov_b64 s[0:1], 0
	s_waitcnt vmcnt(0)
	v_lshlrev_b32_e32 v18, 23, v10
	v_cmp_ne_u32_e32 vcc, s4, v10
	v_cndmask_b32_e32 v16, v16, v18, vcc
	v_cmp_ne_u32_e32 vcc, 0, v10
	v_cndmask_b32_e32 v10, v17, v16, vcc
	s_mov_b64 s[4:5], -1
	s_branch .LBB15_1439
.LBB15_1438:
	s_mov_b64 s[0:1], -1
                                        ; implicit-def: $vgpr10
.LBB15_1439:
	s_mov_b64 s[14:15], 0
.LBB15_1440:
	s_and_b64 vcc, exec, s[14:15]
	s_cbranch_vccz .LBB15_1444
; %bb.1441:
	s_cmp_eq_u32 s20, 29
	s_cbranch_scc0 .LBB15_1443
; %bb.1442:
	global_load_dwordx2 v[16:17], v[8:9], off
	s_mov_b64 s[0:1], 0
	s_mov_b64 s[4:5], -1
	s_mov_b64 s[14:15], 0
	s_waitcnt vmcnt(0)
	v_ffbh_u32_e32 v10, v17
	v_min_u32_e32 v10, 32, v10
	v_lshlrev_b64 v[16:17], v10, v[16:17]
	v_sub_u32_e32 v10, 32, v10
	v_min_u32_e32 v16, 1, v16
	v_or_b32_e32 v16, v17, v16
	v_cvt_f32_u32_e32 v16, v16
	v_ldexp_f32 v10, v16, v10
	s_branch .LBB15_1445
.LBB15_1443:
	s_mov_b64 s[0:1], -1
                                        ; implicit-def: $vgpr10
.LBB15_1444:
	s_mov_b64 s[14:15], 0
.LBB15_1445:
	s_and_b64 vcc, exec, s[14:15]
	s_cbranch_vccz .LBB15_1463
; %bb.1446:
	s_cmp_lt_i32 s20, 27
	s_cbranch_scc1 .LBB15_1449
; %bb.1447:
	s_cmp_gt_i32 s20, 27
	s_cbranch_scc0 .LBB15_1450
; %bb.1448:
	global_load_dword v10, v[8:9], off
	s_mov_b64 s[4:5], 0
	s_waitcnt vmcnt(0)
	v_cvt_f32_u32_e32 v10, v10
	s_branch .LBB15_1451
.LBB15_1449:
	s_mov_b64 s[4:5], -1
                                        ; implicit-def: $vgpr10
	s_branch .LBB15_1454
.LBB15_1450:
	s_mov_b64 s[4:5], -1
                                        ; implicit-def: $vgpr10
.LBB15_1451:
	s_andn2_b64 vcc, exec, s[4:5]
	s_cbranch_vccnz .LBB15_1453
; %bb.1452:
	global_load_ushort v10, v[8:9], off
	s_waitcnt vmcnt(0)
	v_cvt_f32_u32_e32 v10, v10
.LBB15_1453:
	s_mov_b64 s[4:5], 0
.LBB15_1454:
	s_andn2_b64 vcc, exec, s[4:5]
	s_cbranch_vccnz .LBB15_1462
; %bb.1455:
	global_load_ubyte v16, v[8:9], off
	s_movk_i32 s4, 0x7f
	s_waitcnt vmcnt(0)
	v_cmp_lt_i16_e32 vcc, s4, v16
	s_mov_b64 s[4:5], 0
	s_and_saveexec_b64 s[14:15], vcc
	s_xor_b64 s[14:15], exec, s[14:15]
	s_cbranch_execz .LBB15_1476
; %bb.1456:
	s_movk_i32 s4, 0x80
	v_cmp_eq_u16_e32 vcc, s4, v16
	s_mov_b64 s[4:5], -1
	s_and_saveexec_b64 s[16:17], vcc
; %bb.1457:
	s_xor_b64 s[4:5], exec, -1
; %bb.1458:
	s_or_b64 exec, exec, s[16:17]
	s_and_b64 s[4:5], s[4:5], exec
	s_or_saveexec_b64 s[14:15], s[14:15]
	v_mov_b32_e32 v10, 0x7f800001
	s_xor_b64 exec, exec, s[14:15]
	s_cbranch_execnz .LBB15_1477
.LBB15_1459:
	s_or_b64 exec, exec, s[14:15]
	s_and_saveexec_b64 s[14:15], s[4:5]
	s_cbranch_execz .LBB15_1461
.LBB15_1460:
	v_lshlrev_b32_e32 v10, 24, v16
	v_and_b32_e32 v16, 0xffff, v16
	v_and_b32_e32 v17, 7, v16
	v_ffbh_u32_e32 v19, v17
	v_min_u32_e32 v19, 32, v19
	v_subrev_u32_e32 v20, 28, v19
	v_bfe_u32 v18, v16, 3, 4
	v_lshlrev_b32_e32 v16, v20, v16
	v_sub_u32_e32 v19, 29, v19
	v_and_b32_e32 v16, 7, v16
	v_cmp_eq_u32_e32 vcc, 0, v18
	v_cndmask_b32_e32 v18, v18, v19, vcc
	v_cndmask_b32_e32 v16, v17, v16, vcc
	v_mov_b32_e32 v17, 0x3b800000
	v_lshlrev_b32_e32 v16, 20, v16
	v_and_b32_e32 v10, 0x80000000, v10
	v_lshl_add_u32 v17, v18, 23, v17
	v_or3_b32 v10, v10, v17, v16
.LBB15_1461:
	s_or_b64 exec, exec, s[14:15]
.LBB15_1462:
	s_mov_b64 s[4:5], -1
.LBB15_1463:
	s_mov_b64 s[14:15], 0
.LBB15_1464:
	s_and_b64 vcc, exec, s[14:15]
	s_cbranch_vccz .LBB15_1497
; %bb.1465:
	s_cmp_gt_i32 s20, 22
	s_cbranch_scc0 .LBB15_1475
; %bb.1466:
	s_cmp_lt_i32 s20, 24
	s_cbranch_scc1 .LBB15_1478
; %bb.1467:
	s_cmp_gt_i32 s20, 24
	s_cbranch_scc0 .LBB15_1479
; %bb.1468:
	global_load_ubyte v16, v[8:9], off
	s_movk_i32 s2, 0x7f
	s_waitcnt vmcnt(0)
	v_cmp_lt_i16_e32 vcc, s2, v16
	s_mov_b64 s[2:3], 0
	s_and_saveexec_b64 s[4:5], vcc
	s_xor_b64 s[4:5], exec, s[4:5]
	s_cbranch_execz .LBB15_1491
; %bb.1469:
	s_movk_i32 s2, 0x80
	v_cmp_eq_u16_e32 vcc, s2, v16
	s_mov_b64 s[2:3], -1
	s_and_saveexec_b64 s[14:15], vcc
; %bb.1470:
	s_xor_b64 s[2:3], exec, -1
; %bb.1471:
	s_or_b64 exec, exec, s[14:15]
	s_and_b64 s[2:3], s[2:3], exec
	s_or_saveexec_b64 s[4:5], s[4:5]
	v_mov_b32_e32 v10, 0x7f800001
	s_xor_b64 exec, exec, s[4:5]
	s_cbranch_execnz .LBB15_1492
.LBB15_1472:
	s_or_b64 exec, exec, s[4:5]
	s_and_saveexec_b64 s[4:5], s[2:3]
	s_cbranch_execz .LBB15_1474
.LBB15_1473:
	v_lshlrev_b32_e32 v10, 24, v16
	v_and_b32_e32 v16, 0xffff, v16
	v_and_b32_e32 v17, 3, v16
	v_ffbh_u32_e32 v19, v17
	v_min_u32_e32 v19, 32, v19
	v_subrev_u32_e32 v20, 29, v19
	v_bfe_u32 v18, v16, 2, 5
	v_lshlrev_b32_e32 v16, v20, v16
	v_sub_u32_e32 v19, 30, v19
	v_and_b32_e32 v16, 3, v16
	v_cmp_eq_u32_e32 vcc, 0, v18
	v_cndmask_b32_e32 v18, v18, v19, vcc
	v_cndmask_b32_e32 v16, v17, v16, vcc
	v_mov_b32_e32 v17, 0x37800000
	v_lshlrev_b32_e32 v16, 21, v16
	v_and_b32_e32 v10, 0x80000000, v10
	v_lshl_add_u32 v17, v18, 23, v17
	v_or3_b32 v10, v10, v17, v16
.LBB15_1474:
	s_or_b64 exec, exec, s[4:5]
	s_mov_b64 s[2:3], 0
	s_branch .LBB15_1480
.LBB15_1475:
	s_mov_b64 s[2:3], -1
                                        ; implicit-def: $vgpr10
	s_branch .LBB15_1486
.LBB15_1476:
	s_or_saveexec_b64 s[14:15], s[14:15]
	v_mov_b32_e32 v10, 0x7f800001
	s_xor_b64 exec, exec, s[14:15]
	s_cbranch_execz .LBB15_1459
.LBB15_1477:
	v_cmp_ne_u16_e32 vcc, 0, v16
	s_andn2_b64 s[4:5], s[4:5], exec
	s_and_b64 s[16:17], vcc, exec
	v_mov_b32_e32 v10, 0
	s_or_b64 s[4:5], s[4:5], s[16:17]
	s_or_b64 exec, exec, s[14:15]
	s_and_saveexec_b64 s[14:15], s[4:5]
	s_cbranch_execnz .LBB15_1460
	s_branch .LBB15_1461
.LBB15_1478:
	s_mov_b64 s[2:3], -1
                                        ; implicit-def: $vgpr10
	s_branch .LBB15_1483
.LBB15_1479:
	s_mov_b64 s[2:3], -1
                                        ; implicit-def: $vgpr10
.LBB15_1480:
	s_and_b64 vcc, exec, s[2:3]
	s_cbranch_vccz .LBB15_1482
; %bb.1481:
	global_load_ubyte v10, v[8:9], off
	s_mov_b32 s2, 0x7f800000
	s_waitcnt vmcnt(0)
	v_lshlrev_b32_e32 v10, 24, v10
	v_and_b32_e32 v16, 0x7f000000, v10
	v_ffbh_u32_e32 v17, v16
	v_min_u32_e32 v17, 32, v17
	v_sub_u32_e64 v17, v17, 4 clamp
	v_lshlrev_b32_e32 v19, v17, v16
	v_lshlrev_b32_e32 v17, 23, v17
	v_lshrrev_b32_e32 v19, 4, v19
	v_add_u32_e32 v18, 0x1000000, v16
	v_sub_u32_e32 v17, v19, v17
	v_ashrrev_i32_e32 v18, 8, v18
	v_add_u32_e32 v17, 0x3c000000, v17
	v_and_or_b32 v17, v18, s2, v17
	v_cmp_ne_u32_e32 vcc, 0, v16
	v_cndmask_b32_e32 v16, 0, v17, vcc
	s_brev_b32 s2, 1
	v_and_or_b32 v10, v10, s2, v16
.LBB15_1482:
	s_mov_b64 s[2:3], 0
.LBB15_1483:
	s_andn2_b64 vcc, exec, s[2:3]
	s_cbranch_vccnz .LBB15_1485
; %bb.1484:
	global_load_ubyte v10, v[8:9], off
	s_movk_i32 s2, 0x7f00
	s_brev_b32 s3, 16
	s_waitcnt vmcnt(0)
	v_lshlrev_b16_e32 v16, 8, v10
	v_lshlrev_b32_e32 v10, 25, v10
	v_lshrrev_b32_e32 v17, 4, v10
	v_and_or_b32 v18, v16, s2, 0.5
	v_or_b32_e32 v17, 0x70000000, v17
	v_add_f32_e32 v18, -0.5, v18
	v_mul_f32_e32 v17, 0x7800000, v17
	v_cmp_gt_u32_e32 vcc, s3, v10
	v_bfe_i32 v16, v16, 0, 16
	v_cndmask_b32_e32 v10, v17, v18, vcc
	s_brev_b32 s2, 1
	v_and_or_b32 v10, v16, s2, v10
.LBB15_1485:
	s_mov_b64 s[2:3], 0
	s_mov_b64 s[4:5], -1
.LBB15_1486:
	s_andn2_b64 vcc, exec, s[2:3]
	s_mov_b64 s[2:3], 0
	s_cbranch_vccnz .LBB15_1497
; %bb.1487:
	s_cmp_gt_i32 s20, 14
	s_cbranch_scc0 .LBB15_1490
; %bb.1488:
	s_cmp_eq_u32 s20, 15
	s_cbranch_scc0 .LBB15_1493
; %bb.1489:
	global_load_ushort v10, v[8:9], off
	s_mov_b64 s[0:1], 0
	s_mov_b64 s[4:5], -1
	s_waitcnt vmcnt(0)
	v_lshlrev_b32_e32 v10, 16, v10
	s_branch .LBB15_1494
.LBB15_1490:
	s_mov_b64 s[14:15], -1
                                        ; implicit-def: $vgpr10
	s_branch .LBB15_1495
.LBB15_1491:
	s_or_saveexec_b64 s[4:5], s[4:5]
	v_mov_b32_e32 v10, 0x7f800001
	s_xor_b64 exec, exec, s[4:5]
	s_cbranch_execz .LBB15_1472
.LBB15_1492:
	v_cmp_ne_u16_e32 vcc, 0, v16
	s_andn2_b64 s[2:3], s[2:3], exec
	s_and_b64 s[14:15], vcc, exec
	v_mov_b32_e32 v10, 0
	s_or_b64 s[2:3], s[2:3], s[14:15]
	s_or_b64 exec, exec, s[4:5]
	s_and_saveexec_b64 s[4:5], s[2:3]
	s_cbranch_execnz .LBB15_1473
	s_branch .LBB15_1474
.LBB15_1493:
	s_mov_b64 s[0:1], -1
                                        ; implicit-def: $vgpr10
.LBB15_1494:
	s_mov_b64 s[14:15], 0
.LBB15_1495:
	s_and_b64 vcc, exec, s[14:15]
	s_cbranch_vccz .LBB15_1497
; %bb.1496:
	s_cmp_lg_u32 s20, 11
	s_mov_b64 s[2:3], -1
	s_cselect_b64 s[0:1], -1, 0
.LBB15_1497:
	s_and_b64 vcc, exec, s[0:1]
	s_cbranch_vccnz .LBB15_1564
; %bb.1498:
	s_andn2_b64 vcc, exec, s[2:3]
	s_cbranch_vccnz .LBB15_1500
.LBB15_1499:
	global_load_ubyte v10, v[8:9], off
	s_mov_b64 s[4:5], -1
	s_waitcnt vmcnt(0)
	v_cmp_ne_u16_e32 vcc, 0, v10
	v_cndmask_b32_e64 v10, 0, 1.0, vcc
.LBB15_1500:
	s_branch .LBB15_1428
.LBB15_1501:
	s_and_b32 s2, 0xffff, s19
	s_cmp_lt_i32 s2, 5
	s_cbranch_scc1 .LBB15_1506
; %bb.1502:
	s_cmp_lt_i32 s2, 8
	s_cbranch_scc1 .LBB15_1507
; %bb.1503:
	;; [unrolled: 3-line block ×3, first 2 shown]
	s_cmp_gt_i32 s2, 9
	s_cbranch_scc0 .LBB15_1509
; %bb.1505:
	global_load_dwordx2 v[16:17], v[8:9], off
	s_mov_b64 s[0:1], 0
	s_waitcnt vmcnt(0)
	v_cvt_f32_f64_e32 v10, v[16:17]
	s_branch .LBB15_1510
.LBB15_1506:
	s_mov_b64 s[0:1], -1
                                        ; implicit-def: $vgpr10
	s_branch .LBB15_1528
.LBB15_1507:
	s_mov_b64 s[0:1], -1
                                        ; implicit-def: $vgpr10
	s_branch .LBB15_1516
.LBB15_1508:
	s_mov_b64 s[0:1], -1
                                        ; implicit-def: $vgpr10
	s_branch .LBB15_1513
.LBB15_1509:
	s_mov_b64 s[0:1], -1
                                        ; implicit-def: $vgpr10
.LBB15_1510:
	s_andn2_b64 vcc, exec, s[0:1]
	s_cbranch_vccnz .LBB15_1512
; %bb.1511:
	global_load_dword v10, v[8:9], off
.LBB15_1512:
	s_mov_b64 s[0:1], 0
.LBB15_1513:
	s_andn2_b64 vcc, exec, s[0:1]
	s_cbranch_vccnz .LBB15_1515
; %bb.1514:
	global_load_dword v10, v[8:9], off
	s_waitcnt vmcnt(0)
	v_cvt_f32_f16_e32 v10, v10
.LBB15_1515:
	s_mov_b64 s[0:1], 0
.LBB15_1516:
	s_andn2_b64 vcc, exec, s[0:1]
	s_cbranch_vccnz .LBB15_1527
; %bb.1517:
	s_cmp_lt_i32 s2, 6
	s_cbranch_scc1 .LBB15_1520
; %bb.1518:
	s_cmp_gt_i32 s2, 6
	s_cbranch_scc0 .LBB15_1521
; %bb.1519:
	global_load_dwordx2 v[16:17], v[8:9], off
	s_mov_b64 s[0:1], 0
	s_waitcnt vmcnt(0)
	v_cvt_f32_f64_e32 v10, v[16:17]
	s_branch .LBB15_1522
.LBB15_1520:
	s_mov_b64 s[0:1], -1
                                        ; implicit-def: $vgpr10
	s_branch .LBB15_1525
.LBB15_1521:
	s_mov_b64 s[0:1], -1
                                        ; implicit-def: $vgpr10
.LBB15_1522:
	s_andn2_b64 vcc, exec, s[0:1]
	s_cbranch_vccnz .LBB15_1524
; %bb.1523:
	global_load_dword v10, v[8:9], off
.LBB15_1524:
	s_mov_b64 s[0:1], 0
.LBB15_1525:
	s_andn2_b64 vcc, exec, s[0:1]
	s_cbranch_vccnz .LBB15_1527
; %bb.1526:
	global_load_ushort v10, v[8:9], off
	s_waitcnt vmcnt(0)
	v_cvt_f32_f16_e32 v10, v10
.LBB15_1527:
	s_mov_b64 s[0:1], 0
.LBB15_1528:
	s_andn2_b64 vcc, exec, s[0:1]
	s_cbranch_vccnz .LBB15_1548
; %bb.1529:
	s_cmp_lt_i32 s2, 2
	s_cbranch_scc1 .LBB15_1533
; %bb.1530:
	s_cmp_lt_i32 s2, 3
	s_cbranch_scc1 .LBB15_1534
; %bb.1531:
	s_cmp_gt_i32 s2, 3
	s_cbranch_scc0 .LBB15_1535
; %bb.1532:
	global_load_dwordx2 v[16:17], v[8:9], off
	s_mov_b64 s[0:1], 0
	s_waitcnt vmcnt(0)
	v_xor_b32_e32 v18, v16, v17
	v_ffbh_i32_e32 v10, v17
	v_ashrrev_i32_e32 v18, 31, v18
	v_add_u32_e32 v10, -1, v10
	v_add_u32_e32 v18, 32, v18
	v_min_u32_e32 v10, v10, v18
	v_lshlrev_b64 v[16:17], v10, v[16:17]
	v_sub_u32_e32 v10, 32, v10
	v_min_u32_e32 v16, 1, v16
	v_or_b32_e32 v16, v17, v16
	v_cvt_f32_i32_e32 v16, v16
	v_ldexp_f32 v10, v16, v10
	s_branch .LBB15_1536
.LBB15_1533:
	s_mov_b64 s[0:1], -1
                                        ; implicit-def: $vgpr10
	s_branch .LBB15_1542
.LBB15_1534:
	s_mov_b64 s[0:1], -1
                                        ; implicit-def: $vgpr10
	s_branch .LBB15_1539
.LBB15_1535:
	s_mov_b64 s[0:1], -1
                                        ; implicit-def: $vgpr10
.LBB15_1536:
	s_andn2_b64 vcc, exec, s[0:1]
	s_cbranch_vccnz .LBB15_1538
; %bb.1537:
	global_load_dword v10, v[8:9], off
	s_waitcnt vmcnt(0)
	v_cvt_f32_i32_e32 v10, v10
.LBB15_1538:
	s_mov_b64 s[0:1], 0
.LBB15_1539:
	s_andn2_b64 vcc, exec, s[0:1]
	s_cbranch_vccnz .LBB15_1541
; %bb.1540:
	global_load_sshort v10, v[8:9], off
	s_waitcnt vmcnt(0)
	v_cvt_f32_i32_e32 v10, v10
.LBB15_1541:
	s_mov_b64 s[0:1], 0
.LBB15_1542:
	s_andn2_b64 vcc, exec, s[0:1]
	s_cbranch_vccnz .LBB15_1548
; %bb.1543:
	s_cmp_gt_i32 s2, 0
	s_cbranch_scc0 .LBB15_1545
; %bb.1544:
	global_load_sbyte v10, v[8:9], off
	s_mov_b64 s[0:1], 0
	s_waitcnt vmcnt(0)
	v_cvt_f32_i32_e32 v10, v10
	s_branch .LBB15_1546
.LBB15_1545:
	s_mov_b64 s[0:1], -1
                                        ; implicit-def: $vgpr10
.LBB15_1546:
	s_andn2_b64 vcc, exec, s[0:1]
	s_cbranch_vccnz .LBB15_1548
; %bb.1547:
	global_load_ubyte v8, v[8:9], off
	s_waitcnt vmcnt(0)
	v_cvt_f32_ubyte0_e32 v10, v8
.LBB15_1548:
.LBB15_1549:
	s_brev_b32 s0, 18
	s_waitcnt vmcnt(0)
	v_and_b32_e32 v16, 0x7fffffff, v10
	v_cmp_nlt_f32_e64 s[0:1], |v10|, s0
                                        ; implicit-def: $vgpr17
                                        ; implicit-def: $vgpr18
	s_and_saveexec_b64 s[2:3], s[0:1]
	s_xor_b64 s[14:15], exec, s[2:3]
	s_cbranch_execz .LBB15_1551
; %bb.1550:
	v_and_b32_e32 v8, 0x7fffff, v16
	v_or_b32_e32 v25, 0x800000, v8
	s_mov_b32 s0, 0xfe5163ab
	v_mad_u64_u32 v[8:9], s[0:1], v25, s0, 0
	v_mov_b32_e32 v18, 0
	s_mov_b32 s0, 0x3c439041
	v_mov_b32_e32 v17, v9
	v_mad_u64_u32 v[19:20], s[0:1], v25, s0, v[17:18]
	s_mov_b32 s0, 0xdb629599
	v_lshrrev_b32_e32 v9, 23, v16
	v_mov_b32_e32 v17, v20
	v_mad_u64_u32 v[20:21], s[0:1], v25, s0, v[17:18]
	s_mov_b32 s0, 0xf534ddc0
	v_add_u32_e32 v9, 0xffffff88, v9
	v_mov_b32_e32 v17, v21
	v_mad_u64_u32 v[21:22], s[0:1], v25, s0, v[17:18]
	s_mov_b32 s0, 0xfc2757d1
	v_not_b32_e32 v24, 63
	v_mov_b32_e32 v17, v22
	v_mad_u64_u32 v[22:23], s[0:1], v25, s0, v[17:18]
	v_cmp_lt_u32_e32 vcc, 63, v9
	v_cndmask_b32_e32 v17, 0, v24, vcc
	v_add_u32_e32 v9, v17, v9
	v_mov_b32_e32 v17, v23
	s_mov_b32 s0, 0x4e441529
	v_mad_u64_u32 v[23:24], s[0:1], v25, s0, v[17:18]
	v_not_b32_e32 v26, 31
	v_cmp_lt_u32_e64 s[0:1], 31, v9
	v_cndmask_b32_e64 v17, 0, v26, s[0:1]
	v_add_u32_e32 v9, v17, v9
	v_mov_b32_e32 v17, v24
	s_mov_b32 s2, 0xa2f9836e
	v_mad_u64_u32 v[17:18], s[2:3], v25, s2, v[17:18]
	v_cmp_lt_u32_e64 s[2:3], 31, v9
	v_cndmask_b32_e64 v24, 0, v26, s[2:3]
	v_add_u32_e32 v9, v24, v9
	v_cndmask_b32_e32 v24, v23, v21, vcc
	v_cndmask_b32_e32 v17, v17, v22, vcc
	;; [unrolled: 1-line block ×3, first 2 shown]
	v_cndmask_b32_e64 v25, v17, v24, s[0:1]
	v_cndmask_b32_e64 v17, v18, v17, s[0:1]
	v_cndmask_b32_e32 v18, v22, v20, vcc
	v_cndmask_b32_e64 v22, v24, v18, s[0:1]
	v_cndmask_b32_e64 v17, v17, v25, s[2:3]
	;; [unrolled: 1-line block ×3, first 2 shown]
	v_sub_u32_e32 v24, 32, v9
	v_alignbit_b32 v25, v17, v23, v24
	v_cmp_eq_u32_e64 s[4:5], 0, v9
	v_cndmask_b32_e64 v9, v25, v17, s[4:5]
	v_cndmask_b32_e32 v17, v21, v19, vcc
	v_cndmask_b32_e64 v18, v18, v17, s[0:1]
	v_cndmask_b32_e64 v19, v22, v18, s[2:3]
	v_alignbit_b32 v21, v23, v19, v24
	v_cndmask_b32_e32 v8, v20, v8, vcc
	v_cndmask_b32_e64 v21, v21, v23, s[4:5]
	v_bfe_u32 v25, v9, 29, 1
	v_cndmask_b32_e64 v8, v17, v8, s[0:1]
	v_alignbit_b32 v22, v9, v21, 30
	v_sub_u32_e32 v26, 0, v25
	v_cndmask_b32_e64 v8, v18, v8, s[2:3]
	v_xor_b32_e32 v22, v22, v26
	v_alignbit_b32 v17, v19, v8, v24
	v_cndmask_b32_e64 v17, v17, v19, s[4:5]
	v_ffbh_u32_e32 v19, v22
	v_alignbit_b32 v18, v21, v17, 30
	v_min_u32_e32 v19, 32, v19
	v_alignbit_b32 v8, v17, v8, 30
	v_xor_b32_e32 v18, v18, v26
	v_sub_u32_e32 v20, 31, v19
	v_xor_b32_e32 v8, v8, v26
	v_alignbit_b32 v21, v22, v18, v20
	v_alignbit_b32 v8, v18, v8, v20
	;; [unrolled: 1-line block ×3, first 2 shown]
	v_ffbh_u32_e32 v18, v17
	v_min_u32_e32 v18, 32, v18
	v_lshrrev_b32_e32 v23, 29, v9
	v_not_b32_e32 v20, v18
	v_alignbit_b32 v8, v17, v8, v20
	v_lshlrev_b32_e32 v17, 31, v23
	v_or_b32_e32 v20, 0x33000000, v17
	v_add_lshl_u32 v18, v18, v19, 23
	v_lshrrev_b32_e32 v8, 9, v8
	v_sub_u32_e32 v18, v20, v18
	v_or_b32_e32 v17, 0.5, v17
	v_lshlrev_b32_e32 v19, 23, v19
	v_or_b32_e32 v8, v18, v8
	v_lshrrev_b32_e32 v18, 9, v21
	v_sub_u32_e32 v17, v17, v19
	v_or_b32_e32 v17, v18, v17
	s_mov_b32 s0, 0x3fc90fda
	v_mul_f32_e32 v18, 0x3fc90fda, v17
	v_fma_f32 v19, v17, s0, -v18
	v_fmac_f32_e32 v19, 0x33a22168, v17
	v_fmac_f32_e32 v19, 0x3fc90fda, v8
	v_lshrrev_b32_e32 v8, 30, v9
	v_add_f32_e32 v18, v18, v19
	v_add_u32_e32 v17, v25, v8
.LBB15_1551:
	s_andn2_saveexec_b64 s[0:1], s[14:15]
	s_cbranch_execz .LBB15_1553
; %bb.1552:
	s_mov_b32 s2, 0x3f22f983
	v_mul_f32_e64 v8, |v10|, s2
	v_rndne_f32_e32 v8, v8
	s_mov_b32 s2, 0xbfc90fda
	v_cvt_i32_f32_e32 v17, v8
	v_fma_f32 v18, v8, s2, |v10|
	v_fmac_f32_e32 v18, 0xb3a22168, v8
	v_fmac_f32_e32 v18, 0xa7c234c4, v8
.LBB15_1553:
	s_or_b64 exec, exec, s[0:1]
	v_mov_b32_e32 v8, s11
	v_add_co_u32_e32 v7, vcc, s10, v7
	s_cmp_lt_i32 s19, 11
	v_addc_co_u32_e32 v8, vcc, 0, v8, vcc
	s_cbranch_scc1 .LBB15_1560
; %bb.1554:
	s_and_b32 s16, 0xffff, s19
	s_cmp_gt_i32 s16, 25
	s_mov_b64 s[2:3], 0
	s_cbranch_scc0 .LBB15_1561
; %bb.1555:
	s_cmp_gt_i32 s16, 28
	s_cbranch_scc0 .LBB15_1562
; %bb.1556:
	s_cmp_gt_i32 s16, 43
	;; [unrolled: 3-line block ×3, first 2 shown]
	s_cbranch_scc0 .LBB15_1565
; %bb.1558:
	s_cmp_eq_u32 s16, 46
	s_mov_b64 s[10:11], 0
	s_cbranch_scc0 .LBB15_1566
; %bb.1559:
	global_load_dword v9, v[7:8], off
	s_mov_b64 s[0:1], 0
	s_mov_b64 s[4:5], -1
	s_waitcnt vmcnt(0)
	v_lshlrev_b32_e32 v9, 16, v9
	s_branch .LBB15_1567
.LBB15_1560:
	s_mov_b64 s[0:1], -1
	s_mov_b64 s[4:5], 0
                                        ; implicit-def: $vgpr9
	s_branch .LBB15_1633
.LBB15_1561:
	s_mov_b64 s[10:11], -1
	s_mov_b64 s[4:5], 0
	s_mov_b64 s[0:1], 0
                                        ; implicit-def: $vgpr9
	s_branch .LBB15_1596
.LBB15_1562:
	s_mov_b64 s[10:11], -1
	s_mov_b64 s[4:5], 0
	s_mov_b64 s[0:1], 0
                                        ; implicit-def: $vgpr9
	s_branch .LBB15_1577
.LBB15_1563:
	s_mov_b64 s[10:11], -1
	s_mov_b64 s[4:5], 0
	s_mov_b64 s[0:1], 0
                                        ; implicit-def: $vgpr9
	s_branch .LBB15_1572
.LBB15_1564:
	s_trap 2
	s_or_b64 s[12:13], s[12:13], exec
	s_cbranch_execz .LBB15_1499
	s_branch .LBB15_1500
.LBB15_1565:
	s_mov_b64 s[10:11], -1
	s_mov_b64 s[4:5], 0
	s_mov_b64 s[0:1], 0
                                        ; implicit-def: $vgpr9
	s_branch .LBB15_1567
.LBB15_1566:
	s_mov_b64 s[0:1], -1
                                        ; implicit-def: $vgpr9
	s_mov_b64 s[4:5], 0
.LBB15_1567:
	s_and_b64 vcc, exec, s[10:11]
	s_cbranch_vccz .LBB15_1571
; %bb.1568:
	s_cmp_eq_u32 s16, 44
	s_cbranch_scc0 .LBB15_1570
; %bb.1569:
	global_load_ubyte v9, v[7:8], off
	s_movk_i32 s4, 0xff
	v_mov_b32_e32 v19, 0x7f800001
	v_mov_b32_e32 v20, 0x400000
	s_mov_b64 s[0:1], 0
	s_waitcnt vmcnt(0)
	v_lshlrev_b32_e32 v21, 23, v9
	v_cmp_ne_u32_e32 vcc, s4, v9
	v_cndmask_b32_e32 v19, v19, v21, vcc
	v_cmp_ne_u32_e32 vcc, 0, v9
	v_cndmask_b32_e32 v9, v20, v19, vcc
	s_mov_b64 s[4:5], -1
	s_branch .LBB15_1571
.LBB15_1570:
	s_mov_b64 s[0:1], -1
                                        ; implicit-def: $vgpr9
.LBB15_1571:
	s_mov_b64 s[10:11], 0
.LBB15_1572:
	s_and_b64 vcc, exec, s[10:11]
	s_cbranch_vccz .LBB15_1576
; %bb.1573:
	s_cmp_eq_u32 s16, 29
	s_cbranch_scc0 .LBB15_1575
; %bb.1574:
	global_load_dwordx2 v[19:20], v[7:8], off
	s_mov_b64 s[0:1], 0
	s_mov_b64 s[4:5], -1
	s_mov_b64 s[10:11], 0
	s_waitcnt vmcnt(0)
	v_ffbh_u32_e32 v9, v20
	v_min_u32_e32 v9, 32, v9
	v_lshlrev_b64 v[19:20], v9, v[19:20]
	v_sub_u32_e32 v9, 32, v9
	v_min_u32_e32 v19, 1, v19
	v_or_b32_e32 v19, v20, v19
	v_cvt_f32_u32_e32 v19, v19
	v_ldexp_f32 v9, v19, v9
	s_branch .LBB15_1577
.LBB15_1575:
	s_mov_b64 s[0:1], -1
                                        ; implicit-def: $vgpr9
.LBB15_1576:
	s_mov_b64 s[10:11], 0
.LBB15_1577:
	s_and_b64 vcc, exec, s[10:11]
	s_cbranch_vccz .LBB15_1595
; %bb.1578:
	s_cmp_lt_i32 s16, 27
	s_cbranch_scc1 .LBB15_1581
; %bb.1579:
	s_cmp_gt_i32 s16, 27
	s_cbranch_scc0 .LBB15_1582
; %bb.1580:
	global_load_dword v9, v[7:8], off
	s_mov_b64 s[4:5], 0
	s_waitcnt vmcnt(0)
	v_cvt_f32_u32_e32 v9, v9
	s_branch .LBB15_1583
.LBB15_1581:
	s_mov_b64 s[4:5], -1
                                        ; implicit-def: $vgpr9
	s_branch .LBB15_1586
.LBB15_1582:
	s_mov_b64 s[4:5], -1
                                        ; implicit-def: $vgpr9
.LBB15_1583:
	s_andn2_b64 vcc, exec, s[4:5]
	s_cbranch_vccnz .LBB15_1585
; %bb.1584:
	global_load_ushort v9, v[7:8], off
	s_waitcnt vmcnt(0)
	v_cvt_f32_u32_e32 v9, v9
.LBB15_1585:
	s_mov_b64 s[4:5], 0
.LBB15_1586:
	s_andn2_b64 vcc, exec, s[4:5]
	s_cbranch_vccnz .LBB15_1594
; %bb.1587:
	global_load_ubyte v19, v[7:8], off
	s_movk_i32 s4, 0x7f
	s_waitcnt vmcnt(0)
	v_cmp_lt_i16_e32 vcc, s4, v19
	s_mov_b64 s[4:5], 0
	s_and_saveexec_b64 s[10:11], vcc
	s_xor_b64 s[10:11], exec, s[10:11]
	s_cbranch_execz .LBB15_1608
; %bb.1588:
	s_movk_i32 s4, 0x80
	v_cmp_eq_u16_e32 vcc, s4, v19
	s_mov_b64 s[4:5], -1
	s_and_saveexec_b64 s[14:15], vcc
; %bb.1589:
	s_xor_b64 s[4:5], exec, -1
; %bb.1590:
	s_or_b64 exec, exec, s[14:15]
	s_and_b64 s[4:5], s[4:5], exec
	s_or_saveexec_b64 s[10:11], s[10:11]
	v_mov_b32_e32 v9, 0x7f800001
	s_xor_b64 exec, exec, s[10:11]
	s_cbranch_execnz .LBB15_1609
.LBB15_1591:
	s_or_b64 exec, exec, s[10:11]
	s_and_saveexec_b64 s[10:11], s[4:5]
	s_cbranch_execz .LBB15_1593
.LBB15_1592:
	v_lshlrev_b32_e32 v9, 24, v19
	v_and_b32_e32 v19, 0xffff, v19
	v_and_b32_e32 v20, 7, v19
	v_ffbh_u32_e32 v22, v20
	v_min_u32_e32 v22, 32, v22
	v_subrev_u32_e32 v23, 28, v22
	v_bfe_u32 v21, v19, 3, 4
	v_lshlrev_b32_e32 v19, v23, v19
	v_sub_u32_e32 v22, 29, v22
	v_and_b32_e32 v19, 7, v19
	v_cmp_eq_u32_e32 vcc, 0, v21
	v_cndmask_b32_e32 v21, v21, v22, vcc
	v_cndmask_b32_e32 v19, v20, v19, vcc
	v_mov_b32_e32 v20, 0x3b800000
	v_lshlrev_b32_e32 v19, 20, v19
	v_and_b32_e32 v9, 0x80000000, v9
	v_lshl_add_u32 v20, v21, 23, v20
	v_or3_b32 v9, v9, v20, v19
.LBB15_1593:
	s_or_b64 exec, exec, s[10:11]
.LBB15_1594:
	s_mov_b64 s[4:5], -1
.LBB15_1595:
	s_mov_b64 s[10:11], 0
.LBB15_1596:
	s_and_b64 vcc, exec, s[10:11]
	s_cbranch_vccz .LBB15_1629
; %bb.1597:
	s_cmp_gt_i32 s16, 22
	s_cbranch_scc0 .LBB15_1607
; %bb.1598:
	s_cmp_lt_i32 s16, 24
	s_cbranch_scc1 .LBB15_1610
; %bb.1599:
	s_cmp_gt_i32 s16, 24
	s_cbranch_scc0 .LBB15_1611
; %bb.1600:
	global_load_ubyte v19, v[7:8], off
	s_movk_i32 s2, 0x7f
	s_waitcnt vmcnt(0)
	v_cmp_lt_i16_e32 vcc, s2, v19
	s_mov_b64 s[2:3], 0
	s_and_saveexec_b64 s[4:5], vcc
	s_xor_b64 s[4:5], exec, s[4:5]
	s_cbranch_execz .LBB15_1623
; %bb.1601:
	s_movk_i32 s2, 0x80
	v_cmp_eq_u16_e32 vcc, s2, v19
	s_mov_b64 s[2:3], -1
	s_and_saveexec_b64 s[10:11], vcc
; %bb.1602:
	s_xor_b64 s[2:3], exec, -1
; %bb.1603:
	s_or_b64 exec, exec, s[10:11]
	s_and_b64 s[2:3], s[2:3], exec
	s_or_saveexec_b64 s[4:5], s[4:5]
	v_mov_b32_e32 v9, 0x7f800001
	s_xor_b64 exec, exec, s[4:5]
	s_cbranch_execnz .LBB15_1624
.LBB15_1604:
	s_or_b64 exec, exec, s[4:5]
	s_and_saveexec_b64 s[4:5], s[2:3]
	s_cbranch_execz .LBB15_1606
.LBB15_1605:
	v_lshlrev_b32_e32 v9, 24, v19
	v_and_b32_e32 v19, 0xffff, v19
	v_and_b32_e32 v20, 3, v19
	v_ffbh_u32_e32 v22, v20
	v_min_u32_e32 v22, 32, v22
	v_subrev_u32_e32 v23, 29, v22
	v_bfe_u32 v21, v19, 2, 5
	v_lshlrev_b32_e32 v19, v23, v19
	v_sub_u32_e32 v22, 30, v22
	v_and_b32_e32 v19, 3, v19
	v_cmp_eq_u32_e32 vcc, 0, v21
	v_cndmask_b32_e32 v21, v21, v22, vcc
	v_cndmask_b32_e32 v19, v20, v19, vcc
	v_mov_b32_e32 v20, 0x37800000
	v_lshlrev_b32_e32 v19, 21, v19
	v_and_b32_e32 v9, 0x80000000, v9
	v_lshl_add_u32 v20, v21, 23, v20
	v_or3_b32 v9, v9, v20, v19
.LBB15_1606:
	s_or_b64 exec, exec, s[4:5]
	s_mov_b64 s[2:3], 0
	s_branch .LBB15_1612
.LBB15_1607:
	s_mov_b64 s[2:3], -1
                                        ; implicit-def: $vgpr9
	s_branch .LBB15_1618
.LBB15_1608:
	s_or_saveexec_b64 s[10:11], s[10:11]
	v_mov_b32_e32 v9, 0x7f800001
	s_xor_b64 exec, exec, s[10:11]
	s_cbranch_execz .LBB15_1591
.LBB15_1609:
	v_cmp_ne_u16_e32 vcc, 0, v19
	s_andn2_b64 s[4:5], s[4:5], exec
	s_and_b64 s[14:15], vcc, exec
	v_mov_b32_e32 v9, 0
	s_or_b64 s[4:5], s[4:5], s[14:15]
	s_or_b64 exec, exec, s[10:11]
	s_and_saveexec_b64 s[10:11], s[4:5]
	s_cbranch_execnz .LBB15_1592
	s_branch .LBB15_1593
.LBB15_1610:
	s_mov_b64 s[2:3], -1
                                        ; implicit-def: $vgpr9
	s_branch .LBB15_1615
.LBB15_1611:
	s_mov_b64 s[2:3], -1
                                        ; implicit-def: $vgpr9
.LBB15_1612:
	s_and_b64 vcc, exec, s[2:3]
	s_cbranch_vccz .LBB15_1614
; %bb.1613:
	global_load_ubyte v9, v[7:8], off
	s_mov_b32 s2, 0x7f800000
	s_waitcnt vmcnt(0)
	v_lshlrev_b32_e32 v9, 24, v9
	v_and_b32_e32 v19, 0x7f000000, v9
	v_ffbh_u32_e32 v20, v19
	v_min_u32_e32 v20, 32, v20
	v_sub_u32_e64 v20, v20, 4 clamp
	v_lshlrev_b32_e32 v22, v20, v19
	v_lshlrev_b32_e32 v20, 23, v20
	v_lshrrev_b32_e32 v22, 4, v22
	v_add_u32_e32 v21, 0x1000000, v19
	v_sub_u32_e32 v20, v22, v20
	v_ashrrev_i32_e32 v21, 8, v21
	v_add_u32_e32 v20, 0x3c000000, v20
	v_and_or_b32 v20, v21, s2, v20
	v_cmp_ne_u32_e32 vcc, 0, v19
	v_cndmask_b32_e32 v19, 0, v20, vcc
	s_brev_b32 s2, 1
	v_and_or_b32 v9, v9, s2, v19
.LBB15_1614:
	s_mov_b64 s[2:3], 0
.LBB15_1615:
	s_andn2_b64 vcc, exec, s[2:3]
	s_cbranch_vccnz .LBB15_1617
; %bb.1616:
	global_load_ubyte v9, v[7:8], off
	s_movk_i32 s2, 0x7f00
	s_brev_b32 s3, 16
	s_waitcnt vmcnt(0)
	v_lshlrev_b16_e32 v19, 8, v9
	v_lshlrev_b32_e32 v9, 25, v9
	v_lshrrev_b32_e32 v20, 4, v9
	v_and_or_b32 v21, v19, s2, 0.5
	v_or_b32_e32 v20, 0x70000000, v20
	v_add_f32_e32 v21, -0.5, v21
	v_mul_f32_e32 v20, 0x7800000, v20
	v_cmp_gt_u32_e32 vcc, s3, v9
	v_bfe_i32 v19, v19, 0, 16
	v_cndmask_b32_e32 v9, v20, v21, vcc
	s_brev_b32 s2, 1
	v_and_or_b32 v9, v19, s2, v9
.LBB15_1617:
	s_mov_b64 s[2:3], 0
	s_mov_b64 s[4:5], -1
.LBB15_1618:
	s_andn2_b64 vcc, exec, s[2:3]
	s_mov_b64 s[2:3], 0
	s_cbranch_vccnz .LBB15_1629
; %bb.1619:
	s_cmp_gt_i32 s16, 14
	s_cbranch_scc0 .LBB15_1622
; %bb.1620:
	s_cmp_eq_u32 s16, 15
	s_cbranch_scc0 .LBB15_1625
; %bb.1621:
	global_load_ushort v9, v[7:8], off
	s_mov_b64 s[0:1], 0
	s_mov_b64 s[4:5], -1
	s_waitcnt vmcnt(0)
	v_lshlrev_b32_e32 v9, 16, v9
	s_branch .LBB15_1626
.LBB15_1622:
	s_mov_b64 s[10:11], -1
                                        ; implicit-def: $vgpr9
	s_branch .LBB15_1627
.LBB15_1623:
	s_or_saveexec_b64 s[4:5], s[4:5]
	v_mov_b32_e32 v9, 0x7f800001
	s_xor_b64 exec, exec, s[4:5]
	s_cbranch_execz .LBB15_1604
.LBB15_1624:
	v_cmp_ne_u16_e32 vcc, 0, v19
	s_andn2_b64 s[2:3], s[2:3], exec
	s_and_b64 s[10:11], vcc, exec
	v_mov_b32_e32 v9, 0
	s_or_b64 s[2:3], s[2:3], s[10:11]
	s_or_b64 exec, exec, s[4:5]
	s_and_saveexec_b64 s[4:5], s[2:3]
	s_cbranch_execnz .LBB15_1605
	s_branch .LBB15_1606
.LBB15_1625:
	s_mov_b64 s[0:1], -1
                                        ; implicit-def: $vgpr9
.LBB15_1626:
	s_mov_b64 s[10:11], 0
.LBB15_1627:
	s_and_b64 vcc, exec, s[10:11]
	s_cbranch_vccz .LBB15_1629
; %bb.1628:
	s_cmp_lg_u32 s16, 11
	s_mov_b64 s[2:3], -1
	s_cselect_b64 s[0:1], -1, 0
.LBB15_1629:
	s_and_b64 vcc, exec, s[0:1]
	s_cbranch_vccnz .LBB15_2166
; %bb.1630:
	s_andn2_b64 vcc, exec, s[2:3]
	s_cbranch_vccnz .LBB15_1632
.LBB15_1631:
	global_load_ubyte v9, v[7:8], off
	s_mov_b64 s[4:5], -1
	s_waitcnt vmcnt(0)
	v_cmp_ne_u16_e32 vcc, 0, v9
	v_cndmask_b32_e64 v9, 0, 1.0, vcc
.LBB15_1632:
	s_mov_b64 s[0:1], 0
.LBB15_1633:
	s_and_b64 vcc, exec, s[0:1]
	s_cbranch_vccz .LBB15_1682
; %bb.1634:
	s_and_b32 s2, 0xffff, s19
	s_cmp_lt_i32 s2, 5
	s_cbranch_scc1 .LBB15_1639
; %bb.1635:
	s_cmp_lt_i32 s2, 8
	s_cbranch_scc1 .LBB15_1640
; %bb.1636:
	;; [unrolled: 3-line block ×3, first 2 shown]
	s_cmp_gt_i32 s2, 9
	s_cbranch_scc0 .LBB15_1642
; %bb.1638:
	global_load_dwordx2 v[19:20], v[7:8], off
	s_mov_b64 s[0:1], 0
	s_waitcnt vmcnt(0)
	v_cvt_f32_f64_e32 v9, v[19:20]
	s_branch .LBB15_1643
.LBB15_1639:
	s_mov_b64 s[0:1], -1
                                        ; implicit-def: $vgpr9
	s_branch .LBB15_1661
.LBB15_1640:
	s_mov_b64 s[0:1], -1
                                        ; implicit-def: $vgpr9
	s_branch .LBB15_1649
.LBB15_1641:
	s_mov_b64 s[0:1], -1
                                        ; implicit-def: $vgpr9
	s_branch .LBB15_1646
.LBB15_1642:
	s_mov_b64 s[0:1], -1
                                        ; implicit-def: $vgpr9
.LBB15_1643:
	s_andn2_b64 vcc, exec, s[0:1]
	s_cbranch_vccnz .LBB15_1645
; %bb.1644:
	global_load_dword v9, v[7:8], off
.LBB15_1645:
	s_mov_b64 s[0:1], 0
.LBB15_1646:
	s_andn2_b64 vcc, exec, s[0:1]
	s_cbranch_vccnz .LBB15_1648
; %bb.1647:
	global_load_dword v9, v[7:8], off
	s_waitcnt vmcnt(0)
	v_cvt_f32_f16_e32 v9, v9
.LBB15_1648:
	s_mov_b64 s[0:1], 0
.LBB15_1649:
	s_andn2_b64 vcc, exec, s[0:1]
	s_cbranch_vccnz .LBB15_1660
; %bb.1650:
	s_cmp_lt_i32 s2, 6
	s_cbranch_scc1 .LBB15_1653
; %bb.1651:
	s_cmp_gt_i32 s2, 6
	s_cbranch_scc0 .LBB15_1654
; %bb.1652:
	global_load_dwordx2 v[19:20], v[7:8], off
	s_mov_b64 s[0:1], 0
	s_waitcnt vmcnt(0)
	v_cvt_f32_f64_e32 v9, v[19:20]
	s_branch .LBB15_1655
.LBB15_1653:
	s_mov_b64 s[0:1], -1
                                        ; implicit-def: $vgpr9
	s_branch .LBB15_1658
.LBB15_1654:
	s_mov_b64 s[0:1], -1
                                        ; implicit-def: $vgpr9
.LBB15_1655:
	s_andn2_b64 vcc, exec, s[0:1]
	s_cbranch_vccnz .LBB15_1657
; %bb.1656:
	global_load_dword v9, v[7:8], off
.LBB15_1657:
	s_mov_b64 s[0:1], 0
.LBB15_1658:
	s_andn2_b64 vcc, exec, s[0:1]
	s_cbranch_vccnz .LBB15_1660
; %bb.1659:
	global_load_ushort v9, v[7:8], off
	s_waitcnt vmcnt(0)
	v_cvt_f32_f16_e32 v9, v9
.LBB15_1660:
	s_mov_b64 s[0:1], 0
.LBB15_1661:
	s_andn2_b64 vcc, exec, s[0:1]
	s_cbranch_vccnz .LBB15_1681
; %bb.1662:
	s_cmp_lt_i32 s2, 2
	s_cbranch_scc1 .LBB15_1666
; %bb.1663:
	s_cmp_lt_i32 s2, 3
	s_cbranch_scc1 .LBB15_1667
; %bb.1664:
	s_cmp_gt_i32 s2, 3
	s_cbranch_scc0 .LBB15_1668
; %bb.1665:
	global_load_dwordx2 v[19:20], v[7:8], off
	s_mov_b64 s[0:1], 0
	s_waitcnt vmcnt(0)
	v_xor_b32_e32 v21, v19, v20
	v_ffbh_i32_e32 v9, v20
	v_ashrrev_i32_e32 v21, 31, v21
	v_add_u32_e32 v9, -1, v9
	v_add_u32_e32 v21, 32, v21
	v_min_u32_e32 v9, v9, v21
	v_lshlrev_b64 v[19:20], v9, v[19:20]
	v_sub_u32_e32 v9, 32, v9
	v_min_u32_e32 v19, 1, v19
	v_or_b32_e32 v19, v20, v19
	v_cvt_f32_i32_e32 v19, v19
	v_ldexp_f32 v9, v19, v9
	s_branch .LBB15_1669
.LBB15_1666:
	s_mov_b64 s[0:1], -1
                                        ; implicit-def: $vgpr9
	s_branch .LBB15_1675
.LBB15_1667:
	s_mov_b64 s[0:1], -1
                                        ; implicit-def: $vgpr9
	s_branch .LBB15_1672
.LBB15_1668:
	s_mov_b64 s[0:1], -1
                                        ; implicit-def: $vgpr9
.LBB15_1669:
	s_andn2_b64 vcc, exec, s[0:1]
	s_cbranch_vccnz .LBB15_1671
; %bb.1670:
	global_load_dword v9, v[7:8], off
	s_waitcnt vmcnt(0)
	v_cvt_f32_i32_e32 v9, v9
.LBB15_1671:
	s_mov_b64 s[0:1], 0
.LBB15_1672:
	s_andn2_b64 vcc, exec, s[0:1]
	s_cbranch_vccnz .LBB15_1674
; %bb.1673:
	global_load_sshort v9, v[7:8], off
	s_waitcnt vmcnt(0)
	v_cvt_f32_i32_e32 v9, v9
.LBB15_1674:
	s_mov_b64 s[0:1], 0
.LBB15_1675:
	s_andn2_b64 vcc, exec, s[0:1]
	s_cbranch_vccnz .LBB15_1681
; %bb.1676:
	s_cmp_gt_i32 s2, 0
	s_cbranch_scc0 .LBB15_1678
; %bb.1677:
	global_load_sbyte v9, v[7:8], off
	s_mov_b64 s[0:1], 0
	s_waitcnt vmcnt(0)
	v_cvt_f32_i32_e32 v9, v9
	s_branch .LBB15_1679
.LBB15_1678:
	s_mov_b64 s[0:1], -1
                                        ; implicit-def: $vgpr9
.LBB15_1679:
	s_andn2_b64 vcc, exec, s[0:1]
	s_cbranch_vccnz .LBB15_1681
; %bb.1680:
	global_load_ubyte v7, v[7:8], off
	s_waitcnt vmcnt(0)
	v_cvt_f32_ubyte0_e32 v9, v7
.LBB15_1681:
	s_mov_b64 s[4:5], -1
.LBB15_1682:
	s_andn2_b64 vcc, exec, s[4:5]
	s_cbranch_vccnz .LBB15_2120
; %bb.1683:
	s_brev_b32 s0, 18
	s_waitcnt vmcnt(0)
	v_and_b32_e32 v19, 0x7fffffff, v9
	v_cmp_nlt_f32_e64 s[0:1], |v9|, s0
                                        ; implicit-def: $vgpr20
                                        ; implicit-def: $vgpr21
	s_and_saveexec_b64 s[2:3], s[0:1]
	s_xor_b64 s[10:11], exec, s[2:3]
	s_cbranch_execz .LBB15_1685
; %bb.1684:
	v_and_b32_e32 v7, 0x7fffff, v19
	v_or_b32_e32 v28, 0x800000, v7
	s_mov_b32 s0, 0xfe5163ab
	v_mad_u64_u32 v[7:8], s[0:1], v28, s0, 0
	v_mov_b32_e32 v21, 0
	s_mov_b32 s0, 0x3c439041
	v_mov_b32_e32 v20, v8
	v_mad_u64_u32 v[22:23], s[0:1], v28, s0, v[20:21]
	s_mov_b32 s0, 0xdb629599
	v_lshrrev_b32_e32 v8, 23, v19
	v_mov_b32_e32 v20, v23
	v_mad_u64_u32 v[23:24], s[0:1], v28, s0, v[20:21]
	s_mov_b32 s0, 0xf534ddc0
	v_add_u32_e32 v8, 0xffffff88, v8
	v_mov_b32_e32 v20, v24
	v_mad_u64_u32 v[24:25], s[0:1], v28, s0, v[20:21]
	s_mov_b32 s0, 0xfc2757d1
	v_not_b32_e32 v27, 63
	v_mov_b32_e32 v20, v25
	v_mad_u64_u32 v[25:26], s[0:1], v28, s0, v[20:21]
	v_cmp_lt_u32_e32 vcc, 63, v8
	v_cndmask_b32_e32 v20, 0, v27, vcc
	v_add_u32_e32 v8, v20, v8
	v_mov_b32_e32 v20, v26
	s_mov_b32 s0, 0x4e441529
	v_mad_u64_u32 v[26:27], s[0:1], v28, s0, v[20:21]
	v_not_b32_e32 v29, 31
	v_cmp_lt_u32_e64 s[0:1], 31, v8
	v_cndmask_b32_e64 v20, 0, v29, s[0:1]
	v_add_u32_e32 v8, v20, v8
	v_mov_b32_e32 v20, v27
	s_mov_b32 s2, 0xa2f9836e
	v_mad_u64_u32 v[20:21], s[2:3], v28, s2, v[20:21]
	v_cmp_lt_u32_e64 s[2:3], 31, v8
	v_cndmask_b32_e64 v27, 0, v29, s[2:3]
	v_add_u32_e32 v8, v27, v8
	v_cndmask_b32_e32 v27, v26, v24, vcc
	v_cndmask_b32_e32 v20, v20, v25, vcc
	;; [unrolled: 1-line block ×3, first 2 shown]
	v_cndmask_b32_e64 v28, v20, v27, s[0:1]
	v_cndmask_b32_e64 v20, v21, v20, s[0:1]
	v_cndmask_b32_e32 v21, v25, v23, vcc
	v_cndmask_b32_e64 v25, v27, v21, s[0:1]
	v_cndmask_b32_e64 v20, v20, v28, s[2:3]
	;; [unrolled: 1-line block ×3, first 2 shown]
	v_sub_u32_e32 v27, 32, v8
	v_alignbit_b32 v28, v20, v26, v27
	v_cmp_eq_u32_e64 s[4:5], 0, v8
	v_cndmask_b32_e64 v8, v28, v20, s[4:5]
	v_cndmask_b32_e32 v20, v24, v22, vcc
	v_cndmask_b32_e64 v21, v21, v20, s[0:1]
	v_cndmask_b32_e64 v22, v25, v21, s[2:3]
	v_alignbit_b32 v24, v26, v22, v27
	v_cndmask_b32_e32 v7, v23, v7, vcc
	v_cndmask_b32_e64 v24, v24, v26, s[4:5]
	v_bfe_u32 v28, v8, 29, 1
	v_cndmask_b32_e64 v7, v20, v7, s[0:1]
	v_alignbit_b32 v25, v8, v24, 30
	v_sub_u32_e32 v29, 0, v28
	v_cndmask_b32_e64 v7, v21, v7, s[2:3]
	v_xor_b32_e32 v25, v25, v29
	v_alignbit_b32 v20, v22, v7, v27
	v_cndmask_b32_e64 v20, v20, v22, s[4:5]
	v_ffbh_u32_e32 v22, v25
	v_alignbit_b32 v21, v24, v20, 30
	v_min_u32_e32 v22, 32, v22
	v_alignbit_b32 v7, v20, v7, 30
	v_xor_b32_e32 v21, v21, v29
	v_sub_u32_e32 v23, 31, v22
	v_xor_b32_e32 v7, v7, v29
	v_alignbit_b32 v24, v25, v21, v23
	v_alignbit_b32 v7, v21, v7, v23
	;; [unrolled: 1-line block ×3, first 2 shown]
	v_ffbh_u32_e32 v21, v20
	v_min_u32_e32 v21, 32, v21
	v_lshrrev_b32_e32 v26, 29, v8
	v_not_b32_e32 v23, v21
	v_alignbit_b32 v7, v20, v7, v23
	v_lshlrev_b32_e32 v20, 31, v26
	v_or_b32_e32 v23, 0x33000000, v20
	v_add_lshl_u32 v21, v21, v22, 23
	v_lshrrev_b32_e32 v7, 9, v7
	v_sub_u32_e32 v21, v23, v21
	v_or_b32_e32 v20, 0.5, v20
	v_lshlrev_b32_e32 v22, 23, v22
	v_or_b32_e32 v7, v21, v7
	v_lshrrev_b32_e32 v21, 9, v24
	v_sub_u32_e32 v20, v20, v22
	v_or_b32_e32 v20, v21, v20
	s_mov_b32 s0, 0x3fc90fda
	v_mul_f32_e32 v21, 0x3fc90fda, v20
	v_fma_f32 v22, v20, s0, -v21
	v_fmac_f32_e32 v22, 0x33a22168, v20
	v_fmac_f32_e32 v22, 0x3fc90fda, v7
	v_lshrrev_b32_e32 v7, 30, v8
	v_add_f32_e32 v21, v21, v22
	v_add_u32_e32 v20, v28, v7
.LBB15_1685:
	s_andn2_saveexec_b64 s[0:1], s[10:11]
	s_cbranch_execz .LBB15_1687
; %bb.1686:
	s_mov_b32 s2, 0x3f22f983
	v_mul_f32_e64 v7, |v9|, s2
	v_rndne_f32_e32 v7, v7
	s_mov_b32 s2, 0xbfc90fda
	v_cvt_i32_f32_e32 v20, v7
	v_fma_f32 v21, v7, s2, |v9|
	v_fmac_f32_e32 v21, 0xb3a22168, v7
	v_fmac_f32_e32 v21, 0xa7c234c4, v7
.LBB15_1687:
	s_or_b64 exec, exec, s[0:1]
	v_mul_f32_e32 v7, v13, v13
	v_mov_b32_e32 v8, 0x3c0881c4
	v_fmac_f32_e32 v8, 0xb94c1982, v7
	v_mov_b32_e32 v22, 0xbe2aaa9d
	v_fmac_f32_e32 v22, v7, v8
	v_mul_f32_e32 v8, v7, v22
	v_fmac_f32_e32 v13, v13, v8
	v_mov_b32_e32 v8, 0xbab64f3b
	v_fmac_f32_e32 v8, 0x37d75334, v7
	v_mov_b32_e32 v22, 0x3d2aabf7
	;; [unrolled: 2-line block ×3, first 2 shown]
	v_fmac_f32_e32 v8, v7, v22
	v_fma_f32 v7, v7, v8, 1.0
	v_and_b32_e32 v8, 1, v12
	v_cmp_eq_u32_e32 vcc, 0, v8
	v_lshlrev_b32_e32 v8, 30, v12
	v_and_b32_e32 v8, 0x80000000, v8
	v_xor_b32_e32 v5, v5, v1
	v_cndmask_b32_e32 v7, v7, v13, vcc
	v_xor_b32_e32 v5, v5, v8
	s_movk_i32 s0, 0x1f8
	v_xor_b32_e32 v5, v5, v7
	v_mov_b32_e32 v7, 0x7fc00000
	v_cmp_class_f32_e64 vcc, v1, s0
	s_bfe_u32 s16, s18, 0x80008
	v_cndmask_b32_e32 v7, v7, v5, vcc
	v_mov_b32_e32 v1, s9
	v_add_co_u32_e32 v5, vcc, s8, v6
	s_cmp_lt_i32 s16, 11
	v_addc_co_u32_e32 v6, vcc, 0, v1, vcc
	s_cbranch_scc1 .LBB15_1765
; %bb.1688:
	s_and_b32 s17, 0xffff, s16
	s_mov_b64 s[10:11], -1
	s_mov_b64 s[2:3], 0
	s_cmp_gt_i32 s17, 25
	s_mov_b64 s[4:5], 0
	s_mov_b64 s[0:1], 0
	s_cbranch_scc0 .LBB15_1721
; %bb.1689:
	s_cmp_gt_i32 s17, 28
	s_cbranch_scc0 .LBB15_1704
; %bb.1690:
	s_cmp_gt_i32 s17, 43
	;; [unrolled: 3-line block ×3, first 2 shown]
	s_cbranch_scc0 .LBB15_1694
; %bb.1692:
	s_mov_b64 s[0:1], -1
	s_mov_b64 s[10:11], 0
	s_cmp_eq_u32 s17, 46
	s_cbranch_scc0 .LBB15_1694
; %bb.1693:
	v_bfe_u32 v1, v7, 16, 1
	s_movk_i32 s0, 0x7fff
	v_add3_u32 v1, v7, v1, s0
	v_cmp_o_f32_e32 vcc, v7, v7
	v_mov_b32_e32 v8, 0x7fc0
	v_cndmask_b32_sdwa v1, v8, v1, vcc dst_sel:DWORD dst_unused:UNUSED_PAD src0_sel:DWORD src1_sel:WORD_1
	global_store_dword v[5:6], v1, off
	s_mov_b64 s[0:1], 0
	s_mov_b64 s[4:5], -1
.LBB15_1694:
	s_and_b64 vcc, exec, s[10:11]
	s_cbranch_vccz .LBB15_1699
; %bb.1695:
	s_cmp_eq_u32 s17, 44
	s_mov_b64 s[0:1], -1
	s_cbranch_scc0 .LBB15_1699
; %bb.1696:
	v_bfe_u32 v1, v7, 23, 8
	s_movk_i32 s0, 0xff
	v_cmp_ne_u32_e32 vcc, s0, v1
	v_mov_b32_e32 v8, 0xff
	s_and_saveexec_b64 s[4:5], vcc
; %bb.1697:
	s_mov_b32 s0, 0x3fffff
	v_and_b32_e32 v12, 0x400000, v7
	v_and_or_b32 v1, v7, s0, v1
	v_cmp_ne_u32_e32 vcc, 0, v12
	v_cmp_ne_u32_e64 s[0:1], 0, v1
	s_and_b64 s[0:1], vcc, s[0:1]
	v_lshrrev_b32_e32 v8, 23, v7
	v_cndmask_b32_e64 v1, 0, 1, s[0:1]
	v_add_u32_e32 v8, v8, v1
; %bb.1698:
	s_or_b64 exec, exec, s[4:5]
	s_mov_b64 s[0:1], 0
	s_mov_b64 s[4:5], -1
	global_store_byte v[5:6], v8, off
.LBB15_1699:
	s_mov_b64 s[10:11], 0
.LBB15_1700:
	s_and_b64 vcc, exec, s[10:11]
	s_cbranch_vccz .LBB15_1703
; %bb.1701:
	s_cmp_eq_u32 s17, 29
	s_mov_b64 s[0:1], -1
	s_cbranch_scc0 .LBB15_1703
; %bb.1702:
	v_trunc_f32_e32 v1, v7
	v_mul_f32_e32 v8, 0x2f800000, v1
	v_floor_f32_e32 v8, v8
	v_fmac_f32_e32 v1, 0xcf800000, v8
	v_cvt_u32_f32_e32 v13, v8
	v_cvt_u32_f32_e32 v12, v1
	s_mov_b64 s[0:1], 0
	s_mov_b64 s[4:5], -1
	global_store_dwordx2 v[5:6], v[12:13], off
.LBB15_1703:
	s_mov_b64 s[10:11], 0
.LBB15_1704:
	s_and_b64 vcc, exec, s[10:11]
	s_cbranch_vccz .LBB15_1720
; %bb.1705:
	s_cmp_lt_i32 s17, 27
	s_mov_b64 s[4:5], -1
	s_cbranch_scc1 .LBB15_1711
; %bb.1706:
	v_cvt_u32_f32_e32 v1, v7
	s_cmp_gt_i32 s17, 27
	s_cbranch_scc0 .LBB15_1708
; %bb.1707:
	s_mov_b64 s[4:5], 0
	global_store_dword v[5:6], v1, off
.LBB15_1708:
	s_andn2_b64 vcc, exec, s[4:5]
	s_cbranch_vccnz .LBB15_1710
; %bb.1709:
	global_store_short v[5:6], v1, off
.LBB15_1710:
	s_mov_b64 s[4:5], 0
.LBB15_1711:
	s_andn2_b64 vcc, exec, s[4:5]
	s_cbranch_vccnz .LBB15_1719
; %bb.1712:
	v_and_b32_e32 v1, 0x7fffffff, v7
	s_mov_b32 s4, 0x43800000
	v_cmp_gt_u32_e32 vcc, s4, v1
	v_mov_b32_e32 v8, 0x80
	s_and_saveexec_b64 s[4:5], vcc
	s_cbranch_execz .LBB15_1718
; %bb.1713:
	s_mov_b32 s10, 0x3bffffff
	v_cmp_lt_u32_e32 vcc, s10, v1
	s_mov_b64 s[10:11], 0
                                        ; implicit-def: $vgpr1
	s_and_saveexec_b64 s[14:15], vcc
	s_xor_b64 s[14:15], exec, s[14:15]
	s_cbranch_execz .LBB15_2167
; %bb.1714:
	v_bfe_u32 v1, v7, 20, 1
	s_mov_b32 s19, 0x487ffff
	v_add3_u32 v1, v7, v1, s19
	s_mov_b64 s[10:11], exec
	v_lshrrev_b32_e32 v1, 20, v1
	s_andn2_saveexec_b64 s[14:15], s[14:15]
	s_cbranch_execnz .LBB15_2168
.LBB15_1715:
	s_or_b64 exec, exec, s[14:15]
	v_mov_b32_e32 v8, 0
	s_and_saveexec_b64 s[14:15], s[10:11]
.LBB15_1716:
	v_lshrrev_b32_e32 v8, 24, v7
	s_movk_i32 s10, 0x80
	v_and_or_b32 v8, v8, s10, v1
.LBB15_1717:
	s_or_b64 exec, exec, s[14:15]
.LBB15_1718:
	s_or_b64 exec, exec, s[4:5]
	global_store_byte v[5:6], v8, off
.LBB15_1719:
	s_mov_b64 s[4:5], -1
.LBB15_1720:
	s_mov_b64 s[10:11], 0
.LBB15_1721:
	s_and_b64 vcc, exec, s[10:11]
	s_cbranch_vccz .LBB15_1761
; %bb.1722:
	s_cmp_gt_i32 s17, 22
	s_mov_b64 s[2:3], -1
	s_cbranch_scc0 .LBB15_1754
; %bb.1723:
	s_cmp_lt_i32 s17, 24
	s_cbranch_scc1 .LBB15_1743
; %bb.1724:
	s_cmp_gt_i32 s17, 24
	s_cbranch_scc0 .LBB15_1732
; %bb.1725:
	v_and_b32_e32 v1, 0x7fffffff, v7
	s_mov_b32 s2, 0x47800000
	v_cmp_gt_u32_e32 vcc, s2, v1
	v_mov_b32_e32 v8, 0x80
	s_and_saveexec_b64 s[2:3], vcc
	s_cbranch_execz .LBB15_1731
; %bb.1726:
	s_mov_b32 s4, 0x37ffffff
	v_cmp_lt_u32_e32 vcc, s4, v1
	s_mov_b64 s[4:5], 0
                                        ; implicit-def: $vgpr1
	s_and_saveexec_b64 s[10:11], vcc
	s_xor_b64 s[10:11], exec, s[10:11]
	s_cbranch_execz .LBB15_2170
; %bb.1727:
	v_bfe_u32 v1, v7, 21, 1
	s_mov_b32 s14, 0x88fffff
	v_add3_u32 v1, v7, v1, s14
	s_mov_b64 s[4:5], exec
	v_lshrrev_b32_e32 v1, 21, v1
	s_andn2_saveexec_b64 s[10:11], s[10:11]
	s_cbranch_execnz .LBB15_2171
.LBB15_1728:
	s_or_b64 exec, exec, s[10:11]
	v_mov_b32_e32 v8, 0
	s_and_saveexec_b64 s[10:11], s[4:5]
.LBB15_1729:
	v_lshrrev_b32_e32 v8, 24, v7
	s_movk_i32 s4, 0x80
	v_and_or_b32 v8, v8, s4, v1
.LBB15_1730:
	s_or_b64 exec, exec, s[10:11]
.LBB15_1731:
	s_or_b64 exec, exec, s[2:3]
	s_mov_b64 s[2:3], 0
	global_store_byte v[5:6], v8, off
.LBB15_1732:
	s_and_b64 vcc, exec, s[2:3]
	s_cbranch_vccz .LBB15_1742
; %bb.1733:
	v_and_b32_e32 v8, 0x7fffffff, v7
	s_mov_b32 s2, 0x43f00000
	v_cmp_gt_u32_e32 vcc, s2, v8
                                        ; implicit-def: $vgpr1
	s_and_saveexec_b64 s[2:3], vcc
	s_xor_b64 s[2:3], exec, s[2:3]
	s_cbranch_execz .LBB15_1739
; %bb.1734:
	s_mov_b32 s4, 0x3c7fffff
	v_cmp_lt_u32_e32 vcc, s4, v8
                                        ; implicit-def: $vgpr1
	s_and_saveexec_b64 s[4:5], vcc
	s_xor_b64 s[4:5], exec, s[4:5]
; %bb.1735:
	v_bfe_u32 v1, v7, 20, 1
	s_mov_b32 s10, 0x407ffff
	v_add3_u32 v1, v7, v1, s10
	v_lshrrev_b32_e32 v8, 20, v1
	v_and_b32_e32 v1, 0xff00000, v1
	s_mov_b32 s10, 0x7f00000
	v_mov_b32_e32 v12, 0x7e
	v_cmp_ne_u32_e32 vcc, s10, v1
	v_cndmask_b32_e32 v1, v12, v8, vcc
; %bb.1736:
	s_andn2_saveexec_b64 s[4:5], s[4:5]
; %bb.1737:
	s_mov_b32 s10, 0x46800000
	v_add_f32_e64 v1, |v7|, s10
; %bb.1738:
	s_or_b64 exec, exec, s[4:5]
                                        ; implicit-def: $vgpr8
.LBB15_1739:
	s_andn2_saveexec_b64 s[2:3], s[2:3]
; %bb.1740:
	s_mov_b32 s4, 0x7f800000
	v_mov_b32_e32 v1, 0x7e
	v_mov_b32_e32 v12, 0x7f
	v_cmp_lt_u32_e32 vcc, s4, v8
	v_cndmask_b32_e32 v1, v1, v12, vcc
; %bb.1741:
	s_or_b64 exec, exec, s[2:3]
	v_lshrrev_b32_e32 v8, 24, v7
	s_movk_i32 s2, 0x80
	v_and_or_b32 v1, v8, s2, v1
	global_store_byte v[5:6], v1, off
.LBB15_1742:
	s_mov_b64 s[2:3], 0
.LBB15_1743:
	s_andn2_b64 vcc, exec, s[2:3]
	s_cbranch_vccnz .LBB15_1753
; %bb.1744:
	v_and_b32_e32 v8, 0x7fffffff, v7
	s_mov_b32 s2, 0x47800000
	v_cmp_gt_u32_e32 vcc, s2, v8
                                        ; implicit-def: $vgpr1
	s_and_saveexec_b64 s[2:3], vcc
	s_xor_b64 s[2:3], exec, s[2:3]
	s_cbranch_execz .LBB15_1750
; %bb.1745:
	s_mov_b32 s4, 0x387fffff
	v_cmp_lt_u32_e32 vcc, s4, v8
                                        ; implicit-def: $vgpr1
	s_and_saveexec_b64 s[4:5], vcc
	s_xor_b64 s[4:5], exec, s[4:5]
; %bb.1746:
	v_bfe_u32 v1, v7, 21, 1
	s_mov_b32 s10, 0x80fffff
	v_add3_u32 v1, v7, v1, s10
	v_lshrrev_b32_e32 v1, 21, v1
; %bb.1747:
	s_andn2_saveexec_b64 s[4:5], s[4:5]
; %bb.1748:
	s_mov_b32 s10, 0x43000000
	v_add_f32_e64 v1, |v7|, s10
; %bb.1749:
	s_or_b64 exec, exec, s[4:5]
                                        ; implicit-def: $vgpr8
.LBB15_1750:
	s_andn2_saveexec_b64 s[2:3], s[2:3]
; %bb.1751:
	s_mov_b32 s4, 0x7f800000
	v_mov_b32_e32 v1, 0x7c
	v_mov_b32_e32 v12, 0x7f
	v_cmp_lt_u32_e32 vcc, s4, v8
	v_cndmask_b32_e32 v1, v1, v12, vcc
; %bb.1752:
	s_or_b64 exec, exec, s[2:3]
	v_lshrrev_b32_e32 v8, 24, v7
	s_movk_i32 s2, 0x80
	v_and_or_b32 v1, v8, s2, v1
	global_store_byte v[5:6], v1, off
.LBB15_1753:
	s_mov_b64 s[2:3], 0
	s_mov_b64 s[4:5], -1
.LBB15_1754:
	s_andn2_b64 vcc, exec, s[2:3]
	s_mov_b64 s[2:3], 0
	s_cbranch_vccnz .LBB15_1761
; %bb.1755:
	s_cmp_gt_i32 s17, 14
	s_mov_b64 s[10:11], -1
	s_cbranch_scc0 .LBB15_1759
; %bb.1756:
	s_cmp_eq_u32 s17, 15
	s_mov_b64 s[0:1], -1
	s_cbranch_scc0 .LBB15_1758
; %bb.1757:
	v_bfe_u32 v1, v7, 16, 1
	s_movk_i32 s0, 0x7fff
	v_add3_u32 v1, v7, v1, s0
	v_cmp_o_f32_e32 vcc, v7, v7
	v_mov_b32_e32 v8, 0x7fc0
	v_cndmask_b32_sdwa v1, v8, v1, vcc dst_sel:DWORD dst_unused:UNUSED_PAD src0_sel:DWORD src1_sel:WORD_1
	global_store_short v[5:6], v1, off
	s_mov_b64 s[0:1], 0
	s_mov_b64 s[4:5], -1
.LBB15_1758:
	s_mov_b64 s[10:11], 0
.LBB15_1759:
	s_and_b64 vcc, exec, s[10:11]
	s_cbranch_vccz .LBB15_1761
; %bb.1760:
	s_cmp_lg_u32 s17, 11
	s_mov_b64 s[2:3], -1
	s_cselect_b64 s[0:1], -1, 0
.LBB15_1761:
	s_and_b64 vcc, exec, s[0:1]
	s_cbranch_vccnz .LBB15_2169
; %bb.1762:
	s_andn2_b64 vcc, exec, s[2:3]
	s_cbranch_vccnz .LBB15_1764
.LBB15_1763:
	v_cmp_neq_f32_e32 vcc, 0, v7
	v_cndmask_b32_e64 v1, 0, 1, vcc
	s_mov_b64 s[4:5], -1
	global_store_byte v[5:6], v1, off
.LBB15_1764:
	s_mov_b64 s[0:1], 0
	s_branch .LBB15_1766
.LBB15_1765:
	s_mov_b64 s[0:1], -1
	s_mov_b64 s[4:5], 0
.LBB15_1766:
	s_and_b64 vcc, exec, s[0:1]
	s_cbranch_vccz .LBB15_1805
; %bb.1767:
	s_and_b32 s2, 0xffff, s16
	s_cmp_lt_i32 s2, 5
	s_mov_b64 s[0:1], -1
	s_cbranch_scc1 .LBB15_1788
; %bb.1768:
	s_cmp_lt_i32 s2, 8
	s_cbranch_scc1 .LBB15_1778
; %bb.1769:
	s_cmp_lt_i32 s2, 9
	s_cbranch_scc1 .LBB15_1775
; %bb.1770:
	s_cmp_gt_i32 s2, 9
	s_cbranch_scc0 .LBB15_1772
; %bb.1771:
	v_cvt_f64_f32_e32 v[22:23], v7
	v_mov_b32_e32 v24, 0
	v_mov_b32_e32 v25, v24
	s_mov_b64 s[0:1], 0
	global_store_dwordx4 v[5:6], v[22:25], off
.LBB15_1772:
	s_andn2_b64 vcc, exec, s[0:1]
	s_cbranch_vccnz .LBB15_1774
; %bb.1773:
	v_mov_b32_e32 v8, 0
	global_store_dwordx2 v[5:6], v[7:8], off
.LBB15_1774:
	s_mov_b64 s[0:1], 0
.LBB15_1775:
	s_andn2_b64 vcc, exec, s[0:1]
	s_cbranch_vccnz .LBB15_1777
; %bb.1776:
	v_cvt_f16_f32_e32 v1, v7
	global_store_dword v[5:6], v1, off
.LBB15_1777:
	s_mov_b64 s[0:1], 0
.LBB15_1778:
	s_andn2_b64 vcc, exec, s[0:1]
	s_cbranch_vccnz .LBB15_1787
; %bb.1779:
	s_cmp_lt_i32 s2, 6
	s_mov_b64 s[0:1], -1
	s_cbranch_scc1 .LBB15_1785
; %bb.1780:
	s_cmp_gt_i32 s2, 6
	s_cbranch_scc0 .LBB15_1782
; %bb.1781:
	v_cvt_f64_f32_e32 v[12:13], v7
	s_mov_b64 s[0:1], 0
	global_store_dwordx2 v[5:6], v[12:13], off
.LBB15_1782:
	s_andn2_b64 vcc, exec, s[0:1]
	s_cbranch_vccnz .LBB15_1784
; %bb.1783:
	global_store_dword v[5:6], v7, off
.LBB15_1784:
	s_mov_b64 s[0:1], 0
.LBB15_1785:
	s_andn2_b64 vcc, exec, s[0:1]
	s_cbranch_vccnz .LBB15_1787
; %bb.1786:
	v_cvt_f16_f32_e32 v1, v7
	global_store_short v[5:6], v1, off
.LBB15_1787:
	s_mov_b64 s[0:1], 0
.LBB15_1788:
	s_andn2_b64 vcc, exec, s[0:1]
	s_cbranch_vccnz .LBB15_1804
; %bb.1789:
	s_cmp_lt_i32 s2, 2
	s_mov_b64 s[0:1], -1
	s_cbranch_scc1 .LBB15_1799
; %bb.1790:
	s_cmp_lt_i32 s2, 3
	s_cbranch_scc1 .LBB15_1796
; %bb.1791:
	s_cmp_gt_i32 s2, 3
	s_cbranch_scc0 .LBB15_1793
; %bb.1792:
	v_trunc_f32_e32 v1, v7
	s_mov_b32 s0, 0x2f800000
	v_mul_f32_e64 v8, |v1|, s0
	v_floor_f32_e32 v8, v8
	s_mov_b32 s0, 0xcf800000
	v_cvt_u32_f32_e32 v12, v8
	v_fma_f32 v8, v8, s0, |v1|
	v_cvt_u32_f32_e32 v8, v8
	v_ashrrev_i32_e32 v1, 31, v1
	v_xor_b32_e32 v13, v12, v1
	s_mov_b64 s[0:1], 0
	v_xor_b32_e32 v8, v8, v1
	v_sub_co_u32_e32 v12, vcc, v8, v1
	v_subb_co_u32_e32 v13, vcc, v13, v1, vcc
	global_store_dwordx2 v[5:6], v[12:13], off
.LBB15_1793:
	s_andn2_b64 vcc, exec, s[0:1]
	s_cbranch_vccnz .LBB15_1795
; %bb.1794:
	v_cvt_i32_f32_e32 v1, v7
	global_store_dword v[5:6], v1, off
.LBB15_1795:
	s_mov_b64 s[0:1], 0
.LBB15_1796:
	s_andn2_b64 vcc, exec, s[0:1]
	s_cbranch_vccnz .LBB15_1798
; %bb.1797:
	v_cvt_i32_f32_e32 v1, v7
	global_store_short v[5:6], v1, off
.LBB15_1798:
	s_mov_b64 s[0:1], 0
.LBB15_1799:
	s_andn2_b64 vcc, exec, s[0:1]
	s_cbranch_vccnz .LBB15_1804
; %bb.1800:
	s_cmp_gt_i32 s2, 0
	s_mov_b64 s[0:1], -1
	s_cbranch_scc0 .LBB15_1802
; %bb.1801:
	v_cvt_i32_f32_e32 v1, v7
	s_mov_b64 s[0:1], 0
	global_store_byte v[5:6], v1, off
.LBB15_1802:
	s_andn2_b64 vcc, exec, s[0:1]
	s_cbranch_vccnz .LBB15_1804
; %bb.1803:
	v_trunc_f32_e32 v1, v7
	s_mov_b32 s0, 0x2f800000
	v_mul_f32_e64 v7, |v1|, s0
	v_floor_f32_e32 v7, v7
	s_mov_b32 s0, 0xcf800000
	v_fma_f32 v7, v7, s0, |v1|
	v_cvt_u32_f32_e32 v7, v7
	v_ashrrev_i32_e32 v1, 31, v1
	v_xor_b32_e32 v7, v7, v1
	v_sub_u32_e32 v1, v7, v1
	global_store_byte v[5:6], v1, off
.LBB15_1804:
	s_mov_b64 s[4:5], -1
.LBB15_1805:
	s_andn2_b64 vcc, exec, s[4:5]
	s_cbranch_vccnz .LBB15_2120
; %bb.1806:
	v_mul_f32_e32 v1, v15, v15
	v_mov_b32_e32 v5, 0x3c0881c4
	v_fmac_f32_e32 v5, 0xb94c1982, v1
	v_mov_b32_e32 v6, 0xbe2aaa9d
	v_fmac_f32_e32 v6, v1, v5
	v_mul_f32_e32 v5, v1, v6
	v_fmac_f32_e32 v15, v15, v5
	v_mov_b32_e32 v5, 0xbab64f3b
	v_fmac_f32_e32 v5, 0x37d75334, v1
	v_mov_b32_e32 v6, 0x3d2aabf7
	;; [unrolled: 2-line block ×3, first 2 shown]
	v_fmac_f32_e32 v5, v1, v6
	v_fma_f32 v1, v1, v5, 1.0
	v_and_b32_e32 v5, 1, v14
	v_cmp_eq_u32_e32 vcc, 0, v5
	v_lshlrev_b32_e32 v5, 30, v14
	s_lshr_b32 s0, s18, 8
	v_and_b32_e32 v5, 0x80000000, v5
	v_xor_b32_e32 v6, v11, v3
	s_and_b32 s16, s0, 0xff
	v_cndmask_b32_e32 v1, v1, v15, vcc
	v_xor_b32_e32 v5, v6, v5
	s_movk_i32 s0, 0x1f8
	v_xor_b32_e32 v1, v5, v1
	v_mov_b32_e32 v5, 0x7fc00000
	v_cmp_class_f32_e64 vcc, v3, s0
	v_cndmask_b32_e32 v5, v5, v1, vcc
	v_mov_b32_e32 v1, s9
	v_add_co_u32_e32 v3, vcc, s8, v4
	s_cmp_lt_i32 s16, 11
	v_addc_co_u32_e32 v4, vcc, 0, v1, vcc
	s_cbranch_scc1 .LBB15_1884
; %bb.1807:
	s_and_b32 s17, 0xffff, s16
	s_mov_b64 s[10:11], -1
	s_mov_b64 s[2:3], 0
	s_cmp_gt_i32 s17, 25
	s_mov_b64 s[4:5], 0
	s_mov_b64 s[0:1], 0
	s_cbranch_scc0 .LBB15_1840
; %bb.1808:
	s_cmp_gt_i32 s17, 28
	s_cbranch_scc0 .LBB15_1823
; %bb.1809:
	s_cmp_gt_i32 s17, 43
	;; [unrolled: 3-line block ×3, first 2 shown]
	s_cbranch_scc0 .LBB15_1813
; %bb.1811:
	s_mov_b64 s[0:1], -1
	s_mov_b64 s[10:11], 0
	s_cmp_eq_u32 s17, 46
	s_cbranch_scc0 .LBB15_1813
; %bb.1812:
	v_bfe_u32 v1, v5, 16, 1
	s_movk_i32 s0, 0x7fff
	v_add3_u32 v1, v5, v1, s0
	v_cmp_o_f32_e32 vcc, v5, v5
	v_mov_b32_e32 v6, 0x7fc0
	v_cndmask_b32_sdwa v1, v6, v1, vcc dst_sel:DWORD dst_unused:UNUSED_PAD src0_sel:DWORD src1_sel:WORD_1
	global_store_dword v[3:4], v1, off
	s_mov_b64 s[0:1], 0
	s_mov_b64 s[4:5], -1
.LBB15_1813:
	s_and_b64 vcc, exec, s[10:11]
	s_cbranch_vccz .LBB15_1818
; %bb.1814:
	s_cmp_eq_u32 s17, 44
	s_mov_b64 s[0:1], -1
	s_cbranch_scc0 .LBB15_1818
; %bb.1815:
	v_bfe_u32 v1, v5, 23, 8
	s_movk_i32 s0, 0xff
	v_cmp_ne_u32_e32 vcc, s0, v1
	v_mov_b32_e32 v6, 0xff
	s_and_saveexec_b64 s[4:5], vcc
; %bb.1816:
	s_mov_b32 s0, 0x3fffff
	v_and_b32_e32 v7, 0x400000, v5
	v_and_or_b32 v1, v5, s0, v1
	v_cmp_ne_u32_e32 vcc, 0, v7
	v_cmp_ne_u32_e64 s[0:1], 0, v1
	s_and_b64 s[0:1], vcc, s[0:1]
	v_lshrrev_b32_e32 v6, 23, v5
	v_cndmask_b32_e64 v1, 0, 1, s[0:1]
	v_add_u32_e32 v6, v6, v1
; %bb.1817:
	s_or_b64 exec, exec, s[4:5]
	s_mov_b64 s[0:1], 0
	s_mov_b64 s[4:5], -1
	global_store_byte v[3:4], v6, off
.LBB15_1818:
	s_mov_b64 s[10:11], 0
.LBB15_1819:
	s_and_b64 vcc, exec, s[10:11]
	s_cbranch_vccz .LBB15_1822
; %bb.1820:
	s_cmp_eq_u32 s17, 29
	s_mov_b64 s[0:1], -1
	s_cbranch_scc0 .LBB15_1822
; %bb.1821:
	v_trunc_f32_e32 v1, v5
	v_mul_f32_e32 v6, 0x2f800000, v1
	v_floor_f32_e32 v6, v6
	v_fmac_f32_e32 v1, 0xcf800000, v6
	v_cvt_u32_f32_e32 v7, v6
	v_cvt_u32_f32_e32 v6, v1
	s_mov_b64 s[0:1], 0
	s_mov_b64 s[4:5], -1
	global_store_dwordx2 v[3:4], v[6:7], off
.LBB15_1822:
	s_mov_b64 s[10:11], 0
.LBB15_1823:
	s_and_b64 vcc, exec, s[10:11]
	s_cbranch_vccz .LBB15_1839
; %bb.1824:
	s_cmp_lt_i32 s17, 27
	s_mov_b64 s[4:5], -1
	s_cbranch_scc1 .LBB15_1830
; %bb.1825:
	s_cmp_gt_i32 s17, 27
	s_cbranch_scc0 .LBB15_1827
; %bb.1826:
	v_cvt_u32_f32_e32 v1, v5
	s_mov_b64 s[4:5], 0
	global_store_dword v[3:4], v1, off
.LBB15_1827:
	s_andn2_b64 vcc, exec, s[4:5]
	s_cbranch_vccnz .LBB15_1829
; %bb.1828:
	v_cvt_u32_f32_e32 v1, v5
	global_store_short v[3:4], v1, off
.LBB15_1829:
	s_mov_b64 s[4:5], 0
.LBB15_1830:
	s_andn2_b64 vcc, exec, s[4:5]
	s_cbranch_vccnz .LBB15_1838
; %bb.1831:
	v_and_b32_e32 v1, 0x7fffffff, v5
	s_mov_b32 s4, 0x43800000
	v_cmp_gt_u32_e32 vcc, s4, v1
	v_mov_b32_e32 v6, 0x80
	s_and_saveexec_b64 s[4:5], vcc
	s_cbranch_execz .LBB15_1837
; %bb.1832:
	s_mov_b32 s10, 0x3bffffff
	v_cmp_lt_u32_e32 vcc, s10, v1
	s_mov_b64 s[10:11], 0
                                        ; implicit-def: $vgpr1
	s_and_saveexec_b64 s[14:15], vcc
	s_xor_b64 s[14:15], exec, s[14:15]
	s_cbranch_execz .LBB15_2172
; %bb.1833:
	v_bfe_u32 v1, v5, 20, 1
	s_mov_b32 s18, 0x487ffff
	v_add3_u32 v1, v5, v1, s18
	s_mov_b64 s[10:11], exec
	v_lshrrev_b32_e32 v1, 20, v1
	s_andn2_saveexec_b64 s[14:15], s[14:15]
	s_cbranch_execnz .LBB15_2173
.LBB15_1834:
	s_or_b64 exec, exec, s[14:15]
	v_mov_b32_e32 v6, 0
	s_and_saveexec_b64 s[14:15], s[10:11]
.LBB15_1835:
	v_lshrrev_b32_e32 v6, 24, v5
	s_movk_i32 s10, 0x80
	v_and_or_b32 v6, v6, s10, v1
.LBB15_1836:
	s_or_b64 exec, exec, s[14:15]
.LBB15_1837:
	s_or_b64 exec, exec, s[4:5]
	global_store_byte v[3:4], v6, off
.LBB15_1838:
	s_mov_b64 s[4:5], -1
.LBB15_1839:
	s_mov_b64 s[10:11], 0
.LBB15_1840:
	s_and_b64 vcc, exec, s[10:11]
	s_cbranch_vccz .LBB15_1880
; %bb.1841:
	s_cmp_gt_i32 s17, 22
	s_mov_b64 s[2:3], -1
	s_cbranch_scc0 .LBB15_1873
; %bb.1842:
	s_cmp_lt_i32 s17, 24
	s_cbranch_scc1 .LBB15_1862
; %bb.1843:
	s_cmp_gt_i32 s17, 24
	s_cbranch_scc0 .LBB15_1851
; %bb.1844:
	v_and_b32_e32 v1, 0x7fffffff, v5
	s_mov_b32 s2, 0x47800000
	v_cmp_gt_u32_e32 vcc, s2, v1
	v_mov_b32_e32 v6, 0x80
	s_and_saveexec_b64 s[2:3], vcc
	s_cbranch_execz .LBB15_1850
; %bb.1845:
	s_mov_b32 s4, 0x37ffffff
	v_cmp_lt_u32_e32 vcc, s4, v1
	s_mov_b64 s[4:5], 0
                                        ; implicit-def: $vgpr1
	s_and_saveexec_b64 s[10:11], vcc
	s_xor_b64 s[10:11], exec, s[10:11]
	s_cbranch_execz .LBB15_2175
; %bb.1846:
	v_bfe_u32 v1, v5, 21, 1
	s_mov_b32 s14, 0x88fffff
	v_add3_u32 v1, v5, v1, s14
	s_mov_b64 s[4:5], exec
	v_lshrrev_b32_e32 v1, 21, v1
	s_andn2_saveexec_b64 s[10:11], s[10:11]
	s_cbranch_execnz .LBB15_2176
.LBB15_1847:
	s_or_b64 exec, exec, s[10:11]
	v_mov_b32_e32 v6, 0
	s_and_saveexec_b64 s[10:11], s[4:5]
.LBB15_1848:
	v_lshrrev_b32_e32 v6, 24, v5
	s_movk_i32 s4, 0x80
	v_and_or_b32 v6, v6, s4, v1
.LBB15_1849:
	s_or_b64 exec, exec, s[10:11]
.LBB15_1850:
	s_or_b64 exec, exec, s[2:3]
	s_mov_b64 s[2:3], 0
	global_store_byte v[3:4], v6, off
.LBB15_1851:
	s_and_b64 vcc, exec, s[2:3]
	s_cbranch_vccz .LBB15_1861
; %bb.1852:
	v_and_b32_e32 v6, 0x7fffffff, v5
	s_mov_b32 s2, 0x43f00000
	v_cmp_gt_u32_e32 vcc, s2, v6
                                        ; implicit-def: $vgpr1
	s_and_saveexec_b64 s[2:3], vcc
	s_xor_b64 s[2:3], exec, s[2:3]
	s_cbranch_execz .LBB15_1858
; %bb.1853:
	s_mov_b32 s4, 0x3c7fffff
	v_cmp_lt_u32_e32 vcc, s4, v6
                                        ; implicit-def: $vgpr1
	s_and_saveexec_b64 s[4:5], vcc
	s_xor_b64 s[4:5], exec, s[4:5]
; %bb.1854:
	v_bfe_u32 v1, v5, 20, 1
	s_mov_b32 s10, 0x407ffff
	v_add3_u32 v1, v5, v1, s10
	v_lshrrev_b32_e32 v6, 20, v1
	v_and_b32_e32 v1, 0xff00000, v1
	s_mov_b32 s10, 0x7f00000
	v_mov_b32_e32 v7, 0x7e
	v_cmp_ne_u32_e32 vcc, s10, v1
	v_cndmask_b32_e32 v1, v7, v6, vcc
; %bb.1855:
	s_andn2_saveexec_b64 s[4:5], s[4:5]
; %bb.1856:
	s_mov_b32 s10, 0x46800000
	v_add_f32_e64 v1, |v5|, s10
; %bb.1857:
	s_or_b64 exec, exec, s[4:5]
                                        ; implicit-def: $vgpr6
.LBB15_1858:
	s_andn2_saveexec_b64 s[2:3], s[2:3]
; %bb.1859:
	s_mov_b32 s4, 0x7f800000
	v_mov_b32_e32 v1, 0x7e
	v_mov_b32_e32 v7, 0x7f
	v_cmp_lt_u32_e32 vcc, s4, v6
	v_cndmask_b32_e32 v1, v1, v7, vcc
; %bb.1860:
	s_or_b64 exec, exec, s[2:3]
	v_lshrrev_b32_e32 v6, 24, v5
	s_movk_i32 s2, 0x80
	v_and_or_b32 v1, v6, s2, v1
	global_store_byte v[3:4], v1, off
.LBB15_1861:
	s_mov_b64 s[2:3], 0
.LBB15_1862:
	s_andn2_b64 vcc, exec, s[2:3]
	s_cbranch_vccnz .LBB15_1872
; %bb.1863:
	v_and_b32_e32 v6, 0x7fffffff, v5
	s_mov_b32 s2, 0x47800000
	v_cmp_gt_u32_e32 vcc, s2, v6
                                        ; implicit-def: $vgpr1
	s_and_saveexec_b64 s[2:3], vcc
	s_xor_b64 s[2:3], exec, s[2:3]
	s_cbranch_execz .LBB15_1869
; %bb.1864:
	s_mov_b32 s4, 0x387fffff
	v_cmp_lt_u32_e32 vcc, s4, v6
                                        ; implicit-def: $vgpr1
	s_and_saveexec_b64 s[4:5], vcc
	s_xor_b64 s[4:5], exec, s[4:5]
; %bb.1865:
	v_bfe_u32 v1, v5, 21, 1
	s_mov_b32 s10, 0x80fffff
	v_add3_u32 v1, v5, v1, s10
	v_lshrrev_b32_e32 v1, 21, v1
; %bb.1866:
	s_andn2_saveexec_b64 s[4:5], s[4:5]
; %bb.1867:
	s_mov_b32 s10, 0x43000000
	v_add_f32_e64 v1, |v5|, s10
; %bb.1868:
	s_or_b64 exec, exec, s[4:5]
                                        ; implicit-def: $vgpr6
.LBB15_1869:
	s_andn2_saveexec_b64 s[2:3], s[2:3]
; %bb.1870:
	s_mov_b32 s4, 0x7f800000
	v_mov_b32_e32 v1, 0x7c
	v_mov_b32_e32 v7, 0x7f
	v_cmp_lt_u32_e32 vcc, s4, v6
	v_cndmask_b32_e32 v1, v1, v7, vcc
; %bb.1871:
	s_or_b64 exec, exec, s[2:3]
	v_lshrrev_b32_e32 v6, 24, v5
	s_movk_i32 s2, 0x80
	v_and_or_b32 v1, v6, s2, v1
	global_store_byte v[3:4], v1, off
.LBB15_1872:
	s_mov_b64 s[2:3], 0
	s_mov_b64 s[4:5], -1
.LBB15_1873:
	s_andn2_b64 vcc, exec, s[2:3]
	s_mov_b64 s[2:3], 0
	s_cbranch_vccnz .LBB15_1880
; %bb.1874:
	s_cmp_gt_i32 s17, 14
	s_mov_b64 s[10:11], -1
	s_cbranch_scc0 .LBB15_1878
; %bb.1875:
	s_cmp_eq_u32 s17, 15
	s_mov_b64 s[0:1], -1
	s_cbranch_scc0 .LBB15_1877
; %bb.1876:
	v_bfe_u32 v1, v5, 16, 1
	s_movk_i32 s0, 0x7fff
	v_add3_u32 v1, v5, v1, s0
	v_cmp_o_f32_e32 vcc, v5, v5
	v_mov_b32_e32 v6, 0x7fc0
	v_cndmask_b32_sdwa v1, v6, v1, vcc dst_sel:DWORD dst_unused:UNUSED_PAD src0_sel:DWORD src1_sel:WORD_1
	global_store_short v[3:4], v1, off
	s_mov_b64 s[0:1], 0
	s_mov_b64 s[4:5], -1
.LBB15_1877:
	s_mov_b64 s[10:11], 0
.LBB15_1878:
	s_and_b64 vcc, exec, s[10:11]
	s_cbranch_vccz .LBB15_1880
; %bb.1879:
	s_cmp_lg_u32 s17, 11
	s_mov_b64 s[2:3], -1
	s_cselect_b64 s[0:1], -1, 0
.LBB15_1880:
	s_and_b64 vcc, exec, s[0:1]
	s_cbranch_vccnz .LBB15_2174
; %bb.1881:
	s_andn2_b64 vcc, exec, s[2:3]
	s_cbranch_vccnz .LBB15_1883
.LBB15_1882:
	v_cmp_neq_f32_e32 vcc, 0, v5
	v_cndmask_b32_e64 v1, 0, 1, vcc
	s_mov_b64 s[4:5], -1
	global_store_byte v[3:4], v1, off
.LBB15_1883:
	s_mov_b64 s[0:1], 0
	s_branch .LBB15_1885
.LBB15_1884:
	s_mov_b64 s[0:1], -1
	s_mov_b64 s[4:5], 0
.LBB15_1885:
	s_and_b64 vcc, exec, s[0:1]
	s_cbranch_vccz .LBB15_1924
; %bb.1886:
	s_and_b32 s2, 0xffff, s16
	s_cmp_lt_i32 s2, 5
	s_mov_b64 s[0:1], -1
	s_cbranch_scc1 .LBB15_1907
; %bb.1887:
	s_cmp_lt_i32 s2, 8
	s_cbranch_scc1 .LBB15_1897
; %bb.1888:
	s_cmp_lt_i32 s2, 9
	s_cbranch_scc1 .LBB15_1894
; %bb.1889:
	s_cmp_gt_i32 s2, 9
	s_cbranch_scc0 .LBB15_1891
; %bb.1890:
	v_cvt_f64_f32_e32 v[11:12], v5
	v_mov_b32_e32 v13, 0
	v_mov_b32_e32 v14, v13
	s_mov_b64 s[0:1], 0
	global_store_dwordx4 v[3:4], v[11:14], off
.LBB15_1891:
	s_andn2_b64 vcc, exec, s[0:1]
	s_cbranch_vccnz .LBB15_1893
; %bb.1892:
	v_mov_b32_e32 v6, 0
	global_store_dwordx2 v[3:4], v[5:6], off
.LBB15_1893:
	s_mov_b64 s[0:1], 0
.LBB15_1894:
	s_andn2_b64 vcc, exec, s[0:1]
	s_cbranch_vccnz .LBB15_1896
; %bb.1895:
	v_cvt_f16_f32_e32 v1, v5
	global_store_dword v[3:4], v1, off
.LBB15_1896:
	s_mov_b64 s[0:1], 0
.LBB15_1897:
	s_andn2_b64 vcc, exec, s[0:1]
	s_cbranch_vccnz .LBB15_1906
; %bb.1898:
	s_cmp_lt_i32 s2, 6
	s_mov_b64 s[0:1], -1
	s_cbranch_scc1 .LBB15_1904
; %bb.1899:
	s_cmp_gt_i32 s2, 6
	s_cbranch_scc0 .LBB15_1901
; %bb.1900:
	v_cvt_f64_f32_e32 v[6:7], v5
	s_mov_b64 s[0:1], 0
	global_store_dwordx2 v[3:4], v[6:7], off
.LBB15_1901:
	s_andn2_b64 vcc, exec, s[0:1]
	s_cbranch_vccnz .LBB15_1903
; %bb.1902:
	global_store_dword v[3:4], v5, off
.LBB15_1903:
	s_mov_b64 s[0:1], 0
.LBB15_1904:
	s_andn2_b64 vcc, exec, s[0:1]
	s_cbranch_vccnz .LBB15_1906
; %bb.1905:
	v_cvt_f16_f32_e32 v1, v5
	global_store_short v[3:4], v1, off
.LBB15_1906:
	s_mov_b64 s[0:1], 0
.LBB15_1907:
	s_andn2_b64 vcc, exec, s[0:1]
	s_cbranch_vccnz .LBB15_1923
; %bb.1908:
	s_cmp_lt_i32 s2, 2
	s_mov_b64 s[0:1], -1
	s_cbranch_scc1 .LBB15_1918
; %bb.1909:
	s_cmp_lt_i32 s2, 3
	s_cbranch_scc1 .LBB15_1915
; %bb.1910:
	s_cmp_gt_i32 s2, 3
	s_cbranch_scc0 .LBB15_1912
; %bb.1911:
	v_trunc_f32_e32 v1, v5
	s_mov_b32 s0, 0x2f800000
	v_mul_f32_e64 v6, |v1|, s0
	v_floor_f32_e32 v6, v6
	s_mov_b32 s0, 0xcf800000
	v_cvt_u32_f32_e32 v7, v6
	v_fma_f32 v6, v6, s0, |v1|
	v_cvt_u32_f32_e32 v6, v6
	v_ashrrev_i32_e32 v1, 31, v1
	v_xor_b32_e32 v7, v7, v1
	s_mov_b64 s[0:1], 0
	v_xor_b32_e32 v6, v6, v1
	v_sub_co_u32_e32 v6, vcc, v6, v1
	v_subb_co_u32_e32 v7, vcc, v7, v1, vcc
	global_store_dwordx2 v[3:4], v[6:7], off
.LBB15_1912:
	s_andn2_b64 vcc, exec, s[0:1]
	s_cbranch_vccnz .LBB15_1914
; %bb.1913:
	v_cvt_i32_f32_e32 v1, v5
	global_store_dword v[3:4], v1, off
.LBB15_1914:
	s_mov_b64 s[0:1], 0
.LBB15_1915:
	s_andn2_b64 vcc, exec, s[0:1]
	s_cbranch_vccnz .LBB15_1917
; %bb.1916:
	v_cvt_i32_f32_e32 v1, v5
	global_store_short v[3:4], v1, off
.LBB15_1917:
	s_mov_b64 s[0:1], 0
.LBB15_1918:
	s_andn2_b64 vcc, exec, s[0:1]
	s_cbranch_vccnz .LBB15_1923
; %bb.1919:
	s_cmp_gt_i32 s2, 0
	s_mov_b64 s[0:1], -1
	s_cbranch_scc0 .LBB15_1921
; %bb.1920:
	v_cvt_i32_f32_e32 v1, v5
	s_mov_b64 s[0:1], 0
	global_store_byte v[3:4], v1, off
.LBB15_1921:
	s_andn2_b64 vcc, exec, s[0:1]
	s_cbranch_vccnz .LBB15_1923
; %bb.1922:
	v_trunc_f32_e32 v1, v5
	s_mov_b32 s0, 0x2f800000
	v_mul_f32_e64 v5, |v1|, s0
	v_floor_f32_e32 v5, v5
	s_mov_b32 s0, 0xcf800000
	v_fma_f32 v5, v5, s0, |v1|
	v_cvt_u32_f32_e32 v5, v5
	v_ashrrev_i32_e32 v1, 31, v1
	v_xor_b32_e32 v5, v5, v1
	v_sub_u32_e32 v1, v5, v1
	global_store_byte v[3:4], v1, off
.LBB15_1923:
	s_mov_b64 s[4:5], -1
.LBB15_1924:
	s_andn2_b64 vcc, exec, s[4:5]
	s_cbranch_vccnz .LBB15_2120
; %bb.1925:
	v_mul_f32_e32 v1, v18, v18
	v_mov_b32_e32 v3, 0x3c0881c4
	v_fmac_f32_e32 v3, 0xb94c1982, v1
	v_mov_b32_e32 v4, 0xbe2aaa9d
	v_fmac_f32_e32 v4, v1, v3
	v_mul_f32_e32 v3, v1, v4
	v_fmac_f32_e32 v18, v18, v3
	v_mov_b32_e32 v3, 0xbab64f3b
	v_fmac_f32_e32 v3, 0x37d75334, v1
	v_mov_b32_e32 v4, 0x3d2aabf7
	;; [unrolled: 2-line block ×3, first 2 shown]
	v_fmac_f32_e32 v3, v1, v4
	v_fma_f32 v1, v1, v3, 1.0
	v_and_b32_e32 v3, 1, v17
	v_cmp_eq_u32_e32 vcc, 0, v3
	v_lshlrev_b32_e32 v3, 30, v17
	v_and_b32_e32 v3, 0x80000000, v3
	v_xor_b32_e32 v4, v16, v10
	v_cndmask_b32_e32 v1, v1, v18, vcc
	v_xor_b32_e32 v3, v4, v3
	s_movk_i32 s0, 0x1f8
	v_xor_b32_e32 v1, v3, v1
	v_mov_b32_e32 v3, 0x7fc00000
	v_cmp_class_f32_e64 vcc, v10, s0
	v_cndmask_b32_e32 v3, v3, v1, vcc
	v_mov_b32_e32 v4, s9
	v_add_co_u32_e32 v1, vcc, s8, v2
	s_cmp_lt_i32 s16, 11
	v_addc_co_u32_e32 v2, vcc, 0, v4, vcc
	s_cbranch_scc1 .LBB15_2003
; %bb.1926:
	s_and_b32 s17, 0xffff, s16
	s_mov_b64 s[10:11], -1
	s_mov_b64 s[2:3], 0
	s_cmp_gt_i32 s17, 25
	s_mov_b64 s[4:5], 0
	s_mov_b64 s[0:1], 0
	s_cbranch_scc0 .LBB15_1959
; %bb.1927:
	s_cmp_gt_i32 s17, 28
	s_cbranch_scc0 .LBB15_1942
; %bb.1928:
	s_cmp_gt_i32 s17, 43
	;; [unrolled: 3-line block ×3, first 2 shown]
	s_cbranch_scc0 .LBB15_1932
; %bb.1930:
	s_mov_b64 s[0:1], -1
	s_mov_b64 s[10:11], 0
	s_cmp_eq_u32 s17, 46
	s_cbranch_scc0 .LBB15_1932
; %bb.1931:
	v_bfe_u32 v4, v3, 16, 1
	s_movk_i32 s0, 0x7fff
	v_add3_u32 v4, v3, v4, s0
	v_cmp_o_f32_e32 vcc, v3, v3
	v_mov_b32_e32 v5, 0x7fc0
	v_cndmask_b32_sdwa v4, v5, v4, vcc dst_sel:DWORD dst_unused:UNUSED_PAD src0_sel:DWORD src1_sel:WORD_1
	global_store_dword v[1:2], v4, off
	s_mov_b64 s[0:1], 0
	s_mov_b64 s[4:5], -1
.LBB15_1932:
	s_and_b64 vcc, exec, s[10:11]
	s_cbranch_vccz .LBB15_1937
; %bb.1933:
	s_cmp_eq_u32 s17, 44
	s_mov_b64 s[0:1], -1
	s_cbranch_scc0 .LBB15_1937
; %bb.1934:
	v_bfe_u32 v4, v3, 23, 8
	s_movk_i32 s0, 0xff
	v_cmp_ne_u32_e32 vcc, s0, v4
	v_mov_b32_e32 v5, 0xff
	s_and_saveexec_b64 s[4:5], vcc
; %bb.1935:
	s_mov_b32 s0, 0x3fffff
	v_and_b32_e32 v6, 0x400000, v3
	v_and_or_b32 v4, v3, s0, v4
	v_cmp_ne_u32_e32 vcc, 0, v6
	v_cmp_ne_u32_e64 s[0:1], 0, v4
	s_and_b64 s[0:1], vcc, s[0:1]
	v_lshrrev_b32_e32 v5, 23, v3
	v_cndmask_b32_e64 v4, 0, 1, s[0:1]
	v_add_u32_e32 v5, v5, v4
; %bb.1936:
	s_or_b64 exec, exec, s[4:5]
	s_mov_b64 s[0:1], 0
	s_mov_b64 s[4:5], -1
	global_store_byte v[1:2], v5, off
.LBB15_1937:
	s_mov_b64 s[10:11], 0
.LBB15_1938:
	s_and_b64 vcc, exec, s[10:11]
	s_cbranch_vccz .LBB15_1941
; %bb.1939:
	s_cmp_eq_u32 s17, 29
	s_mov_b64 s[0:1], -1
	s_cbranch_scc0 .LBB15_1941
; %bb.1940:
	v_trunc_f32_e32 v4, v3
	v_mul_f32_e32 v5, 0x2f800000, v4
	v_floor_f32_e32 v6, v5
	v_fmac_f32_e32 v4, 0xcf800000, v6
	v_cvt_u32_f32_e32 v5, v6
	v_cvt_u32_f32_e32 v4, v4
	s_mov_b64 s[0:1], 0
	s_mov_b64 s[4:5], -1
	global_store_dwordx2 v[1:2], v[4:5], off
.LBB15_1941:
	s_mov_b64 s[10:11], 0
.LBB15_1942:
	s_and_b64 vcc, exec, s[10:11]
	s_cbranch_vccz .LBB15_1958
; %bb.1943:
	s_cmp_lt_i32 s17, 27
	s_mov_b64 s[4:5], -1
	s_cbranch_scc1 .LBB15_1949
; %bb.1944:
	v_cvt_u32_f32_e32 v4, v3
	s_cmp_gt_i32 s17, 27
	s_cbranch_scc0 .LBB15_1946
; %bb.1945:
	s_mov_b64 s[4:5], 0
	global_store_dword v[1:2], v4, off
.LBB15_1946:
	s_andn2_b64 vcc, exec, s[4:5]
	s_cbranch_vccnz .LBB15_1948
; %bb.1947:
	global_store_short v[1:2], v4, off
.LBB15_1948:
	s_mov_b64 s[4:5], 0
.LBB15_1949:
	s_andn2_b64 vcc, exec, s[4:5]
	s_cbranch_vccnz .LBB15_1957
; %bb.1950:
	v_and_b32_e32 v4, 0x7fffffff, v3
	s_mov_b32 s4, 0x43800000
	v_cmp_gt_u32_e32 vcc, s4, v4
	v_mov_b32_e32 v5, 0x80
	s_and_saveexec_b64 s[4:5], vcc
	s_cbranch_execz .LBB15_1956
; %bb.1951:
	s_mov_b32 s10, 0x3bffffff
	v_cmp_lt_u32_e32 vcc, s10, v4
	s_mov_b64 s[10:11], 0
                                        ; implicit-def: $vgpr4
	s_and_saveexec_b64 s[14:15], vcc
	s_xor_b64 s[14:15], exec, s[14:15]
	s_cbranch_execz .LBB15_2177
; %bb.1952:
	v_bfe_u32 v4, v3, 20, 1
	s_mov_b32 s18, 0x487ffff
	v_add3_u32 v4, v3, v4, s18
	s_mov_b64 s[10:11], exec
	v_lshrrev_b32_e32 v4, 20, v4
	s_andn2_saveexec_b64 s[14:15], s[14:15]
	s_cbranch_execnz .LBB15_2178
.LBB15_1953:
	s_or_b64 exec, exec, s[14:15]
	v_mov_b32_e32 v5, 0
	s_and_saveexec_b64 s[14:15], s[10:11]
.LBB15_1954:
	v_lshrrev_b32_e32 v5, 24, v3
	s_movk_i32 s10, 0x80
	v_and_or_b32 v5, v5, s10, v4
.LBB15_1955:
	s_or_b64 exec, exec, s[14:15]
.LBB15_1956:
	s_or_b64 exec, exec, s[4:5]
	global_store_byte v[1:2], v5, off
.LBB15_1957:
	s_mov_b64 s[4:5], -1
.LBB15_1958:
	s_mov_b64 s[10:11], 0
.LBB15_1959:
	s_and_b64 vcc, exec, s[10:11]
	s_cbranch_vccz .LBB15_1999
; %bb.1960:
	s_cmp_gt_i32 s17, 22
	s_mov_b64 s[2:3], -1
	s_cbranch_scc0 .LBB15_1992
; %bb.1961:
	s_cmp_lt_i32 s17, 24
	s_cbranch_scc1 .LBB15_1981
; %bb.1962:
	s_cmp_gt_i32 s17, 24
	s_cbranch_scc0 .LBB15_1970
; %bb.1963:
	v_and_b32_e32 v4, 0x7fffffff, v3
	s_mov_b32 s2, 0x47800000
	v_cmp_gt_u32_e32 vcc, s2, v4
	v_mov_b32_e32 v5, 0x80
	s_and_saveexec_b64 s[2:3], vcc
	s_cbranch_execz .LBB15_1969
; %bb.1964:
	s_mov_b32 s4, 0x37ffffff
	v_cmp_lt_u32_e32 vcc, s4, v4
	s_mov_b64 s[4:5], 0
                                        ; implicit-def: $vgpr4
	s_and_saveexec_b64 s[10:11], vcc
	s_xor_b64 s[10:11], exec, s[10:11]
	s_cbranch_execz .LBB15_2180
; %bb.1965:
	v_bfe_u32 v4, v3, 21, 1
	s_mov_b32 s14, 0x88fffff
	v_add3_u32 v4, v3, v4, s14
	s_mov_b64 s[4:5], exec
	v_lshrrev_b32_e32 v4, 21, v4
	s_andn2_saveexec_b64 s[10:11], s[10:11]
	s_cbranch_execnz .LBB15_2181
.LBB15_1966:
	s_or_b64 exec, exec, s[10:11]
	v_mov_b32_e32 v5, 0
	s_and_saveexec_b64 s[10:11], s[4:5]
.LBB15_1967:
	v_lshrrev_b32_e32 v5, 24, v3
	s_movk_i32 s4, 0x80
	v_and_or_b32 v5, v5, s4, v4
.LBB15_1968:
	s_or_b64 exec, exec, s[10:11]
.LBB15_1969:
	s_or_b64 exec, exec, s[2:3]
	s_mov_b64 s[2:3], 0
	global_store_byte v[1:2], v5, off
.LBB15_1970:
	s_and_b64 vcc, exec, s[2:3]
	s_cbranch_vccz .LBB15_1980
; %bb.1971:
	v_and_b32_e32 v5, 0x7fffffff, v3
	s_mov_b32 s2, 0x43f00000
	v_cmp_gt_u32_e32 vcc, s2, v5
                                        ; implicit-def: $vgpr4
	s_and_saveexec_b64 s[2:3], vcc
	s_xor_b64 s[2:3], exec, s[2:3]
	s_cbranch_execz .LBB15_1977
; %bb.1972:
	s_mov_b32 s4, 0x3c7fffff
	v_cmp_lt_u32_e32 vcc, s4, v5
                                        ; implicit-def: $vgpr4
	s_and_saveexec_b64 s[4:5], vcc
	s_xor_b64 s[4:5], exec, s[4:5]
; %bb.1973:
	v_bfe_u32 v4, v3, 20, 1
	s_mov_b32 s10, 0x407ffff
	v_add3_u32 v4, v3, v4, s10
	v_lshrrev_b32_e32 v5, 20, v4
	v_and_b32_e32 v4, 0xff00000, v4
	s_mov_b32 s10, 0x7f00000
	v_mov_b32_e32 v6, 0x7e
	v_cmp_ne_u32_e32 vcc, s10, v4
	v_cndmask_b32_e32 v4, v6, v5, vcc
; %bb.1974:
	s_andn2_saveexec_b64 s[4:5], s[4:5]
; %bb.1975:
	s_mov_b32 s10, 0x46800000
	v_add_f32_e64 v4, |v3|, s10
; %bb.1976:
	s_or_b64 exec, exec, s[4:5]
                                        ; implicit-def: $vgpr5
.LBB15_1977:
	s_andn2_saveexec_b64 s[2:3], s[2:3]
; %bb.1978:
	s_mov_b32 s4, 0x7f800000
	v_mov_b32_e32 v4, 0x7e
	v_mov_b32_e32 v6, 0x7f
	v_cmp_lt_u32_e32 vcc, s4, v5
	v_cndmask_b32_e32 v4, v4, v6, vcc
; %bb.1979:
	s_or_b64 exec, exec, s[2:3]
	v_lshrrev_b32_e32 v5, 24, v3
	s_movk_i32 s2, 0x80
	v_and_or_b32 v4, v5, s2, v4
	global_store_byte v[1:2], v4, off
.LBB15_1980:
	s_mov_b64 s[2:3], 0
.LBB15_1981:
	s_andn2_b64 vcc, exec, s[2:3]
	s_cbranch_vccnz .LBB15_1991
; %bb.1982:
	v_and_b32_e32 v5, 0x7fffffff, v3
	s_mov_b32 s2, 0x47800000
	v_cmp_gt_u32_e32 vcc, s2, v5
                                        ; implicit-def: $vgpr4
	s_and_saveexec_b64 s[2:3], vcc
	s_xor_b64 s[2:3], exec, s[2:3]
	s_cbranch_execz .LBB15_1988
; %bb.1983:
	s_mov_b32 s4, 0x387fffff
	v_cmp_lt_u32_e32 vcc, s4, v5
                                        ; implicit-def: $vgpr4
	s_and_saveexec_b64 s[4:5], vcc
	s_xor_b64 s[4:5], exec, s[4:5]
; %bb.1984:
	v_bfe_u32 v4, v3, 21, 1
	s_mov_b32 s10, 0x80fffff
	v_add3_u32 v4, v3, v4, s10
	v_lshrrev_b32_e32 v4, 21, v4
; %bb.1985:
	s_andn2_saveexec_b64 s[4:5], s[4:5]
; %bb.1986:
	s_mov_b32 s10, 0x43000000
	v_add_f32_e64 v4, |v3|, s10
; %bb.1987:
	s_or_b64 exec, exec, s[4:5]
                                        ; implicit-def: $vgpr5
.LBB15_1988:
	s_andn2_saveexec_b64 s[2:3], s[2:3]
; %bb.1989:
	s_mov_b32 s4, 0x7f800000
	v_mov_b32_e32 v4, 0x7c
	v_mov_b32_e32 v6, 0x7f
	v_cmp_lt_u32_e32 vcc, s4, v5
	v_cndmask_b32_e32 v4, v4, v6, vcc
; %bb.1990:
	s_or_b64 exec, exec, s[2:3]
	v_lshrrev_b32_e32 v5, 24, v3
	s_movk_i32 s2, 0x80
	v_and_or_b32 v4, v5, s2, v4
	global_store_byte v[1:2], v4, off
.LBB15_1991:
	s_mov_b64 s[2:3], 0
	s_mov_b64 s[4:5], -1
.LBB15_1992:
	s_andn2_b64 vcc, exec, s[2:3]
	s_mov_b64 s[2:3], 0
	s_cbranch_vccnz .LBB15_1999
; %bb.1993:
	s_cmp_gt_i32 s17, 14
	s_mov_b64 s[10:11], -1
	s_cbranch_scc0 .LBB15_1997
; %bb.1994:
	s_cmp_eq_u32 s17, 15
	s_mov_b64 s[0:1], -1
	s_cbranch_scc0 .LBB15_1996
; %bb.1995:
	v_bfe_u32 v4, v3, 16, 1
	s_movk_i32 s0, 0x7fff
	v_add3_u32 v4, v3, v4, s0
	v_cmp_o_f32_e32 vcc, v3, v3
	v_mov_b32_e32 v5, 0x7fc0
	v_cndmask_b32_sdwa v4, v5, v4, vcc dst_sel:DWORD dst_unused:UNUSED_PAD src0_sel:DWORD src1_sel:WORD_1
	global_store_short v[1:2], v4, off
	s_mov_b64 s[0:1], 0
	s_mov_b64 s[4:5], -1
.LBB15_1996:
	s_mov_b64 s[10:11], 0
.LBB15_1997:
	s_and_b64 vcc, exec, s[10:11]
	s_cbranch_vccz .LBB15_1999
; %bb.1998:
	s_cmp_lg_u32 s17, 11
	s_mov_b64 s[2:3], -1
	s_cselect_b64 s[0:1], -1, 0
.LBB15_1999:
	s_and_b64 vcc, exec, s[0:1]
	s_cbranch_vccnz .LBB15_2179
; %bb.2000:
	s_andn2_b64 vcc, exec, s[2:3]
	s_cbranch_vccnz .LBB15_2002
.LBB15_2001:
	v_cmp_neq_f32_e32 vcc, 0, v3
	v_cndmask_b32_e64 v4, 0, 1, vcc
	s_mov_b64 s[4:5], -1
	global_store_byte v[1:2], v4, off
.LBB15_2002:
	s_mov_b64 s[0:1], 0
	s_branch .LBB15_2004
.LBB15_2003:
	s_mov_b64 s[0:1], -1
	s_mov_b64 s[4:5], 0
.LBB15_2004:
	s_and_b64 vcc, exec, s[0:1]
	s_cbranch_vccz .LBB15_2043
; %bb.2005:
	s_and_b32 s2, 0xffff, s16
	s_cmp_lt_i32 s2, 5
	s_mov_b64 s[0:1], -1
	s_cbranch_scc1 .LBB15_2026
; %bb.2006:
	s_cmp_lt_i32 s2, 8
	s_cbranch_scc1 .LBB15_2016
; %bb.2007:
	s_cmp_lt_i32 s2, 9
	s_cbranch_scc1 .LBB15_2013
; %bb.2008:
	s_cmp_gt_i32 s2, 9
	s_cbranch_scc0 .LBB15_2010
; %bb.2009:
	v_cvt_f64_f32_e32 v[4:5], v3
	v_mov_b32_e32 v6, 0
	v_mov_b32_e32 v7, v6
	s_mov_b64 s[0:1], 0
	global_store_dwordx4 v[1:2], v[4:7], off
.LBB15_2010:
	s_andn2_b64 vcc, exec, s[0:1]
	s_cbranch_vccnz .LBB15_2012
; %bb.2011:
	v_mov_b32_e32 v4, 0
	global_store_dwordx2 v[1:2], v[3:4], off
.LBB15_2012:
	s_mov_b64 s[0:1], 0
.LBB15_2013:
	s_andn2_b64 vcc, exec, s[0:1]
	s_cbranch_vccnz .LBB15_2015
; %bb.2014:
	v_cvt_f16_f32_e32 v4, v3
	global_store_dword v[1:2], v4, off
.LBB15_2015:
	s_mov_b64 s[0:1], 0
.LBB15_2016:
	s_andn2_b64 vcc, exec, s[0:1]
	s_cbranch_vccnz .LBB15_2025
; %bb.2017:
	s_cmp_lt_i32 s2, 6
	s_mov_b64 s[0:1], -1
	s_cbranch_scc1 .LBB15_2023
; %bb.2018:
	s_cmp_gt_i32 s2, 6
	s_cbranch_scc0 .LBB15_2020
; %bb.2019:
	v_cvt_f64_f32_e32 v[4:5], v3
	s_mov_b64 s[0:1], 0
	global_store_dwordx2 v[1:2], v[4:5], off
.LBB15_2020:
	s_andn2_b64 vcc, exec, s[0:1]
	s_cbranch_vccnz .LBB15_2022
; %bb.2021:
	global_store_dword v[1:2], v3, off
.LBB15_2022:
	s_mov_b64 s[0:1], 0
.LBB15_2023:
	s_andn2_b64 vcc, exec, s[0:1]
	s_cbranch_vccnz .LBB15_2025
; %bb.2024:
	v_cvt_f16_f32_e32 v4, v3
	global_store_short v[1:2], v4, off
.LBB15_2025:
	s_mov_b64 s[0:1], 0
.LBB15_2026:
	s_andn2_b64 vcc, exec, s[0:1]
	s_cbranch_vccnz .LBB15_2042
; %bb.2027:
	s_cmp_lt_i32 s2, 2
	s_mov_b64 s[0:1], -1
	s_cbranch_scc1 .LBB15_2037
; %bb.2028:
	s_cmp_lt_i32 s2, 3
	s_cbranch_scc1 .LBB15_2034
; %bb.2029:
	s_cmp_gt_i32 s2, 3
	s_cbranch_scc0 .LBB15_2031
; %bb.2030:
	v_trunc_f32_e32 v4, v3
	s_mov_b32 s0, 0x2f800000
	v_mul_f32_e64 v5, |v4|, s0
	v_floor_f32_e32 v5, v5
	s_mov_b32 s0, 0xcf800000
	v_cvt_u32_f32_e32 v6, v5
	v_fma_f32 v5, v5, s0, |v4|
	v_cvt_u32_f32_e32 v5, v5
	v_ashrrev_i32_e32 v7, 31, v4
	v_xor_b32_e32 v6, v6, v7
	s_mov_b64 s[0:1], 0
	v_xor_b32_e32 v4, v5, v7
	v_sub_co_u32_e32 v4, vcc, v4, v7
	v_subb_co_u32_e32 v5, vcc, v6, v7, vcc
	global_store_dwordx2 v[1:2], v[4:5], off
.LBB15_2031:
	s_andn2_b64 vcc, exec, s[0:1]
	s_cbranch_vccnz .LBB15_2033
; %bb.2032:
	v_cvt_i32_f32_e32 v4, v3
	global_store_dword v[1:2], v4, off
.LBB15_2033:
	s_mov_b64 s[0:1], 0
.LBB15_2034:
	s_andn2_b64 vcc, exec, s[0:1]
	s_cbranch_vccnz .LBB15_2036
; %bb.2035:
	v_cvt_i32_f32_e32 v4, v3
	global_store_short v[1:2], v4, off
.LBB15_2036:
	s_mov_b64 s[0:1], 0
.LBB15_2037:
	s_andn2_b64 vcc, exec, s[0:1]
	s_cbranch_vccnz .LBB15_2042
; %bb.2038:
	s_cmp_gt_i32 s2, 0
	s_mov_b64 s[0:1], -1
	s_cbranch_scc0 .LBB15_2040
; %bb.2039:
	v_cvt_i32_f32_e32 v4, v3
	s_mov_b64 s[0:1], 0
	global_store_byte v[1:2], v4, off
.LBB15_2040:
	s_andn2_b64 vcc, exec, s[0:1]
	s_cbranch_vccnz .LBB15_2042
; %bb.2041:
	v_trunc_f32_e32 v3, v3
	s_mov_b32 s0, 0x2f800000
	v_mul_f32_e64 v4, |v3|, s0
	v_floor_f32_e32 v4, v4
	s_mov_b32 s0, 0xcf800000
	v_fma_f32 v4, v4, s0, |v3|
	v_cvt_u32_f32_e32 v4, v4
	v_ashrrev_i32_e32 v3, 31, v3
	v_xor_b32_e32 v4, v4, v3
	v_sub_u32_e32 v3, v4, v3
	global_store_byte v[1:2], v3, off
.LBB15_2042:
	s_mov_b64 s[4:5], -1
.LBB15_2043:
	s_andn2_b64 vcc, exec, s[4:5]
	s_cbranch_vccnz .LBB15_2120
; %bb.2044:
	v_mul_f32_e32 v1, v21, v21
	v_mov_b32_e32 v2, 0x3c0881c4
	v_fmac_f32_e32 v2, 0xb94c1982, v1
	v_mov_b32_e32 v3, 0xbe2aaa9d
	v_fmac_f32_e32 v3, v1, v2
	v_mul_f32_e32 v2, v1, v3
	v_fmac_f32_e32 v21, v21, v2
	v_mov_b32_e32 v2, 0xbab64f3b
	v_fmac_f32_e32 v2, 0x37d75334, v1
	v_mov_b32_e32 v3, 0x3d2aabf7
	;; [unrolled: 2-line block ×3, first 2 shown]
	v_fmac_f32_e32 v2, v1, v3
	v_fma_f32 v1, v1, v2, 1.0
	v_and_b32_e32 v2, 1, v20
	v_cmp_eq_u32_e32 vcc, 0, v2
	v_lshlrev_b32_e32 v2, 30, v20
	v_and_b32_e32 v2, 0x80000000, v2
	v_xor_b32_e32 v3, v19, v9
	v_cndmask_b32_e32 v1, v1, v21, vcc
	v_xor_b32_e32 v2, v3, v2
	s_movk_i32 s0, 0x1f8
	v_xor_b32_e32 v1, v2, v1
	v_mov_b32_e32 v2, 0x7fc00000
	v_cmp_class_f32_e64 vcc, v9, s0
	v_cndmask_b32_e32 v2, v2, v1, vcc
	v_mov_b32_e32 v1, s9
	v_add_co_u32_e32 v0, vcc, s8, v0
	s_cmp_lt_i32 s16, 11
	v_addc_co_u32_e32 v1, vcc, 0, v1, vcc
	s_cbranch_scc1 .LBB15_2165
; %bb.2045:
	s_and_b32 s14, 0xffff, s16
	s_mov_b64 s[4:5], -1
	s_mov_b64 s[2:3], 0
	s_cmp_gt_i32 s14, 25
	s_mov_b64 s[0:1], 0
	s_cbranch_scc0 .LBB15_2078
; %bb.2046:
	s_cmp_gt_i32 s14, 28
	s_cbranch_scc0 .LBB15_2062
; %bb.2047:
	s_cmp_gt_i32 s14, 43
	;; [unrolled: 3-line block ×3, first 2 shown]
	s_cbranch_scc0 .LBB15_2052
; %bb.2049:
	s_cmp_eq_u32 s14, 46
	s_mov_b64 s[0:1], -1
	s_cbranch_scc0 .LBB15_2051
; %bb.2050:
	v_bfe_u32 v3, v2, 16, 1
	s_movk_i32 s0, 0x7fff
	v_add3_u32 v3, v2, v3, s0
	v_cmp_o_f32_e32 vcc, v2, v2
	v_mov_b32_e32 v4, 0x7fc0
	v_cndmask_b32_sdwa v3, v4, v3, vcc dst_sel:DWORD dst_unused:UNUSED_PAD src0_sel:DWORD src1_sel:WORD_1
	global_store_dword v[0:1], v3, off
	s_mov_b64 s[0:1], 0
.LBB15_2051:
	s_mov_b64 s[4:5], 0
.LBB15_2052:
	s_and_b64 vcc, exec, s[4:5]
	s_cbranch_vccz .LBB15_2057
; %bb.2053:
	s_cmp_eq_u32 s14, 44
	s_mov_b64 s[0:1], -1
	s_cbranch_scc0 .LBB15_2057
; %bb.2054:
	v_bfe_u32 v3, v2, 23, 8
	s_movk_i32 s0, 0xff
	v_cmp_ne_u32_e32 vcc, s0, v3
	v_mov_b32_e32 v4, 0xff
	s_and_saveexec_b64 s[4:5], vcc
; %bb.2055:
	s_mov_b32 s0, 0x3fffff
	v_and_b32_e32 v5, 0x400000, v2
	v_and_or_b32 v3, v2, s0, v3
	v_cmp_ne_u32_e32 vcc, 0, v5
	v_cmp_ne_u32_e64 s[0:1], 0, v3
	s_and_b64 s[0:1], vcc, s[0:1]
	v_lshrrev_b32_e32 v4, 23, v2
	v_cndmask_b32_e64 v3, 0, 1, s[0:1]
	v_add_u32_e32 v4, v4, v3
; %bb.2056:
	s_or_b64 exec, exec, s[4:5]
	s_mov_b64 s[0:1], 0
	global_store_byte v[0:1], v4, off
.LBB15_2057:
	s_mov_b64 s[4:5], 0
.LBB15_2058:
	s_and_b64 vcc, exec, s[4:5]
	s_cbranch_vccz .LBB15_2061
; %bb.2059:
	s_cmp_eq_u32 s14, 29
	s_mov_b64 s[0:1], -1
	s_cbranch_scc0 .LBB15_2061
; %bb.2060:
	v_trunc_f32_e32 v3, v2
	v_mul_f32_e32 v4, 0x2f800000, v3
	v_floor_f32_e32 v5, v4
	v_fmac_f32_e32 v3, 0xcf800000, v5
	v_cvt_u32_f32_e32 v4, v5
	v_cvt_u32_f32_e32 v3, v3
	s_mov_b64 s[0:1], 0
	global_store_dwordx2 v[0:1], v[3:4], off
.LBB15_2061:
	s_mov_b64 s[4:5], 0
.LBB15_2062:
	s_and_b64 vcc, exec, s[4:5]
	s_cbranch_vccz .LBB15_2077
; %bb.2063:
	s_cmp_lt_i32 s14, 27
	s_mov_b64 s[4:5], -1
	s_cbranch_scc1 .LBB15_2069
; %bb.2064:
	s_cmp_gt_i32 s14, 27
	s_cbranch_scc0 .LBB15_2066
; %bb.2065:
	v_cvt_u32_f32_e32 v3, v2
	s_mov_b64 s[4:5], 0
	global_store_dword v[0:1], v3, off
.LBB15_2066:
	s_andn2_b64 vcc, exec, s[4:5]
	s_cbranch_vccnz .LBB15_2068
; %bb.2067:
	v_cvt_u32_f32_e32 v3, v2
	global_store_short v[0:1], v3, off
.LBB15_2068:
	s_mov_b64 s[4:5], 0
.LBB15_2069:
	s_andn2_b64 vcc, exec, s[4:5]
	s_cbranch_vccnz .LBB15_2077
; %bb.2070:
	v_and_b32_e32 v3, 0x7fffffff, v2
	s_mov_b32 s4, 0x43800000
	v_cmp_gt_u32_e32 vcc, s4, v3
	v_mov_b32_e32 v4, 0x80
	s_and_saveexec_b64 s[4:5], vcc
	s_cbranch_execz .LBB15_2076
; %bb.2071:
	s_mov_b32 s8, 0x3bffffff
	v_cmp_lt_u32_e32 vcc, s8, v3
	s_mov_b64 s[8:9], 0
                                        ; implicit-def: $vgpr3
	s_and_saveexec_b64 s[10:11], vcc
	s_xor_b64 s[10:11], exec, s[10:11]
	s_cbranch_execz .LBB15_2182
; %bb.2072:
	v_bfe_u32 v3, v2, 20, 1
	s_mov_b32 s15, 0x487ffff
	v_add3_u32 v3, v2, v3, s15
	s_mov_b64 s[8:9], exec
	v_lshrrev_b32_e32 v3, 20, v3
	s_andn2_saveexec_b64 s[10:11], s[10:11]
	s_cbranch_execnz .LBB15_2183
.LBB15_2073:
	s_or_b64 exec, exec, s[10:11]
	v_mov_b32_e32 v4, 0
	s_and_saveexec_b64 s[10:11], s[8:9]
.LBB15_2074:
	v_lshrrev_b32_e32 v4, 24, v2
	s_movk_i32 s8, 0x80
	v_and_or_b32 v4, v4, s8, v3
.LBB15_2075:
	s_or_b64 exec, exec, s[10:11]
.LBB15_2076:
	s_or_b64 exec, exec, s[4:5]
	global_store_byte v[0:1], v4, off
.LBB15_2077:
	s_mov_b64 s[4:5], 0
.LBB15_2078:
	s_and_b64 vcc, exec, s[4:5]
	s_cbranch_vccz .LBB15_2118
; %bb.2079:
	s_cmp_gt_i32 s14, 22
	s_mov_b64 s[2:3], -1
	s_cbranch_scc0 .LBB15_2111
; %bb.2080:
	s_cmp_lt_i32 s14, 24
	s_cbranch_scc1 .LBB15_2100
; %bb.2081:
	s_cmp_gt_i32 s14, 24
	s_cbranch_scc0 .LBB15_2089
; %bb.2082:
	v_and_b32_e32 v3, 0x7fffffff, v2
	s_mov_b32 s2, 0x47800000
	v_cmp_gt_u32_e32 vcc, s2, v3
	v_mov_b32_e32 v4, 0x80
	s_and_saveexec_b64 s[2:3], vcc
	s_cbranch_execz .LBB15_2088
; %bb.2083:
	s_mov_b32 s4, 0x37ffffff
	v_cmp_lt_u32_e32 vcc, s4, v3
	s_mov_b64 s[4:5], 0
                                        ; implicit-def: $vgpr3
	s_and_saveexec_b64 s[8:9], vcc
	s_xor_b64 s[8:9], exec, s[8:9]
	s_cbranch_execz .LBB15_2185
; %bb.2084:
	v_bfe_u32 v3, v2, 21, 1
	s_mov_b32 s10, 0x88fffff
	v_add3_u32 v3, v2, v3, s10
	s_mov_b64 s[4:5], exec
	v_lshrrev_b32_e32 v3, 21, v3
	s_andn2_saveexec_b64 s[8:9], s[8:9]
	s_cbranch_execnz .LBB15_2186
.LBB15_2085:
	s_or_b64 exec, exec, s[8:9]
	v_mov_b32_e32 v4, 0
	s_and_saveexec_b64 s[8:9], s[4:5]
.LBB15_2086:
	v_lshrrev_b32_e32 v4, 24, v2
	s_movk_i32 s4, 0x80
	v_and_or_b32 v4, v4, s4, v3
.LBB15_2087:
	s_or_b64 exec, exec, s[8:9]
.LBB15_2088:
	s_or_b64 exec, exec, s[2:3]
	s_mov_b64 s[2:3], 0
	global_store_byte v[0:1], v4, off
.LBB15_2089:
	s_and_b64 vcc, exec, s[2:3]
	s_cbranch_vccz .LBB15_2099
; %bb.2090:
	v_and_b32_e32 v4, 0x7fffffff, v2
	s_mov_b32 s2, 0x43f00000
	v_cmp_gt_u32_e32 vcc, s2, v4
                                        ; implicit-def: $vgpr3
	s_and_saveexec_b64 s[2:3], vcc
	s_xor_b64 s[2:3], exec, s[2:3]
	s_cbranch_execz .LBB15_2096
; %bb.2091:
	s_mov_b32 s4, 0x3c7fffff
	v_cmp_lt_u32_e32 vcc, s4, v4
                                        ; implicit-def: $vgpr3
	s_and_saveexec_b64 s[4:5], vcc
	s_xor_b64 s[4:5], exec, s[4:5]
; %bb.2092:
	v_bfe_u32 v3, v2, 20, 1
	s_mov_b32 s8, 0x407ffff
	v_add3_u32 v3, v2, v3, s8
	v_lshrrev_b32_e32 v4, 20, v3
	v_and_b32_e32 v3, 0xff00000, v3
	s_mov_b32 s8, 0x7f00000
	v_mov_b32_e32 v5, 0x7e
	v_cmp_ne_u32_e32 vcc, s8, v3
	v_cndmask_b32_e32 v3, v5, v4, vcc
; %bb.2093:
	s_andn2_saveexec_b64 s[4:5], s[4:5]
; %bb.2094:
	s_mov_b32 s8, 0x46800000
	v_add_f32_e64 v3, |v2|, s8
; %bb.2095:
	s_or_b64 exec, exec, s[4:5]
                                        ; implicit-def: $vgpr4
.LBB15_2096:
	s_andn2_saveexec_b64 s[2:3], s[2:3]
; %bb.2097:
	s_mov_b32 s4, 0x7f800000
	v_mov_b32_e32 v3, 0x7e
	v_mov_b32_e32 v5, 0x7f
	v_cmp_lt_u32_e32 vcc, s4, v4
	v_cndmask_b32_e32 v3, v3, v5, vcc
; %bb.2098:
	s_or_b64 exec, exec, s[2:3]
	v_lshrrev_b32_e32 v4, 24, v2
	s_movk_i32 s2, 0x80
	v_and_or_b32 v3, v4, s2, v3
	global_store_byte v[0:1], v3, off
.LBB15_2099:
	s_mov_b64 s[2:3], 0
.LBB15_2100:
	s_andn2_b64 vcc, exec, s[2:3]
	s_cbranch_vccnz .LBB15_2110
; %bb.2101:
	v_and_b32_e32 v4, 0x7fffffff, v2
	s_mov_b32 s2, 0x47800000
	v_cmp_gt_u32_e32 vcc, s2, v4
                                        ; implicit-def: $vgpr3
	s_and_saveexec_b64 s[2:3], vcc
	s_xor_b64 s[2:3], exec, s[2:3]
	s_cbranch_execz .LBB15_2107
; %bb.2102:
	s_mov_b32 s4, 0x387fffff
	v_cmp_lt_u32_e32 vcc, s4, v4
                                        ; implicit-def: $vgpr3
	s_and_saveexec_b64 s[4:5], vcc
	s_xor_b64 s[4:5], exec, s[4:5]
; %bb.2103:
	v_bfe_u32 v3, v2, 21, 1
	s_mov_b32 s8, 0x80fffff
	v_add3_u32 v3, v2, v3, s8
	v_lshrrev_b32_e32 v3, 21, v3
; %bb.2104:
	s_andn2_saveexec_b64 s[4:5], s[4:5]
; %bb.2105:
	s_mov_b32 s8, 0x43000000
	v_add_f32_e64 v3, |v2|, s8
; %bb.2106:
	s_or_b64 exec, exec, s[4:5]
                                        ; implicit-def: $vgpr4
.LBB15_2107:
	s_andn2_saveexec_b64 s[2:3], s[2:3]
; %bb.2108:
	s_mov_b32 s4, 0x7f800000
	v_mov_b32_e32 v3, 0x7c
	v_mov_b32_e32 v5, 0x7f
	v_cmp_lt_u32_e32 vcc, s4, v4
	v_cndmask_b32_e32 v3, v3, v5, vcc
; %bb.2109:
	s_or_b64 exec, exec, s[2:3]
	v_lshrrev_b32_e32 v4, 24, v2
	s_movk_i32 s2, 0x80
	v_and_or_b32 v3, v4, s2, v3
	global_store_byte v[0:1], v3, off
.LBB15_2110:
	s_mov_b64 s[2:3], 0
.LBB15_2111:
	s_andn2_b64 vcc, exec, s[2:3]
	s_mov_b64 s[2:3], 0
	s_cbranch_vccnz .LBB15_2118
; %bb.2112:
	s_cmp_gt_i32 s14, 14
	s_mov_b64 s[4:5], -1
	s_cbranch_scc0 .LBB15_2116
; %bb.2113:
	s_cmp_eq_u32 s14, 15
	s_mov_b64 s[0:1], -1
	s_cbranch_scc0 .LBB15_2115
; %bb.2114:
	v_bfe_u32 v3, v2, 16, 1
	s_movk_i32 s0, 0x7fff
	v_add3_u32 v3, v2, v3, s0
	v_cmp_o_f32_e32 vcc, v2, v2
	v_mov_b32_e32 v4, 0x7fc0
	v_cndmask_b32_sdwa v3, v4, v3, vcc dst_sel:DWORD dst_unused:UNUSED_PAD src0_sel:DWORD src1_sel:WORD_1
	global_store_short v[0:1], v3, off
	s_mov_b64 s[0:1], 0
.LBB15_2115:
	s_mov_b64 s[4:5], 0
.LBB15_2116:
	s_and_b64 vcc, exec, s[4:5]
	s_cbranch_vccz .LBB15_2118
; %bb.2117:
	s_cmp_lg_u32 s14, 11
	s_mov_b64 s[2:3], -1
	s_cselect_b64 s[0:1], -1, 0
.LBB15_2118:
	s_and_b64 vcc, exec, s[0:1]
	s_cbranch_vccnz .LBB15_2184
.LBB15_2119:
	s_mov_b64 s[0:1], 0
	s_branch .LBB15_2121
.LBB15_2120:
	s_mov_b64 s[0:1], 0
	s_mov_b64 s[2:3], 0
                                        ; implicit-def: $vgpr0_vgpr1
                                        ; implicit-def: $sgpr16
                                        ; implicit-def: $vgpr2
.LBB15_2121:
	s_and_b64 s[40:41], s[2:3], exec
	s_andn2_b64 s[2:3], s[6:7], exec
	s_and_b64 s[4:5], s[12:13], exec
	s_and_b64 s[0:1], s[0:1], exec
	s_or_b64 s[6:7], s[2:3], s[4:5]
.LBB15_2122:
	s_or_b64 exec, exec, s[28:29]
	s_and_saveexec_b64 s[2:3], s[6:7]
	s_cbranch_execz .LBB15_2125
; %bb.2123:
	; divergent unreachable
	s_or_b64 exec, exec, s[2:3]
	s_and_saveexec_b64 s[2:3], s[40:41]
	s_xor_b64 s[2:3], exec, s[2:3]
	s_cbranch_execnz .LBB15_2126
.LBB15_2124:
	s_or_b64 exec, exec, s[2:3]
	s_and_saveexec_b64 s[2:3], s[0:1]
	s_cbranch_execnz .LBB15_2127
	s_branch .LBB15_2164
.LBB15_2125:
	s_or_b64 exec, exec, s[2:3]
	s_and_saveexec_b64 s[2:3], s[40:41]
	s_xor_b64 s[2:3], exec, s[2:3]
	s_cbranch_execz .LBB15_2124
.LBB15_2126:
	v_cmp_neq_f32_e32 vcc, 0, v2
	s_waitcnt vmcnt(0)
	v_cndmask_b32_e64 v3, 0, 1, vcc
	global_store_byte v[0:1], v3, off
	s_or_b64 exec, exec, s[2:3]
	s_and_saveexec_b64 s[2:3], s[0:1]
	s_cbranch_execz .LBB15_2164
.LBB15_2127:
	s_sext_i32_i16 s2, s16
	s_cmp_lt_i32 s2, 5
	s_mov_b64 s[0:1], -1
	s_cbranch_scc1 .LBB15_2148
; %bb.2128:
	s_cmp_lt_i32 s2, 8
	s_cbranch_scc1 .LBB15_2138
; %bb.2129:
	s_cmp_lt_i32 s2, 9
	s_cbranch_scc1 .LBB15_2135
; %bb.2130:
	s_cmp_gt_i32 s2, 9
	s_cbranch_scc0 .LBB15_2132
; %bb.2131:
	s_waitcnt vmcnt(0)
	v_cvt_f64_f32_e32 v[3:4], v2
	v_mov_b32_e32 v5, 0
	v_mov_b32_e32 v6, v5
	s_mov_b64 s[0:1], 0
	global_store_dwordx4 v[0:1], v[3:6], off
.LBB15_2132:
	s_andn2_b64 vcc, exec, s[0:1]
	s_cbranch_vccnz .LBB15_2134
; %bb.2133:
	s_waitcnt vmcnt(0)
	v_mov_b32_e32 v3, 0
	global_store_dwordx2 v[0:1], v[2:3], off
.LBB15_2134:
	s_mov_b64 s[0:1], 0
.LBB15_2135:
	s_andn2_b64 vcc, exec, s[0:1]
	s_cbranch_vccnz .LBB15_2137
; %bb.2136:
	s_waitcnt vmcnt(0)
	v_cvt_f16_f32_e32 v3, v2
	global_store_dword v[0:1], v3, off
.LBB15_2137:
	s_mov_b64 s[0:1], 0
.LBB15_2138:
	s_andn2_b64 vcc, exec, s[0:1]
	s_cbranch_vccnz .LBB15_2147
; %bb.2139:
	s_sext_i32_i16 s2, s16
	s_cmp_lt_i32 s2, 6
	s_mov_b64 s[0:1], -1
	s_cbranch_scc1 .LBB15_2145
; %bb.2140:
	s_cmp_gt_i32 s2, 6
	s_cbranch_scc0 .LBB15_2142
; %bb.2141:
	s_waitcnt vmcnt(0)
	v_cvt_f64_f32_e32 v[3:4], v2
	s_mov_b64 s[0:1], 0
	global_store_dwordx2 v[0:1], v[3:4], off
.LBB15_2142:
	s_andn2_b64 vcc, exec, s[0:1]
	s_cbranch_vccnz .LBB15_2144
; %bb.2143:
	s_waitcnt vmcnt(0)
	global_store_dword v[0:1], v2, off
.LBB15_2144:
	s_mov_b64 s[0:1], 0
.LBB15_2145:
	s_andn2_b64 vcc, exec, s[0:1]
	s_cbranch_vccnz .LBB15_2147
; %bb.2146:
	s_waitcnt vmcnt(0)
	v_cvt_f16_f32_e32 v3, v2
	global_store_short v[0:1], v3, off
.LBB15_2147:
	s_mov_b64 s[0:1], 0
.LBB15_2148:
	s_andn2_b64 vcc, exec, s[0:1]
	s_cbranch_vccnz .LBB15_2164
; %bb.2149:
	s_sext_i32_i16 s2, s16
	s_cmp_lt_i32 s2, 2
	s_mov_b64 s[0:1], -1
	s_cbranch_scc1 .LBB15_2159
; %bb.2150:
	s_cmp_lt_i32 s2, 3
	s_cbranch_scc1 .LBB15_2156
; %bb.2151:
	s_cmp_gt_i32 s2, 3
	s_cbranch_scc0 .LBB15_2153
; %bb.2152:
	s_waitcnt vmcnt(0)
	v_trunc_f32_e32 v3, v2
	s_mov_b32 s0, 0x2f800000
	v_mul_f32_e64 v4, |v3|, s0
	v_floor_f32_e32 v4, v4
	s_mov_b32 s0, 0xcf800000
	v_cvt_u32_f32_e32 v5, v4
	v_fma_f32 v4, v4, s0, |v3|
	v_cvt_u32_f32_e32 v4, v4
	v_ashrrev_i32_e32 v6, 31, v3
	v_xor_b32_e32 v5, v5, v6
	s_mov_b64 s[0:1], 0
	v_xor_b32_e32 v3, v4, v6
	v_sub_co_u32_e32 v3, vcc, v3, v6
	v_subb_co_u32_e32 v4, vcc, v5, v6, vcc
	global_store_dwordx2 v[0:1], v[3:4], off
.LBB15_2153:
	s_andn2_b64 vcc, exec, s[0:1]
	s_cbranch_vccnz .LBB15_2155
; %bb.2154:
	s_waitcnt vmcnt(0)
	v_cvt_i32_f32_e32 v3, v2
	global_store_dword v[0:1], v3, off
.LBB15_2155:
	s_mov_b64 s[0:1], 0
.LBB15_2156:
	s_andn2_b64 vcc, exec, s[0:1]
	s_cbranch_vccnz .LBB15_2158
; %bb.2157:
	s_waitcnt vmcnt(0)
	v_cvt_i32_f32_e32 v3, v2
	global_store_short v[0:1], v3, off
.LBB15_2158:
	s_mov_b64 s[0:1], 0
.LBB15_2159:
	s_andn2_b64 vcc, exec, s[0:1]
	s_cbranch_vccnz .LBB15_2164
; %bb.2160:
	s_sext_i32_i16 s0, s16
	s_cmp_gt_i32 s0, 0
	s_mov_b64 s[0:1], -1
	s_cbranch_scc0 .LBB15_2162
; %bb.2161:
	s_waitcnt vmcnt(0)
	v_cvt_i32_f32_e32 v3, v2
	s_mov_b64 s[0:1], 0
	global_store_byte v[0:1], v3, off
.LBB15_2162:
	s_andn2_b64 vcc, exec, s[0:1]
	s_cbranch_vccnz .LBB15_2164
; %bb.2163:
	v_trunc_f32_e32 v2, v2
	s_mov_b32 s0, 0x2f800000
	s_waitcnt vmcnt(0)
	v_mul_f32_e64 v3, |v2|, s0
	v_floor_f32_e32 v3, v3
	s_mov_b32 s0, 0xcf800000
	v_fma_f32 v3, v3, s0, |v2|
	v_cvt_u32_f32_e32 v3, v3
	v_ashrrev_i32_e32 v2, 31, v2
	v_xor_b32_e32 v3, v3, v2
	v_sub_u32_e32 v2, v3, v2
	global_store_byte v[0:1], v2, off
	s_endpgm
.LBB15_2164:
	s_endpgm
.LBB15_2165:
	s_mov_b64 s[2:3], 0
	s_mov_b64 s[0:1], -1
	s_branch .LBB15_2121
.LBB15_2166:
	s_trap 2
	s_or_b64 s[12:13], s[12:13], exec
	s_cbranch_execz .LBB15_1631
	s_branch .LBB15_1632
.LBB15_2167:
	s_andn2_saveexec_b64 s[14:15], s[14:15]
	s_cbranch_execz .LBB15_1715
.LBB15_2168:
	s_mov_b32 s19, 0x46000000
	v_add_f32_e64 v1, |v7|, s19
	v_and_b32_e32 v1, 0xff, v1
	v_cmp_ne_u32_e32 vcc, 0, v1
	s_andn2_b64 s[10:11], s[10:11], exec
	s_and_b64 s[20:21], vcc, exec
	s_or_b64 s[10:11], s[10:11], s[20:21]
	s_or_b64 exec, exec, s[14:15]
	v_mov_b32_e32 v8, 0
	s_and_saveexec_b64 s[14:15], s[10:11]
	s_cbranch_execnz .LBB15_1716
	s_branch .LBB15_1717
.LBB15_2169:
	s_trap 2
	s_or_b64 s[12:13], s[12:13], exec
	s_cbranch_execz .LBB15_1763
	s_branch .LBB15_1764
.LBB15_2170:
	s_andn2_saveexec_b64 s[10:11], s[10:11]
	s_cbranch_execz .LBB15_1728
.LBB15_2171:
	s_mov_b32 s14, 0x42800000
	v_add_f32_e64 v1, |v7|, s14
	v_and_b32_e32 v1, 0xff, v1
	v_cmp_ne_u32_e32 vcc, 0, v1
	s_andn2_b64 s[4:5], s[4:5], exec
	s_and_b64 s[14:15], vcc, exec
	s_or_b64 s[4:5], s[4:5], s[14:15]
	s_or_b64 exec, exec, s[10:11]
	v_mov_b32_e32 v8, 0
	s_and_saveexec_b64 s[10:11], s[4:5]
	s_cbranch_execnz .LBB15_1729
	s_branch .LBB15_1730
.LBB15_2172:
	s_andn2_saveexec_b64 s[14:15], s[14:15]
	s_cbranch_execz .LBB15_1834
.LBB15_2173:
	s_mov_b32 s18, 0x46000000
	v_add_f32_e64 v1, |v5|, s18
	v_and_b32_e32 v1, 0xff, v1
	v_cmp_ne_u32_e32 vcc, 0, v1
	s_andn2_b64 s[10:11], s[10:11], exec
	s_and_b64 s[18:19], vcc, exec
	s_or_b64 s[10:11], s[10:11], s[18:19]
	s_or_b64 exec, exec, s[14:15]
	v_mov_b32_e32 v6, 0
	s_and_saveexec_b64 s[14:15], s[10:11]
	s_cbranch_execnz .LBB15_1835
	s_branch .LBB15_1836
.LBB15_2174:
	s_trap 2
	s_or_b64 s[12:13], s[12:13], exec
	s_cbranch_execz .LBB15_1882
	s_branch .LBB15_1883
.LBB15_2175:
	s_andn2_saveexec_b64 s[10:11], s[10:11]
	s_cbranch_execz .LBB15_1847
.LBB15_2176:
	s_mov_b32 s14, 0x42800000
	v_add_f32_e64 v1, |v5|, s14
	v_and_b32_e32 v1, 0xff, v1
	v_cmp_ne_u32_e32 vcc, 0, v1
	s_andn2_b64 s[4:5], s[4:5], exec
	s_and_b64 s[14:15], vcc, exec
	s_or_b64 s[4:5], s[4:5], s[14:15]
	s_or_b64 exec, exec, s[10:11]
	v_mov_b32_e32 v6, 0
	s_and_saveexec_b64 s[10:11], s[4:5]
	s_cbranch_execnz .LBB15_1848
	s_branch .LBB15_1849
.LBB15_2177:
	s_andn2_saveexec_b64 s[14:15], s[14:15]
	s_cbranch_execz .LBB15_1953
.LBB15_2178:
	s_mov_b32 s18, 0x46000000
	v_add_f32_e64 v4, |v3|, s18
	v_and_b32_e32 v4, 0xff, v4
	v_cmp_ne_u32_e32 vcc, 0, v4
	s_andn2_b64 s[10:11], s[10:11], exec
	s_and_b64 s[18:19], vcc, exec
	s_or_b64 s[10:11], s[10:11], s[18:19]
	s_or_b64 exec, exec, s[14:15]
	v_mov_b32_e32 v5, 0
	s_and_saveexec_b64 s[14:15], s[10:11]
	s_cbranch_execnz .LBB15_1954
	s_branch .LBB15_1955
.LBB15_2179:
	s_trap 2
	s_or_b64 s[12:13], s[12:13], exec
	s_cbranch_execz .LBB15_2001
	s_branch .LBB15_2002
.LBB15_2180:
	s_andn2_saveexec_b64 s[10:11], s[10:11]
	s_cbranch_execz .LBB15_1966
.LBB15_2181:
	s_mov_b32 s14, 0x42800000
	v_add_f32_e64 v4, |v3|, s14
	v_and_b32_e32 v4, 0xff, v4
	v_cmp_ne_u32_e32 vcc, 0, v4
	s_andn2_b64 s[4:5], s[4:5], exec
	s_and_b64 s[14:15], vcc, exec
	s_or_b64 s[4:5], s[4:5], s[14:15]
	s_or_b64 exec, exec, s[10:11]
	v_mov_b32_e32 v5, 0
	s_and_saveexec_b64 s[10:11], s[4:5]
	s_cbranch_execnz .LBB15_1967
	s_branch .LBB15_1968
.LBB15_2182:
	s_andn2_saveexec_b64 s[10:11], s[10:11]
	s_cbranch_execz .LBB15_2073
.LBB15_2183:
	s_mov_b32 s15, 0x46000000
	v_add_f32_e64 v3, |v2|, s15
	v_and_b32_e32 v3, 0xff, v3
	v_cmp_ne_u32_e32 vcc, 0, v3
	s_andn2_b64 s[8:9], s[8:9], exec
	s_and_b64 s[18:19], vcc, exec
	s_or_b64 s[8:9], s[8:9], s[18:19]
	s_or_b64 exec, exec, s[10:11]
	v_mov_b32_e32 v4, 0
	s_and_saveexec_b64 s[10:11], s[8:9]
	s_cbranch_execnz .LBB15_2074
	s_branch .LBB15_2075
.LBB15_2184:
	s_mov_b64 s[2:3], 0
	s_or_b64 s[12:13], s[12:13], exec
	s_trap 2
	s_branch .LBB15_2119
.LBB15_2185:
	s_andn2_saveexec_b64 s[8:9], s[8:9]
	s_cbranch_execz .LBB15_2085
.LBB15_2186:
	s_mov_b32 s10, 0x42800000
	v_add_f32_e64 v3, |v2|, s10
	v_and_b32_e32 v3, 0xff, v3
	v_cmp_ne_u32_e32 vcc, 0, v3
	s_andn2_b64 s[4:5], s[4:5], exec
	s_and_b64 s[10:11], vcc, exec
	s_or_b64 s[4:5], s[4:5], s[10:11]
	s_or_b64 exec, exec, s[8:9]
	v_mov_b32_e32 v4, 0
	s_and_saveexec_b64 s[8:9], s[4:5]
	s_cbranch_execnz .LBB15_2086
	s_branch .LBB15_2087
	.section	.rodata,"a",@progbits
	.p2align	6, 0x0
	.amdhsa_kernel _ZN2at6native32elementwise_kernel_manual_unrollILi128ELi4EZNS0_15gpu_kernel_implIZZZNS0_15sin_kernel_cudaERNS_18TensorIteratorBaseEENKUlvE0_clEvENKUlvE0_clEvEUlfE_EEvS4_RKT_EUlibE0_EEviT1_
		.amdhsa_group_segment_fixed_size 0
		.amdhsa_private_segment_fixed_size 0
		.amdhsa_kernarg_size 360
		.amdhsa_user_sgpr_count 6
		.amdhsa_user_sgpr_private_segment_buffer 1
		.amdhsa_user_sgpr_dispatch_ptr 0
		.amdhsa_user_sgpr_queue_ptr 0
		.amdhsa_user_sgpr_kernarg_segment_ptr 1
		.amdhsa_user_sgpr_dispatch_id 0
		.amdhsa_user_sgpr_flat_scratch_init 0
		.amdhsa_user_sgpr_private_segment_size 0
		.amdhsa_uses_dynamic_stack 0
		.amdhsa_system_sgpr_private_segment_wavefront_offset 0
		.amdhsa_system_sgpr_workgroup_id_x 1
		.amdhsa_system_sgpr_workgroup_id_y 0
		.amdhsa_system_sgpr_workgroup_id_z 0
		.amdhsa_system_sgpr_workgroup_info 0
		.amdhsa_system_vgpr_workitem_id 0
		.amdhsa_next_free_vgpr 30
		.amdhsa_next_free_sgpr 78
		.amdhsa_reserve_vcc 1
		.amdhsa_reserve_flat_scratch 0
		.amdhsa_float_round_mode_32 0
		.amdhsa_float_round_mode_16_64 0
		.amdhsa_float_denorm_mode_32 3
		.amdhsa_float_denorm_mode_16_64 3
		.amdhsa_dx10_clamp 1
		.amdhsa_ieee_mode 1
		.amdhsa_fp16_overflow 0
		.amdhsa_exception_fp_ieee_invalid_op 0
		.amdhsa_exception_fp_denorm_src 0
		.amdhsa_exception_fp_ieee_div_zero 0
		.amdhsa_exception_fp_ieee_overflow 0
		.amdhsa_exception_fp_ieee_underflow 0
		.amdhsa_exception_fp_ieee_inexact 0
		.amdhsa_exception_int_div_zero 0
	.end_amdhsa_kernel
	.section	.text._ZN2at6native32elementwise_kernel_manual_unrollILi128ELi4EZNS0_15gpu_kernel_implIZZZNS0_15sin_kernel_cudaERNS_18TensorIteratorBaseEENKUlvE0_clEvENKUlvE0_clEvEUlfE_EEvS4_RKT_EUlibE0_EEviT1_,"axG",@progbits,_ZN2at6native32elementwise_kernel_manual_unrollILi128ELi4EZNS0_15gpu_kernel_implIZZZNS0_15sin_kernel_cudaERNS_18TensorIteratorBaseEENKUlvE0_clEvENKUlvE0_clEvEUlfE_EEvS4_RKT_EUlibE0_EEviT1_,comdat
.Lfunc_end15:
	.size	_ZN2at6native32elementwise_kernel_manual_unrollILi128ELi4EZNS0_15gpu_kernel_implIZZZNS0_15sin_kernel_cudaERNS_18TensorIteratorBaseEENKUlvE0_clEvENKUlvE0_clEvEUlfE_EEvS4_RKT_EUlibE0_EEviT1_, .Lfunc_end15-_ZN2at6native32elementwise_kernel_manual_unrollILi128ELi4EZNS0_15gpu_kernel_implIZZZNS0_15sin_kernel_cudaERNS_18TensorIteratorBaseEENKUlvE0_clEvENKUlvE0_clEvEUlfE_EEvS4_RKT_EUlibE0_EEviT1_
                                        ; -- End function
	.set _ZN2at6native32elementwise_kernel_manual_unrollILi128ELi4EZNS0_15gpu_kernel_implIZZZNS0_15sin_kernel_cudaERNS_18TensorIteratorBaseEENKUlvE0_clEvENKUlvE0_clEvEUlfE_EEvS4_RKT_EUlibE0_EEviT1_.num_vgpr, 30
	.set _ZN2at6native32elementwise_kernel_manual_unrollILi128ELi4EZNS0_15gpu_kernel_implIZZZNS0_15sin_kernel_cudaERNS_18TensorIteratorBaseEENKUlvE0_clEvENKUlvE0_clEvEUlfE_EEvS4_RKT_EUlibE0_EEviT1_.num_agpr, 0
	.set _ZN2at6native32elementwise_kernel_manual_unrollILi128ELi4EZNS0_15gpu_kernel_implIZZZNS0_15sin_kernel_cudaERNS_18TensorIteratorBaseEENKUlvE0_clEvENKUlvE0_clEvEUlfE_EEvS4_RKT_EUlibE0_EEviT1_.numbered_sgpr, 78
	.set _ZN2at6native32elementwise_kernel_manual_unrollILi128ELi4EZNS0_15gpu_kernel_implIZZZNS0_15sin_kernel_cudaERNS_18TensorIteratorBaseEENKUlvE0_clEvENKUlvE0_clEvEUlfE_EEvS4_RKT_EUlibE0_EEviT1_.num_named_barrier, 0
	.set _ZN2at6native32elementwise_kernel_manual_unrollILi128ELi4EZNS0_15gpu_kernel_implIZZZNS0_15sin_kernel_cudaERNS_18TensorIteratorBaseEENKUlvE0_clEvENKUlvE0_clEvEUlfE_EEvS4_RKT_EUlibE0_EEviT1_.private_seg_size, 0
	.set _ZN2at6native32elementwise_kernel_manual_unrollILi128ELi4EZNS0_15gpu_kernel_implIZZZNS0_15sin_kernel_cudaERNS_18TensorIteratorBaseEENKUlvE0_clEvENKUlvE0_clEvEUlfE_EEvS4_RKT_EUlibE0_EEviT1_.uses_vcc, 1
	.set _ZN2at6native32elementwise_kernel_manual_unrollILi128ELi4EZNS0_15gpu_kernel_implIZZZNS0_15sin_kernel_cudaERNS_18TensorIteratorBaseEENKUlvE0_clEvENKUlvE0_clEvEUlfE_EEvS4_RKT_EUlibE0_EEviT1_.uses_flat_scratch, 0
	.set _ZN2at6native32elementwise_kernel_manual_unrollILi128ELi4EZNS0_15gpu_kernel_implIZZZNS0_15sin_kernel_cudaERNS_18TensorIteratorBaseEENKUlvE0_clEvENKUlvE0_clEvEUlfE_EEvS4_RKT_EUlibE0_EEviT1_.has_dyn_sized_stack, 0
	.set _ZN2at6native32elementwise_kernel_manual_unrollILi128ELi4EZNS0_15gpu_kernel_implIZZZNS0_15sin_kernel_cudaERNS_18TensorIteratorBaseEENKUlvE0_clEvENKUlvE0_clEvEUlfE_EEvS4_RKT_EUlibE0_EEviT1_.has_recursion, 0
	.set _ZN2at6native32elementwise_kernel_manual_unrollILi128ELi4EZNS0_15gpu_kernel_implIZZZNS0_15sin_kernel_cudaERNS_18TensorIteratorBaseEENKUlvE0_clEvENKUlvE0_clEvEUlfE_EEvS4_RKT_EUlibE0_EEviT1_.has_indirect_call, 0
	.section	.AMDGPU.csdata,"",@progbits
; Kernel info:
; codeLenInByte = 44292
; TotalNumSgprs: 82
; NumVgprs: 30
; ScratchSize: 0
; MemoryBound: 1
; FloatMode: 240
; IeeeMode: 1
; LDSByteSize: 0 bytes/workgroup (compile time only)
; SGPRBlocks: 10
; VGPRBlocks: 7
; NumSGPRsForWavesPerEU: 82
; NumVGPRsForWavesPerEU: 30
; Occupancy: 8
; WaveLimiterHint : 1
; COMPUTE_PGM_RSRC2:SCRATCH_EN: 0
; COMPUTE_PGM_RSRC2:USER_SGPR: 6
; COMPUTE_PGM_RSRC2:TRAP_HANDLER: 0
; COMPUTE_PGM_RSRC2:TGID_X_EN: 1
; COMPUTE_PGM_RSRC2:TGID_Y_EN: 0
; COMPUTE_PGM_RSRC2:TGID_Z_EN: 0
; COMPUTE_PGM_RSRC2:TIDIG_COMP_CNT: 0
	.text
	.p2align	2                               ; -- Begin function _ZN2at6native25elementwise_kernel_helperILb0EZZZNS0_15sin_kernel_cudaERNS_18TensorIteratorBaseEENKUlvE0_clEvENKUlvE1_clEvEUlN3c104HalfEE_NS0_6memory8policies11unroll_baseILi256ESt5arrayIPcLm2EE23TrivialOffsetCalculatorILi1EjESG_NS9_15LoadWithoutCastENS9_16StoreWithoutCastELi8ELi1EEEEEvT0_T1_
	.type	_ZN2at6native25elementwise_kernel_helperILb0EZZZNS0_15sin_kernel_cudaERNS_18TensorIteratorBaseEENKUlvE0_clEvENKUlvE1_clEvEUlN3c104HalfEE_NS0_6memory8policies11unroll_baseILi256ESt5arrayIPcLm2EE23TrivialOffsetCalculatorILi1EjESG_NS9_15LoadWithoutCastENS9_16StoreWithoutCastELi8ELi1EEEEEvT0_T1_,@function
_ZN2at6native25elementwise_kernel_helperILb0EZZZNS0_15sin_kernel_cudaERNS_18TensorIteratorBaseEENKUlvE0_clEvENKUlvE1_clEvEUlN3c104HalfEE_NS0_6memory8policies11unroll_baseILi256ESt5arrayIPcLm2EE23TrivialOffsetCalculatorILi1EjESG_NS9_15LoadWithoutCastENS9_16StoreWithoutCastELi8ELi1EEEEEvT0_T1_: ; @_ZN2at6native25elementwise_kernel_helperILb0EZZZNS0_15sin_kernel_cudaERNS_18TensorIteratorBaseEENKUlvE0_clEvENKUlvE1_clEvEUlN3c104HalfEE_NS0_6memory8policies11unroll_baseILi256ESt5arrayIPcLm2EE23TrivialOffsetCalculatorILi1EjESG_NS9_15LoadWithoutCastENS9_16StoreWithoutCastELi8ELi1EEEEEvT0_T1_
; %bb.0:
	s_waitcnt vmcnt(0) expcnt(0) lgkmcnt(0)
	v_and_b32_e32 v7, 0x3ff, v31
	s_lshl_b32 s16, s12, 11
	v_cmp_lt_i32_e32 vcc, v7, v4
	v_mov_b32_e32 v12, 0
	v_or_b32_e32 v5, s16, v7
	v_mov_b32_e32 v10, 0
	v_mov_b32_e32 v15, v7
	s_and_saveexec_b64 s[6:7], vcc
	s_cbranch_execz .LBB16_2
; %bb.1:
	v_mov_b32_e32 v6, 0
	v_lshlrev_b64 v[8:9], 1, v[5:6]
	v_add_u32_e32 v15, 0x100, v7
	v_add_co_u32_e64 v8, s[4:5], v2, v8
	v_addc_co_u32_e64 v9, s[4:5], v3, v9, s[4:5]
	flat_load_ushort v6, v[8:9]
	s_waitcnt vmcnt(0) lgkmcnt(0)
	v_cvt_f32_f16_e32 v10, v6
.LBB16_2:
	s_or_b64 exec, exec, s[6:7]
	v_cmp_lt_i32_e64 s[4:5], v15, v4
	s_and_saveexec_b64 s[6:7], s[4:5]
	s_cbranch_execz .LBB16_4
; %bb.3:
	v_add_u32_e32 v8, s16, v15
	v_mov_b32_e32 v9, 0
	v_lshlrev_b64 v[8:9], 1, v[8:9]
	v_add_u32_e32 v15, 0x100, v15
	v_add_co_u32_e64 v8, s[4:5], v2, v8
	v_addc_co_u32_e64 v9, s[4:5], v3, v9, s[4:5]
	flat_load_ushort v6, v[8:9]
	s_waitcnt vmcnt(0) lgkmcnt(0)
	v_cvt_f32_f16_e32 v12, v6
.LBB16_4:
	s_or_b64 exec, exec, s[6:7]
	v_cmp_lt_i32_e64 s[4:5], v15, v4
	v_mov_b32_e32 v13, 0
	v_mov_b32_e32 v14, 0
	s_and_saveexec_b64 s[6:7], s[4:5]
	s_cbranch_execz .LBB16_6
; %bb.5:
	v_add_u32_e32 v8, s16, v15
	v_mov_b32_e32 v9, 0
	v_lshlrev_b64 v[8:9], 1, v[8:9]
	v_add_u32_e32 v15, 0x100, v15
	v_add_co_u32_e64 v8, s[4:5], v2, v8
	v_addc_co_u32_e64 v9, s[4:5], v3, v9, s[4:5]
	flat_load_ushort v6, v[8:9]
	s_waitcnt vmcnt(0) lgkmcnt(0)
	v_cvt_f32_f16_e32 v14, v6
.LBB16_6:
	s_or_b64 exec, exec, s[6:7]
	v_cmp_lt_i32_e64 s[4:5], v15, v4
	s_and_saveexec_b64 s[6:7], s[4:5]
	s_cbranch_execz .LBB16_8
; %bb.7:
	v_add_u32_e32 v8, s16, v15
	v_mov_b32_e32 v9, 0
	v_lshlrev_b64 v[8:9], 1, v[8:9]
	v_add_u32_e32 v15, 0x100, v15
	v_add_co_u32_e64 v8, s[4:5], v2, v8
	v_addc_co_u32_e64 v9, s[4:5], v3, v9, s[4:5]
	flat_load_ushort v6, v[8:9]
	s_waitcnt vmcnt(0) lgkmcnt(0)
	v_cvt_f32_f16_e32 v13, v6
.LBB16_8:
	s_or_b64 exec, exec, s[6:7]
	v_cmp_lt_i32_e64 s[4:5], v15, v4
	v_mov_b32_e32 v9, 0
	v_mov_b32_e32 v11, 0
	s_and_saveexec_b64 s[6:7], s[4:5]
	s_cbranch_execz .LBB16_10
; %bb.9:
	v_add_u32_e32 v16, s16, v15
	v_mov_b32_e32 v17, 0
	v_lshlrev_b64 v[16:17], 1, v[16:17]
	v_add_u32_e32 v15, 0x100, v15
	v_add_co_u32_e64 v16, s[4:5], v2, v16
	v_addc_co_u32_e64 v17, s[4:5], v3, v17, s[4:5]
	flat_load_ushort v6, v[16:17]
	s_waitcnt vmcnt(0) lgkmcnt(0)
	v_cvt_f32_f16_e32 v11, v6
.LBB16_10:
	s_or_b64 exec, exec, s[6:7]
	v_cmp_lt_i32_e64 s[4:5], v15, v4
	s_and_saveexec_b64 s[6:7], s[4:5]
	s_cbranch_execz .LBB16_12
; %bb.11:
	v_add_u32_e32 v8, s16, v15
	v_mov_b32_e32 v9, 0
	v_lshlrev_b64 v[8:9], 1, v[8:9]
	v_add_u32_e32 v15, 0x100, v15
	v_add_co_u32_e64 v8, s[4:5], v2, v8
	v_addc_co_u32_e64 v9, s[4:5], v3, v9, s[4:5]
	flat_load_ushort v6, v[8:9]
	s_waitcnt vmcnt(0) lgkmcnt(0)
	v_cvt_f32_f16_e32 v9, v6
.LBB16_12:
	s_or_b64 exec, exec, s[6:7]
	v_cmp_lt_i32_e64 s[4:5], v15, v4
	v_mov_b32_e32 v6, 0
	v_mov_b32_e32 v8, 0
	s_and_saveexec_b64 s[6:7], s[4:5]
	s_cbranch_execnz .LBB16_15
; %bb.13:
	s_or_b64 exec, exec, s[6:7]
	v_cmp_lt_i32_e64 s[4:5], v15, v4
	s_and_saveexec_b64 s[6:7], s[4:5]
	s_cbranch_execnz .LBB16_16
.LBB16_14:
	s_or_b64 exec, exec, s[6:7]
                                        ; implicit-def: $vgpr2
	s_and_saveexec_b64 s[12:13], vcc
	s_cbranch_execnz .LBB16_17
	s_branch .LBB16_22
.LBB16_15:
	v_add_u32_e32 v16, s16, v15
	v_mov_b32_e32 v17, 0
	v_lshlrev_b64 v[16:17], 1, v[16:17]
	v_add_u32_e32 v15, 0x100, v15
	v_add_co_u32_e64 v16, s[4:5], v2, v16
	v_addc_co_u32_e64 v17, s[4:5], v3, v17, s[4:5]
	flat_load_ushort v8, v[16:17]
	s_waitcnt vmcnt(0) lgkmcnt(0)
	v_cvt_f32_f16_e32 v8, v8
	s_or_b64 exec, exec, s[6:7]
	v_cmp_lt_i32_e64 s[4:5], v15, v4
	s_and_saveexec_b64 s[6:7], s[4:5]
	s_cbranch_execz .LBB16_14
.LBB16_16:
	v_add_u32_e32 v15, s16, v15
	v_mov_b32_e32 v16, 0
	v_lshlrev_b64 v[15:16], 1, v[15:16]
	v_add_co_u32_e64 v2, s[4:5], v2, v15
	v_addc_co_u32_e64 v3, s[4:5], v3, v16, s[4:5]
	flat_load_ushort v2, v[2:3]
	s_waitcnt vmcnt(0) lgkmcnt(0)
	v_cvt_f32_f16_e32 v6, v2
	s_or_b64 exec, exec, s[6:7]
                                        ; implicit-def: $vgpr2
	s_and_saveexec_b64 s[12:13], vcc
	s_cbranch_execz .LBB16_22
.LBB16_17:
	s_brev_b32 s4, 18
	v_and_b32_e32 v2, 0x7fffffff, v10
	v_cmp_nlt_f32_e64 s[4:5], |v10|, s4
                                        ; implicit-def: $vgpr3
                                        ; implicit-def: $vgpr15
	s_and_saveexec_b64 s[6:7], s[4:5]
	s_xor_b64 s[14:15], exec, s[6:7]
	s_cbranch_execz .LBB16_19
; %bb.18:
	v_and_b32_e32 v3, 0x7fffff, v2
	v_or_b32_e32 v3, 0x800000, v3
	s_mov_b32 s4, 0xfe5163ab
	v_mad_u64_u32 v[15:16], s[4:5], v3, s4, 0
	v_mov_b32_e32 v17, 0
	s_mov_b32 s4, 0x3c439041
	v_mad_u64_u32 v[18:19], s[4:5], v3, s4, v[16:17]
	s_mov_b32 s4, 0xdb629599
	v_not_b32_e32 v23, 63
	v_mov_b32_e32 v16, v19
	v_mad_u64_u32 v[19:20], s[4:5], v3, s4, v[16:17]
	s_mov_b32 s4, 0xf534ddc0
	s_mov_b32 s6, 0x4e441529
	v_mov_b32_e32 v16, v20
	v_mad_u64_u32 v[20:21], s[4:5], v3, s4, v[16:17]
	v_lshrrev_b32_e32 v16, 23, v2
	v_add_u32_e32 v24, 0xffffff88, v16
	v_mov_b32_e32 v16, v21
	s_mov_b32 s4, 0xfc2757d1
	v_mad_u64_u32 v[21:22], s[4:5], v3, s4, v[16:17]
	v_cmp_lt_u32_e64 s[4:5], 63, v24
	v_cndmask_b32_e64 v16, 0, v23, s[4:5]
	v_add_u32_e32 v24, v16, v24
	v_mov_b32_e32 v16, v22
	v_mad_u64_u32 v[22:23], s[6:7], v3, s6, v[16:17]
	v_not_b32_e32 v25, 31
	v_cmp_lt_u32_e64 s[6:7], 31, v24
	v_cndmask_b32_e64 v16, 0, v25, s[6:7]
	v_add_u32_e32 v24, v16, v24
	v_mov_b32_e32 v16, v23
	s_mov_b32 s8, 0xa2f9836e
	v_mad_u64_u32 v[16:17], s[8:9], v3, s8, v[16:17]
	v_cmp_lt_u32_e64 s[8:9], 31, v24
	v_cndmask_b32_e64 v3, 0, v25, s[8:9]
	v_cndmask_b32_e64 v23, v22, v20, s[4:5]
	;; [unrolled: 1-line block ×4, first 2 shown]
	v_add_u32_e32 v3, v3, v24
	v_cndmask_b32_e64 v24, v16, v23, s[6:7]
	v_cndmask_b32_e64 v16, v17, v16, s[6:7]
	;; [unrolled: 1-line block ×6, first 2 shown]
	v_sub_u32_e32 v23, 32, v3
	v_alignbit_b32 v24, v16, v22, v23
	v_cmp_eq_u32_e64 s[10:11], 0, v3
	v_cndmask_b32_e64 v3, v24, v16, s[10:11]
	v_cndmask_b32_e64 v16, v20, v18, s[4:5]
	;; [unrolled: 1-line block ×4, first 2 shown]
	v_alignbit_b32 v20, v22, v18, v23
	v_cndmask_b32_e64 v15, v19, v15, s[4:5]
	v_cndmask_b32_e64 v20, v20, v22, s[10:11]
	v_bfe_u32 v24, v3, 29, 1
	v_cndmask_b32_e64 v15, v16, v15, s[6:7]
	v_alignbit_b32 v21, v3, v20, 30
	v_sub_u32_e32 v25, 0, v24
	v_cndmask_b32_e64 v15, v17, v15, s[8:9]
	v_xor_b32_e32 v21, v21, v25
	v_alignbit_b32 v16, v18, v15, v23
	v_cndmask_b32_e64 v16, v16, v18, s[10:11]
	v_ffbh_u32_e32 v18, v21
	v_alignbit_b32 v17, v20, v16, 30
	v_min_u32_e32 v18, 32, v18
	v_alignbit_b32 v15, v16, v15, 30
	v_xor_b32_e32 v17, v17, v25
	v_sub_u32_e32 v19, 31, v18
	v_xor_b32_e32 v15, v15, v25
	v_alignbit_b32 v20, v21, v17, v19
	v_alignbit_b32 v15, v17, v15, v19
	;; [unrolled: 1-line block ×3, first 2 shown]
	v_ffbh_u32_e32 v17, v16
	v_min_u32_e32 v17, 32, v17
	v_lshrrev_b32_e32 v22, 29, v3
	v_not_b32_e32 v19, v17
	v_alignbit_b32 v15, v16, v15, v19
	v_lshlrev_b32_e32 v16, 31, v22
	v_or_b32_e32 v19, 0x33000000, v16
	v_add_lshl_u32 v17, v17, v18, 23
	v_lshrrev_b32_e32 v15, 9, v15
	v_sub_u32_e32 v17, v19, v17
	v_or_b32_e32 v16, 0.5, v16
	v_lshlrev_b32_e32 v18, 23, v18
	v_or_b32_e32 v15, v17, v15
	v_lshrrev_b32_e32 v17, 9, v20
	v_sub_u32_e32 v16, v16, v18
	v_or_b32_e32 v16, v17, v16
	s_mov_b32 s4, 0x3fc90fda
	v_mul_f32_e32 v17, 0x3fc90fda, v16
	v_fma_f32 v18, v16, s4, -v17
	v_fmac_f32_e32 v18, 0x33a22168, v16
	v_fmac_f32_e32 v18, 0x3fc90fda, v15
	v_lshrrev_b32_e32 v3, 30, v3
	v_add_f32_e32 v15, v17, v18
	v_add_u32_e32 v3, v24, v3
.LBB16_19:
	s_andn2_saveexec_b64 s[4:5], s[14:15]
	s_cbranch_execz .LBB16_21
; %bb.20:
	s_mov_b32 s6, 0x3f22f983
	v_mul_f32_e64 v3, |v10|, s6
	v_rndne_f32_e32 v16, v3
	s_mov_b32 s6, 0xbfc90fda
	v_cvt_i32_f32_e32 v3, v16
	v_fma_f32 v15, v16, s6, |v10|
	v_fmac_f32_e32 v15, 0xb3a22168, v16
	v_fmac_f32_e32 v15, 0xa7c234c4, v16
.LBB16_21:
	s_or_b64 exec, exec, s[4:5]
	v_mul_f32_e32 v16, v15, v15
	v_mov_b32_e32 v17, 0x3c0881c4
	v_fmac_f32_e32 v17, 0xb94c1982, v16
	v_mov_b32_e32 v18, 0xbe2aaa9d
	v_fmac_f32_e32 v18, v16, v17
	v_mul_f32_e32 v17, v16, v18
	v_fmac_f32_e32 v15, v15, v17
	v_mov_b32_e32 v17, 0xbab64f3b
	v_fmac_f32_e32 v17, 0x37d75334, v16
	v_mov_b32_e32 v18, 0x3d2aabf7
	;; [unrolled: 2-line block ×3, first 2 shown]
	v_fmac_f32_e32 v17, v16, v18
	v_fma_f32 v16, v16, v17, 1.0
	v_and_b32_e32 v17, 1, v3
	v_lshlrev_b32_e32 v3, 30, v3
	v_cmp_eq_u32_e64 s[4:5], 0, v17
	v_and_b32_e32 v3, 0x80000000, v3
	v_xor_b32_e32 v2, v2, v10
	v_cndmask_b32_e64 v15, v16, v15, s[4:5]
	v_xor_b32_e32 v2, v2, v3
	s_movk_i32 s4, 0x1f8
	v_xor_b32_e32 v2, v2, v15
	v_mov_b32_e32 v3, 0x7fc00000
	v_cmp_class_f32_e64 s[4:5], v10, s4
	v_cndmask_b32_e64 v2, v3, v2, s[4:5]
	v_cvt_f16_f32_e32 v2, v2
.LBB16_22:
	s_or_b64 exec, exec, s[12:13]
	v_add_u32_e32 v3, 0x100, v7
	v_cmp_lt_i32_e64 s[4:5], v3, v4
                                        ; implicit-def: $vgpr10
	s_and_saveexec_b64 s[12:13], s[4:5]
	s_cbranch_execz .LBB16_28
; %bb.23:
	s_brev_b32 s4, 18
	v_and_b32_e32 v10, 0x7fffffff, v12
	v_cmp_nlt_f32_e64 s[4:5], |v12|, s4
                                        ; implicit-def: $vgpr15
                                        ; implicit-def: $vgpr16
	s_and_saveexec_b64 s[6:7], s[4:5]
	s_xor_b64 s[14:15], exec, s[6:7]
	s_cbranch_execz .LBB16_25
; %bb.24:
	v_and_b32_e32 v15, 0x7fffff, v10
	v_or_b32_e32 v24, 0x800000, v15
	s_mov_b32 s4, 0xfe5163ab
	v_mad_u64_u32 v[15:16], s[4:5], v24, s4, 0
	v_mov_b32_e32 v17, 0
	s_mov_b32 s4, 0x3c439041
	v_mad_u64_u32 v[18:19], s[4:5], v24, s4, v[16:17]
	s_mov_b32 s4, 0xdb629599
	v_not_b32_e32 v23, 63
	v_mov_b32_e32 v16, v19
	v_mad_u64_u32 v[19:20], s[4:5], v24, s4, v[16:17]
	s_mov_b32 s4, 0xf534ddc0
	s_mov_b32 s6, 0x4e441529
	v_mov_b32_e32 v16, v20
	v_mad_u64_u32 v[20:21], s[4:5], v24, s4, v[16:17]
	v_lshrrev_b32_e32 v16, 23, v10
	v_add_u32_e32 v25, 0xffffff88, v16
	v_mov_b32_e32 v16, v21
	s_mov_b32 s4, 0xfc2757d1
	v_mad_u64_u32 v[21:22], s[4:5], v24, s4, v[16:17]
	v_cmp_lt_u32_e64 s[4:5], 63, v25
	v_cndmask_b32_e64 v16, 0, v23, s[4:5]
	v_add_u32_e32 v25, v16, v25
	v_mov_b32_e32 v16, v22
	v_mad_u64_u32 v[22:23], s[6:7], v24, s6, v[16:17]
	v_not_b32_e32 v26, 31
	v_cmp_lt_u32_e64 s[6:7], 31, v25
	v_cndmask_b32_e64 v16, 0, v26, s[6:7]
	v_add_u32_e32 v25, v16, v25
	v_mov_b32_e32 v16, v23
	s_mov_b32 s8, 0xa2f9836e
	v_mad_u64_u32 v[16:17], s[8:9], v24, s8, v[16:17]
	v_cmp_lt_u32_e64 s[8:9], 31, v25
	v_cndmask_b32_e64 v23, 0, v26, s[8:9]
	v_cndmask_b32_e64 v24, v22, v20, s[4:5]
	;; [unrolled: 1-line block ×4, first 2 shown]
	v_add_u32_e32 v23, v23, v25
	v_cndmask_b32_e64 v25, v16, v24, s[6:7]
	v_cndmask_b32_e64 v16, v17, v16, s[6:7]
	;; [unrolled: 1-line block ×6, first 2 shown]
	v_sub_u32_e32 v24, 32, v23
	v_alignbit_b32 v25, v16, v22, v24
	v_cmp_eq_u32_e64 s[10:11], 0, v23
	v_cndmask_b32_e64 v23, v25, v16, s[10:11]
	v_cndmask_b32_e64 v16, v20, v18, s[4:5]
	;; [unrolled: 1-line block ×4, first 2 shown]
	v_alignbit_b32 v20, v22, v18, v24
	v_cndmask_b32_e64 v15, v19, v15, s[4:5]
	v_cndmask_b32_e64 v20, v20, v22, s[10:11]
	v_bfe_u32 v25, v23, 29, 1
	v_cndmask_b32_e64 v15, v16, v15, s[6:7]
	v_alignbit_b32 v21, v23, v20, 30
	v_sub_u32_e32 v26, 0, v25
	v_cndmask_b32_e64 v15, v17, v15, s[8:9]
	v_xor_b32_e32 v21, v21, v26
	v_alignbit_b32 v16, v18, v15, v24
	v_cndmask_b32_e64 v16, v16, v18, s[10:11]
	v_ffbh_u32_e32 v18, v21
	v_alignbit_b32 v17, v20, v16, 30
	v_min_u32_e32 v18, 32, v18
	v_alignbit_b32 v15, v16, v15, 30
	v_xor_b32_e32 v17, v17, v26
	v_sub_u32_e32 v19, 31, v18
	v_xor_b32_e32 v15, v15, v26
	v_alignbit_b32 v20, v21, v17, v19
	v_alignbit_b32 v15, v17, v15, v19
	;; [unrolled: 1-line block ×3, first 2 shown]
	v_ffbh_u32_e32 v17, v16
	v_min_u32_e32 v17, 32, v17
	v_lshrrev_b32_e32 v22, 29, v23
	v_not_b32_e32 v19, v17
	v_alignbit_b32 v15, v16, v15, v19
	v_lshlrev_b32_e32 v16, 31, v22
	v_or_b32_e32 v19, 0x33000000, v16
	v_add_lshl_u32 v17, v17, v18, 23
	v_lshrrev_b32_e32 v15, 9, v15
	v_sub_u32_e32 v17, v19, v17
	v_or_b32_e32 v16, 0.5, v16
	v_lshlrev_b32_e32 v18, 23, v18
	v_or_b32_e32 v15, v17, v15
	v_lshrrev_b32_e32 v17, 9, v20
	v_sub_u32_e32 v16, v16, v18
	v_or_b32_e32 v16, v17, v16
	s_mov_b32 s4, 0x3fc90fda
	v_mul_f32_e32 v17, 0x3fc90fda, v16
	v_fma_f32 v18, v16, s4, -v17
	v_fmac_f32_e32 v18, 0x33a22168, v16
	v_fmac_f32_e32 v18, 0x3fc90fda, v15
	v_lshrrev_b32_e32 v15, 30, v23
	v_add_f32_e32 v16, v17, v18
	v_add_u32_e32 v15, v25, v15
.LBB16_25:
	s_andn2_saveexec_b64 s[4:5], s[14:15]
	s_cbranch_execz .LBB16_27
; %bb.26:
	s_mov_b32 s6, 0x3f22f983
	v_mul_f32_e64 v15, |v12|, s6
	v_rndne_f32_e32 v17, v15
	s_mov_b32 s6, 0xbfc90fda
	v_cvt_i32_f32_e32 v15, v17
	v_fma_f32 v16, v17, s6, |v12|
	v_fmac_f32_e32 v16, 0xb3a22168, v17
	v_fmac_f32_e32 v16, 0xa7c234c4, v17
.LBB16_27:
	s_or_b64 exec, exec, s[4:5]
	v_mul_f32_e32 v17, v16, v16
	v_mov_b32_e32 v18, 0x3c0881c4
	v_fmac_f32_e32 v18, 0xb94c1982, v17
	v_mov_b32_e32 v19, 0xbe2aaa9d
	v_fmac_f32_e32 v19, v17, v18
	v_mul_f32_e32 v18, v17, v19
	v_fmac_f32_e32 v16, v16, v18
	v_mov_b32_e32 v18, 0xbab64f3b
	v_fmac_f32_e32 v18, 0x37d75334, v17
	v_mov_b32_e32 v19, 0x3d2aabf7
	;; [unrolled: 2-line block ×3, first 2 shown]
	v_fmac_f32_e32 v18, v17, v19
	v_fma_f32 v17, v17, v18, 1.0
	v_and_b32_e32 v18, 1, v15
	v_lshlrev_b32_e32 v15, 30, v15
	v_cmp_eq_u32_e64 s[4:5], 0, v18
	v_and_b32_e32 v15, 0x80000000, v15
	v_xor_b32_e32 v10, v10, v12
	v_cndmask_b32_e64 v16, v17, v16, s[4:5]
	v_xor_b32_e32 v10, v10, v15
	s_movk_i32 s4, 0x1f8
	v_xor_b32_e32 v10, v10, v16
	v_mov_b32_e32 v15, 0x7fc00000
	v_cmp_class_f32_e64 s[4:5], v12, s4
	v_cndmask_b32_e64 v10, v15, v10, s[4:5]
	v_cvt_f16_f32_e32 v10, v10
.LBB16_28:
	s_or_b64 exec, exec, s[12:13]
	v_add_u32_e32 v12, 0x200, v7
	v_cmp_lt_i32_e64 s[4:5], v12, v4
                                        ; implicit-def: $vgpr12
	s_and_saveexec_b64 s[12:13], s[4:5]
	s_cbranch_execz .LBB16_34
; %bb.29:
	s_brev_b32 s4, 18
	v_and_b32_e32 v12, 0x7fffffff, v14
	v_cmp_nlt_f32_e64 s[4:5], |v14|, s4
                                        ; implicit-def: $vgpr15
                                        ; implicit-def: $vgpr16
	s_and_saveexec_b64 s[6:7], s[4:5]
	s_xor_b64 s[14:15], exec, s[6:7]
	s_cbranch_execz .LBB16_31
; %bb.30:
	v_and_b32_e32 v15, 0x7fffff, v12
	v_or_b32_e32 v24, 0x800000, v15
	s_mov_b32 s4, 0xfe5163ab
	v_mad_u64_u32 v[15:16], s[4:5], v24, s4, 0
	v_mov_b32_e32 v17, 0
	s_mov_b32 s4, 0x3c439041
	v_mad_u64_u32 v[18:19], s[4:5], v24, s4, v[16:17]
	s_mov_b32 s4, 0xdb629599
	v_not_b32_e32 v23, 63
	v_mov_b32_e32 v16, v19
	v_mad_u64_u32 v[19:20], s[4:5], v24, s4, v[16:17]
	s_mov_b32 s4, 0xf534ddc0
	s_mov_b32 s6, 0x4e441529
	v_mov_b32_e32 v16, v20
	v_mad_u64_u32 v[20:21], s[4:5], v24, s4, v[16:17]
	v_lshrrev_b32_e32 v16, 23, v12
	v_add_u32_e32 v25, 0xffffff88, v16
	v_mov_b32_e32 v16, v21
	s_mov_b32 s4, 0xfc2757d1
	v_mad_u64_u32 v[21:22], s[4:5], v24, s4, v[16:17]
	v_cmp_lt_u32_e64 s[4:5], 63, v25
	v_cndmask_b32_e64 v16, 0, v23, s[4:5]
	v_add_u32_e32 v25, v16, v25
	v_mov_b32_e32 v16, v22
	v_mad_u64_u32 v[22:23], s[6:7], v24, s6, v[16:17]
	v_not_b32_e32 v26, 31
	v_cmp_lt_u32_e64 s[6:7], 31, v25
	v_cndmask_b32_e64 v16, 0, v26, s[6:7]
	v_add_u32_e32 v25, v16, v25
	v_mov_b32_e32 v16, v23
	s_mov_b32 s8, 0xa2f9836e
	v_mad_u64_u32 v[16:17], s[8:9], v24, s8, v[16:17]
	v_cmp_lt_u32_e64 s[8:9], 31, v25
	v_cndmask_b32_e64 v23, 0, v26, s[8:9]
	v_cndmask_b32_e64 v24, v22, v20, s[4:5]
	;; [unrolled: 1-line block ×4, first 2 shown]
	v_add_u32_e32 v23, v23, v25
	v_cndmask_b32_e64 v25, v16, v24, s[6:7]
	v_cndmask_b32_e64 v16, v17, v16, s[6:7]
	;; [unrolled: 1-line block ×6, first 2 shown]
	v_sub_u32_e32 v24, 32, v23
	v_alignbit_b32 v25, v16, v22, v24
	v_cmp_eq_u32_e64 s[10:11], 0, v23
	v_cndmask_b32_e64 v23, v25, v16, s[10:11]
	v_cndmask_b32_e64 v16, v20, v18, s[4:5]
	;; [unrolled: 1-line block ×4, first 2 shown]
	v_alignbit_b32 v20, v22, v18, v24
	v_cndmask_b32_e64 v15, v19, v15, s[4:5]
	v_cndmask_b32_e64 v20, v20, v22, s[10:11]
	v_bfe_u32 v25, v23, 29, 1
	v_cndmask_b32_e64 v15, v16, v15, s[6:7]
	v_alignbit_b32 v21, v23, v20, 30
	v_sub_u32_e32 v26, 0, v25
	v_cndmask_b32_e64 v15, v17, v15, s[8:9]
	v_xor_b32_e32 v21, v21, v26
	v_alignbit_b32 v16, v18, v15, v24
	v_cndmask_b32_e64 v16, v16, v18, s[10:11]
	v_ffbh_u32_e32 v18, v21
	v_alignbit_b32 v17, v20, v16, 30
	v_min_u32_e32 v18, 32, v18
	v_alignbit_b32 v15, v16, v15, 30
	v_xor_b32_e32 v17, v17, v26
	v_sub_u32_e32 v19, 31, v18
	v_xor_b32_e32 v15, v15, v26
	v_alignbit_b32 v20, v21, v17, v19
	v_alignbit_b32 v15, v17, v15, v19
	;; [unrolled: 1-line block ×3, first 2 shown]
	v_ffbh_u32_e32 v17, v16
	v_min_u32_e32 v17, 32, v17
	v_lshrrev_b32_e32 v22, 29, v23
	v_not_b32_e32 v19, v17
	v_alignbit_b32 v15, v16, v15, v19
	v_lshlrev_b32_e32 v16, 31, v22
	v_or_b32_e32 v19, 0x33000000, v16
	v_add_lshl_u32 v17, v17, v18, 23
	v_lshrrev_b32_e32 v15, 9, v15
	v_sub_u32_e32 v17, v19, v17
	v_or_b32_e32 v16, 0.5, v16
	v_lshlrev_b32_e32 v18, 23, v18
	v_or_b32_e32 v15, v17, v15
	v_lshrrev_b32_e32 v17, 9, v20
	v_sub_u32_e32 v16, v16, v18
	v_or_b32_e32 v16, v17, v16
	s_mov_b32 s4, 0x3fc90fda
	v_mul_f32_e32 v17, 0x3fc90fda, v16
	v_fma_f32 v18, v16, s4, -v17
	v_fmac_f32_e32 v18, 0x33a22168, v16
	v_fmac_f32_e32 v18, 0x3fc90fda, v15
	v_lshrrev_b32_e32 v15, 30, v23
	v_add_f32_e32 v16, v17, v18
	v_add_u32_e32 v15, v25, v15
.LBB16_31:
	s_andn2_saveexec_b64 s[4:5], s[14:15]
	s_cbranch_execz .LBB16_33
; %bb.32:
	s_mov_b32 s6, 0x3f22f983
	v_mul_f32_e64 v15, |v14|, s6
	v_rndne_f32_e32 v17, v15
	s_mov_b32 s6, 0xbfc90fda
	v_cvt_i32_f32_e32 v15, v17
	v_fma_f32 v16, v17, s6, |v14|
	v_fmac_f32_e32 v16, 0xb3a22168, v17
	v_fmac_f32_e32 v16, 0xa7c234c4, v17
.LBB16_33:
	s_or_b64 exec, exec, s[4:5]
	v_mul_f32_e32 v17, v16, v16
	v_mov_b32_e32 v18, 0x3c0881c4
	v_fmac_f32_e32 v18, 0xb94c1982, v17
	v_mov_b32_e32 v19, 0xbe2aaa9d
	v_fmac_f32_e32 v19, v17, v18
	v_mul_f32_e32 v18, v17, v19
	v_fmac_f32_e32 v16, v16, v18
	v_mov_b32_e32 v18, 0xbab64f3b
	v_fmac_f32_e32 v18, 0x37d75334, v17
	v_mov_b32_e32 v19, 0x3d2aabf7
	;; [unrolled: 2-line block ×3, first 2 shown]
	v_fmac_f32_e32 v18, v17, v19
	v_fma_f32 v17, v17, v18, 1.0
	v_and_b32_e32 v18, 1, v15
	v_lshlrev_b32_e32 v15, 30, v15
	v_cmp_eq_u32_e64 s[4:5], 0, v18
	v_and_b32_e32 v15, 0x80000000, v15
	v_xor_b32_e32 v12, v12, v14
	v_cndmask_b32_e64 v16, v17, v16, s[4:5]
	v_xor_b32_e32 v12, v12, v15
	s_movk_i32 s4, 0x1f8
	v_xor_b32_e32 v12, v12, v16
	v_mov_b32_e32 v15, 0x7fc00000
	v_cmp_class_f32_e64 s[4:5], v14, s4
	v_cndmask_b32_e64 v12, v15, v12, s[4:5]
	v_cvt_f16_f32_e32 v12, v12
.LBB16_34:
	s_or_b64 exec, exec, s[12:13]
	v_add_u32_e32 v14, 0x300, v7
	v_cmp_lt_i32_e64 s[4:5], v14, v4
                                        ; implicit-def: $vgpr14
	s_and_saveexec_b64 s[12:13], s[4:5]
	s_cbranch_execz .LBB16_40
; %bb.35:
	s_brev_b32 s4, 18
	v_and_b32_e32 v14, 0x7fffffff, v13
	v_cmp_nlt_f32_e64 s[4:5], |v13|, s4
                                        ; implicit-def: $vgpr15
                                        ; implicit-def: $vgpr16
	s_and_saveexec_b64 s[6:7], s[4:5]
	s_xor_b64 s[14:15], exec, s[6:7]
	s_cbranch_execz .LBB16_37
; %bb.36:
	v_and_b32_e32 v15, 0x7fffff, v14
	v_or_b32_e32 v24, 0x800000, v15
	s_mov_b32 s4, 0xfe5163ab
	v_mad_u64_u32 v[15:16], s[4:5], v24, s4, 0
	v_mov_b32_e32 v17, 0
	s_mov_b32 s4, 0x3c439041
	v_mad_u64_u32 v[18:19], s[4:5], v24, s4, v[16:17]
	s_mov_b32 s4, 0xdb629599
	v_not_b32_e32 v23, 63
	v_mov_b32_e32 v16, v19
	v_mad_u64_u32 v[19:20], s[4:5], v24, s4, v[16:17]
	s_mov_b32 s4, 0xf534ddc0
	s_mov_b32 s6, 0x4e441529
	v_mov_b32_e32 v16, v20
	v_mad_u64_u32 v[20:21], s[4:5], v24, s4, v[16:17]
	v_lshrrev_b32_e32 v16, 23, v14
	v_add_u32_e32 v25, 0xffffff88, v16
	v_mov_b32_e32 v16, v21
	s_mov_b32 s4, 0xfc2757d1
	v_mad_u64_u32 v[21:22], s[4:5], v24, s4, v[16:17]
	v_cmp_lt_u32_e64 s[4:5], 63, v25
	v_cndmask_b32_e64 v16, 0, v23, s[4:5]
	v_add_u32_e32 v25, v16, v25
	v_mov_b32_e32 v16, v22
	v_mad_u64_u32 v[22:23], s[6:7], v24, s6, v[16:17]
	v_not_b32_e32 v26, 31
	v_cmp_lt_u32_e64 s[6:7], 31, v25
	v_cndmask_b32_e64 v16, 0, v26, s[6:7]
	v_add_u32_e32 v25, v16, v25
	v_mov_b32_e32 v16, v23
	s_mov_b32 s8, 0xa2f9836e
	v_mad_u64_u32 v[16:17], s[8:9], v24, s8, v[16:17]
	v_cmp_lt_u32_e64 s[8:9], 31, v25
	v_cndmask_b32_e64 v23, 0, v26, s[8:9]
	v_cndmask_b32_e64 v24, v22, v20, s[4:5]
	;; [unrolled: 1-line block ×4, first 2 shown]
	v_add_u32_e32 v23, v23, v25
	v_cndmask_b32_e64 v25, v16, v24, s[6:7]
	v_cndmask_b32_e64 v16, v17, v16, s[6:7]
	;; [unrolled: 1-line block ×6, first 2 shown]
	v_sub_u32_e32 v24, 32, v23
	v_alignbit_b32 v25, v16, v22, v24
	v_cmp_eq_u32_e64 s[10:11], 0, v23
	v_cndmask_b32_e64 v23, v25, v16, s[10:11]
	v_cndmask_b32_e64 v16, v20, v18, s[4:5]
	;; [unrolled: 1-line block ×4, first 2 shown]
	v_alignbit_b32 v20, v22, v18, v24
	v_cndmask_b32_e64 v15, v19, v15, s[4:5]
	v_cndmask_b32_e64 v20, v20, v22, s[10:11]
	v_bfe_u32 v25, v23, 29, 1
	v_cndmask_b32_e64 v15, v16, v15, s[6:7]
	v_alignbit_b32 v21, v23, v20, 30
	v_sub_u32_e32 v26, 0, v25
	v_cndmask_b32_e64 v15, v17, v15, s[8:9]
	v_xor_b32_e32 v21, v21, v26
	v_alignbit_b32 v16, v18, v15, v24
	v_cndmask_b32_e64 v16, v16, v18, s[10:11]
	v_ffbh_u32_e32 v18, v21
	v_alignbit_b32 v17, v20, v16, 30
	v_min_u32_e32 v18, 32, v18
	v_alignbit_b32 v15, v16, v15, 30
	v_xor_b32_e32 v17, v17, v26
	v_sub_u32_e32 v19, 31, v18
	v_xor_b32_e32 v15, v15, v26
	v_alignbit_b32 v20, v21, v17, v19
	v_alignbit_b32 v15, v17, v15, v19
	;; [unrolled: 1-line block ×3, first 2 shown]
	v_ffbh_u32_e32 v17, v16
	v_min_u32_e32 v17, 32, v17
	v_lshrrev_b32_e32 v22, 29, v23
	v_not_b32_e32 v19, v17
	v_alignbit_b32 v15, v16, v15, v19
	v_lshlrev_b32_e32 v16, 31, v22
	v_or_b32_e32 v19, 0x33000000, v16
	v_add_lshl_u32 v17, v17, v18, 23
	v_lshrrev_b32_e32 v15, 9, v15
	v_sub_u32_e32 v17, v19, v17
	v_or_b32_e32 v16, 0.5, v16
	v_lshlrev_b32_e32 v18, 23, v18
	v_or_b32_e32 v15, v17, v15
	v_lshrrev_b32_e32 v17, 9, v20
	v_sub_u32_e32 v16, v16, v18
	v_or_b32_e32 v16, v17, v16
	s_mov_b32 s4, 0x3fc90fda
	v_mul_f32_e32 v17, 0x3fc90fda, v16
	v_fma_f32 v18, v16, s4, -v17
	v_fmac_f32_e32 v18, 0x33a22168, v16
	v_fmac_f32_e32 v18, 0x3fc90fda, v15
	v_lshrrev_b32_e32 v15, 30, v23
	v_add_f32_e32 v16, v17, v18
	v_add_u32_e32 v15, v25, v15
.LBB16_37:
	s_andn2_saveexec_b64 s[4:5], s[14:15]
	s_cbranch_execz .LBB16_39
; %bb.38:
	s_mov_b32 s6, 0x3f22f983
	v_mul_f32_e64 v15, |v13|, s6
	v_rndne_f32_e32 v17, v15
	s_mov_b32 s6, 0xbfc90fda
	v_cvt_i32_f32_e32 v15, v17
	v_fma_f32 v16, v17, s6, |v13|
	v_fmac_f32_e32 v16, 0xb3a22168, v17
	v_fmac_f32_e32 v16, 0xa7c234c4, v17
.LBB16_39:
	s_or_b64 exec, exec, s[4:5]
	v_mul_f32_e32 v17, v16, v16
	v_mov_b32_e32 v18, 0x3c0881c4
	v_fmac_f32_e32 v18, 0xb94c1982, v17
	v_mov_b32_e32 v19, 0xbe2aaa9d
	v_fmac_f32_e32 v19, v17, v18
	v_mul_f32_e32 v18, v17, v19
	v_fmac_f32_e32 v16, v16, v18
	v_mov_b32_e32 v18, 0xbab64f3b
	v_fmac_f32_e32 v18, 0x37d75334, v17
	v_mov_b32_e32 v19, 0x3d2aabf7
	;; [unrolled: 2-line block ×3, first 2 shown]
	v_fmac_f32_e32 v18, v17, v19
	v_fma_f32 v17, v17, v18, 1.0
	v_and_b32_e32 v18, 1, v15
	v_lshlrev_b32_e32 v15, 30, v15
	v_cmp_eq_u32_e64 s[4:5], 0, v18
	v_and_b32_e32 v15, 0x80000000, v15
	v_xor_b32_e32 v14, v14, v13
	v_cndmask_b32_e64 v16, v17, v16, s[4:5]
	v_xor_b32_e32 v14, v14, v15
	s_movk_i32 s4, 0x1f8
	v_xor_b32_e32 v14, v14, v16
	v_mov_b32_e32 v15, 0x7fc00000
	v_cmp_class_f32_e64 s[4:5], v13, s4
	v_cndmask_b32_e64 v13, v15, v14, s[4:5]
	v_cvt_f16_f32_e32 v14, v13
.LBB16_40:
	s_or_b64 exec, exec, s[12:13]
	v_or_b32_e32 v13, 0x400, v7
	v_cmp_lt_i32_e64 s[4:5], v13, v4
                                        ; implicit-def: $vgpr13
	s_and_saveexec_b64 s[12:13], s[4:5]
	s_cbranch_execz .LBB16_46
; %bb.41:
	s_brev_b32 s4, 18
	v_and_b32_e32 v13, 0x7fffffff, v11
	v_cmp_nlt_f32_e64 s[4:5], |v11|, s4
                                        ; implicit-def: $vgpr15
                                        ; implicit-def: $vgpr16
	s_and_saveexec_b64 s[6:7], s[4:5]
	s_xor_b64 s[14:15], exec, s[6:7]
	s_cbranch_execz .LBB16_43
; %bb.42:
	v_and_b32_e32 v15, 0x7fffff, v13
	v_or_b32_e32 v24, 0x800000, v15
	s_mov_b32 s4, 0xfe5163ab
	v_mad_u64_u32 v[15:16], s[4:5], v24, s4, 0
	v_mov_b32_e32 v17, 0
	s_mov_b32 s4, 0x3c439041
	v_mad_u64_u32 v[18:19], s[4:5], v24, s4, v[16:17]
	s_mov_b32 s4, 0xdb629599
	v_not_b32_e32 v23, 63
	v_mov_b32_e32 v16, v19
	v_mad_u64_u32 v[19:20], s[4:5], v24, s4, v[16:17]
	s_mov_b32 s4, 0xf534ddc0
	s_mov_b32 s6, 0x4e441529
	v_mov_b32_e32 v16, v20
	v_mad_u64_u32 v[20:21], s[4:5], v24, s4, v[16:17]
	v_lshrrev_b32_e32 v16, 23, v13
	v_add_u32_e32 v25, 0xffffff88, v16
	v_mov_b32_e32 v16, v21
	s_mov_b32 s4, 0xfc2757d1
	v_mad_u64_u32 v[21:22], s[4:5], v24, s4, v[16:17]
	v_cmp_lt_u32_e64 s[4:5], 63, v25
	v_cndmask_b32_e64 v16, 0, v23, s[4:5]
	v_add_u32_e32 v25, v16, v25
	v_mov_b32_e32 v16, v22
	v_mad_u64_u32 v[22:23], s[6:7], v24, s6, v[16:17]
	v_not_b32_e32 v26, 31
	v_cmp_lt_u32_e64 s[6:7], 31, v25
	v_cndmask_b32_e64 v16, 0, v26, s[6:7]
	v_add_u32_e32 v25, v16, v25
	v_mov_b32_e32 v16, v23
	s_mov_b32 s8, 0xa2f9836e
	v_mad_u64_u32 v[16:17], s[8:9], v24, s8, v[16:17]
	v_cmp_lt_u32_e64 s[8:9], 31, v25
	v_cndmask_b32_e64 v23, 0, v26, s[8:9]
	v_cndmask_b32_e64 v24, v22, v20, s[4:5]
	;; [unrolled: 1-line block ×4, first 2 shown]
	v_add_u32_e32 v23, v23, v25
	v_cndmask_b32_e64 v25, v16, v24, s[6:7]
	v_cndmask_b32_e64 v16, v17, v16, s[6:7]
	v_cndmask_b32_e64 v17, v21, v19, s[4:5]
	v_cndmask_b32_e64 v21, v24, v17, s[6:7]
	v_cndmask_b32_e64 v16, v16, v25, s[8:9]
	v_cndmask_b32_e64 v22, v25, v21, s[8:9]
	v_sub_u32_e32 v24, 32, v23
	v_alignbit_b32 v25, v16, v22, v24
	v_cmp_eq_u32_e64 s[10:11], 0, v23
	v_cndmask_b32_e64 v23, v25, v16, s[10:11]
	v_cndmask_b32_e64 v16, v20, v18, s[4:5]
	;; [unrolled: 1-line block ×4, first 2 shown]
	v_alignbit_b32 v20, v22, v18, v24
	v_cndmask_b32_e64 v15, v19, v15, s[4:5]
	v_cndmask_b32_e64 v20, v20, v22, s[10:11]
	v_bfe_u32 v25, v23, 29, 1
	v_cndmask_b32_e64 v15, v16, v15, s[6:7]
	v_alignbit_b32 v21, v23, v20, 30
	v_sub_u32_e32 v26, 0, v25
	v_cndmask_b32_e64 v15, v17, v15, s[8:9]
	v_xor_b32_e32 v21, v21, v26
	v_alignbit_b32 v16, v18, v15, v24
	v_cndmask_b32_e64 v16, v16, v18, s[10:11]
	v_ffbh_u32_e32 v18, v21
	v_alignbit_b32 v17, v20, v16, 30
	v_min_u32_e32 v18, 32, v18
	v_alignbit_b32 v15, v16, v15, 30
	v_xor_b32_e32 v17, v17, v26
	v_sub_u32_e32 v19, 31, v18
	v_xor_b32_e32 v15, v15, v26
	v_alignbit_b32 v20, v21, v17, v19
	v_alignbit_b32 v15, v17, v15, v19
	v_alignbit_b32 v16, v20, v15, 9
	v_ffbh_u32_e32 v17, v16
	v_min_u32_e32 v17, 32, v17
	v_lshrrev_b32_e32 v22, 29, v23
	v_not_b32_e32 v19, v17
	v_alignbit_b32 v15, v16, v15, v19
	v_lshlrev_b32_e32 v16, 31, v22
	v_or_b32_e32 v19, 0x33000000, v16
	v_add_lshl_u32 v17, v17, v18, 23
	v_lshrrev_b32_e32 v15, 9, v15
	v_sub_u32_e32 v17, v19, v17
	v_or_b32_e32 v16, 0.5, v16
	v_lshlrev_b32_e32 v18, 23, v18
	v_or_b32_e32 v15, v17, v15
	v_lshrrev_b32_e32 v17, 9, v20
	v_sub_u32_e32 v16, v16, v18
	v_or_b32_e32 v16, v17, v16
	s_mov_b32 s4, 0x3fc90fda
	v_mul_f32_e32 v17, 0x3fc90fda, v16
	v_fma_f32 v18, v16, s4, -v17
	v_fmac_f32_e32 v18, 0x33a22168, v16
	v_fmac_f32_e32 v18, 0x3fc90fda, v15
	v_lshrrev_b32_e32 v15, 30, v23
	v_add_f32_e32 v16, v17, v18
	v_add_u32_e32 v15, v25, v15
.LBB16_43:
	s_andn2_saveexec_b64 s[4:5], s[14:15]
	s_cbranch_execz .LBB16_45
; %bb.44:
	s_mov_b32 s6, 0x3f22f983
	v_mul_f32_e64 v15, |v11|, s6
	v_rndne_f32_e32 v17, v15
	s_mov_b32 s6, 0xbfc90fda
	v_cvt_i32_f32_e32 v15, v17
	v_fma_f32 v16, v17, s6, |v11|
	v_fmac_f32_e32 v16, 0xb3a22168, v17
	v_fmac_f32_e32 v16, 0xa7c234c4, v17
.LBB16_45:
	s_or_b64 exec, exec, s[4:5]
	v_mul_f32_e32 v17, v16, v16
	v_mov_b32_e32 v18, 0x3c0881c4
	v_fmac_f32_e32 v18, 0xb94c1982, v17
	v_mov_b32_e32 v19, 0xbe2aaa9d
	v_fmac_f32_e32 v19, v17, v18
	v_mul_f32_e32 v18, v17, v19
	v_fmac_f32_e32 v16, v16, v18
	v_mov_b32_e32 v18, 0xbab64f3b
	v_fmac_f32_e32 v18, 0x37d75334, v17
	v_mov_b32_e32 v19, 0x3d2aabf7
	;; [unrolled: 2-line block ×3, first 2 shown]
	v_fmac_f32_e32 v18, v17, v19
	v_fma_f32 v17, v17, v18, 1.0
	v_and_b32_e32 v18, 1, v15
	v_lshlrev_b32_e32 v15, 30, v15
	v_cmp_eq_u32_e64 s[4:5], 0, v18
	v_and_b32_e32 v15, 0x80000000, v15
	v_xor_b32_e32 v13, v13, v11
	v_cndmask_b32_e64 v16, v17, v16, s[4:5]
	v_xor_b32_e32 v13, v13, v15
	s_movk_i32 s4, 0x1f8
	v_xor_b32_e32 v13, v13, v16
	v_mov_b32_e32 v15, 0x7fc00000
	v_cmp_class_f32_e64 s[4:5], v11, s4
	v_cndmask_b32_e64 v11, v15, v13, s[4:5]
	v_cvt_f16_f32_e32 v13, v11
.LBB16_46:
	s_or_b64 exec, exec, s[12:13]
	v_add_u32_e32 v11, 0x500, v7
	v_cmp_lt_i32_e64 s[4:5], v11, v4
                                        ; implicit-def: $vgpr11
	s_and_saveexec_b64 s[12:13], s[4:5]
	s_cbranch_execz .LBB16_52
; %bb.47:
	s_brev_b32 s4, 18
	v_and_b32_e32 v11, 0x7fffffff, v9
	v_cmp_nlt_f32_e64 s[4:5], |v9|, s4
                                        ; implicit-def: $vgpr15
                                        ; implicit-def: $vgpr16
	s_and_saveexec_b64 s[6:7], s[4:5]
	s_xor_b64 s[14:15], exec, s[6:7]
	s_cbranch_execz .LBB16_49
; %bb.48:
	v_and_b32_e32 v15, 0x7fffff, v11
	v_or_b32_e32 v24, 0x800000, v15
	s_mov_b32 s4, 0xfe5163ab
	v_mad_u64_u32 v[15:16], s[4:5], v24, s4, 0
	v_mov_b32_e32 v17, 0
	s_mov_b32 s4, 0x3c439041
	v_mad_u64_u32 v[18:19], s[4:5], v24, s4, v[16:17]
	s_mov_b32 s4, 0xdb629599
	v_not_b32_e32 v23, 63
	v_mov_b32_e32 v16, v19
	v_mad_u64_u32 v[19:20], s[4:5], v24, s4, v[16:17]
	s_mov_b32 s4, 0xf534ddc0
	s_mov_b32 s6, 0x4e441529
	v_mov_b32_e32 v16, v20
	v_mad_u64_u32 v[20:21], s[4:5], v24, s4, v[16:17]
	v_lshrrev_b32_e32 v16, 23, v11
	v_add_u32_e32 v25, 0xffffff88, v16
	v_mov_b32_e32 v16, v21
	s_mov_b32 s4, 0xfc2757d1
	v_mad_u64_u32 v[21:22], s[4:5], v24, s4, v[16:17]
	v_cmp_lt_u32_e64 s[4:5], 63, v25
	v_cndmask_b32_e64 v16, 0, v23, s[4:5]
	v_add_u32_e32 v25, v16, v25
	v_mov_b32_e32 v16, v22
	v_mad_u64_u32 v[22:23], s[6:7], v24, s6, v[16:17]
	v_not_b32_e32 v26, 31
	v_cmp_lt_u32_e64 s[6:7], 31, v25
	v_cndmask_b32_e64 v16, 0, v26, s[6:7]
	v_add_u32_e32 v25, v16, v25
	v_mov_b32_e32 v16, v23
	s_mov_b32 s8, 0xa2f9836e
	v_mad_u64_u32 v[16:17], s[8:9], v24, s8, v[16:17]
	v_cmp_lt_u32_e64 s[8:9], 31, v25
	v_cndmask_b32_e64 v23, 0, v26, s[8:9]
	v_cndmask_b32_e64 v24, v22, v20, s[4:5]
	;; [unrolled: 1-line block ×4, first 2 shown]
	v_add_u32_e32 v23, v23, v25
	v_cndmask_b32_e64 v25, v16, v24, s[6:7]
	v_cndmask_b32_e64 v16, v17, v16, s[6:7]
	;; [unrolled: 1-line block ×6, first 2 shown]
	v_sub_u32_e32 v24, 32, v23
	v_alignbit_b32 v25, v16, v22, v24
	v_cmp_eq_u32_e64 s[10:11], 0, v23
	v_cndmask_b32_e64 v23, v25, v16, s[10:11]
	v_cndmask_b32_e64 v16, v20, v18, s[4:5]
	;; [unrolled: 1-line block ×4, first 2 shown]
	v_alignbit_b32 v20, v22, v18, v24
	v_cndmask_b32_e64 v15, v19, v15, s[4:5]
	v_cndmask_b32_e64 v20, v20, v22, s[10:11]
	v_bfe_u32 v25, v23, 29, 1
	v_cndmask_b32_e64 v15, v16, v15, s[6:7]
	v_alignbit_b32 v21, v23, v20, 30
	v_sub_u32_e32 v26, 0, v25
	v_cndmask_b32_e64 v15, v17, v15, s[8:9]
	v_xor_b32_e32 v21, v21, v26
	v_alignbit_b32 v16, v18, v15, v24
	v_cndmask_b32_e64 v16, v16, v18, s[10:11]
	v_ffbh_u32_e32 v18, v21
	v_alignbit_b32 v17, v20, v16, 30
	v_min_u32_e32 v18, 32, v18
	v_alignbit_b32 v15, v16, v15, 30
	v_xor_b32_e32 v17, v17, v26
	v_sub_u32_e32 v19, 31, v18
	v_xor_b32_e32 v15, v15, v26
	v_alignbit_b32 v20, v21, v17, v19
	v_alignbit_b32 v15, v17, v15, v19
	;; [unrolled: 1-line block ×3, first 2 shown]
	v_ffbh_u32_e32 v17, v16
	v_min_u32_e32 v17, 32, v17
	v_lshrrev_b32_e32 v22, 29, v23
	v_not_b32_e32 v19, v17
	v_alignbit_b32 v15, v16, v15, v19
	v_lshlrev_b32_e32 v16, 31, v22
	v_or_b32_e32 v19, 0x33000000, v16
	v_add_lshl_u32 v17, v17, v18, 23
	v_lshrrev_b32_e32 v15, 9, v15
	v_sub_u32_e32 v17, v19, v17
	v_or_b32_e32 v16, 0.5, v16
	v_lshlrev_b32_e32 v18, 23, v18
	v_or_b32_e32 v15, v17, v15
	v_lshrrev_b32_e32 v17, 9, v20
	v_sub_u32_e32 v16, v16, v18
	v_or_b32_e32 v16, v17, v16
	s_mov_b32 s4, 0x3fc90fda
	v_mul_f32_e32 v17, 0x3fc90fda, v16
	v_fma_f32 v18, v16, s4, -v17
	v_fmac_f32_e32 v18, 0x33a22168, v16
	v_fmac_f32_e32 v18, 0x3fc90fda, v15
	v_lshrrev_b32_e32 v15, 30, v23
	v_add_f32_e32 v16, v17, v18
	v_add_u32_e32 v15, v25, v15
.LBB16_49:
	s_andn2_saveexec_b64 s[4:5], s[14:15]
	s_cbranch_execz .LBB16_51
; %bb.50:
	s_mov_b32 s6, 0x3f22f983
	v_mul_f32_e64 v15, |v9|, s6
	v_rndne_f32_e32 v17, v15
	s_mov_b32 s6, 0xbfc90fda
	v_cvt_i32_f32_e32 v15, v17
	v_fma_f32 v16, v17, s6, |v9|
	v_fmac_f32_e32 v16, 0xb3a22168, v17
	v_fmac_f32_e32 v16, 0xa7c234c4, v17
.LBB16_51:
	s_or_b64 exec, exec, s[4:5]
	v_mul_f32_e32 v17, v16, v16
	v_mov_b32_e32 v18, 0x3c0881c4
	v_fmac_f32_e32 v18, 0xb94c1982, v17
	v_mov_b32_e32 v19, 0xbe2aaa9d
	v_fmac_f32_e32 v19, v17, v18
	v_mul_f32_e32 v18, v17, v19
	v_fmac_f32_e32 v16, v16, v18
	v_mov_b32_e32 v18, 0xbab64f3b
	v_fmac_f32_e32 v18, 0x37d75334, v17
	v_mov_b32_e32 v19, 0x3d2aabf7
	;; [unrolled: 2-line block ×3, first 2 shown]
	v_fmac_f32_e32 v18, v17, v19
	v_fma_f32 v17, v17, v18, 1.0
	v_and_b32_e32 v18, 1, v15
	v_lshlrev_b32_e32 v15, 30, v15
	v_cmp_eq_u32_e64 s[4:5], 0, v18
	v_and_b32_e32 v15, 0x80000000, v15
	v_xor_b32_e32 v11, v11, v9
	v_cndmask_b32_e64 v16, v17, v16, s[4:5]
	v_xor_b32_e32 v11, v11, v15
	s_movk_i32 s4, 0x1f8
	v_xor_b32_e32 v11, v11, v16
	v_mov_b32_e32 v15, 0x7fc00000
	v_cmp_class_f32_e64 s[4:5], v9, s4
	v_cndmask_b32_e64 v9, v15, v11, s[4:5]
	v_cvt_f16_f32_e32 v11, v9
.LBB16_52:
	s_or_b64 exec, exec, s[12:13]
	v_add_u32_e32 v9, 0x600, v7
	v_cmp_lt_i32_e64 s[4:5], v9, v4
                                        ; implicit-def: $vgpr9
	s_and_saveexec_b64 s[12:13], s[4:5]
	s_cbranch_execz .LBB16_58
; %bb.53:
	s_brev_b32 s4, 18
	v_and_b32_e32 v9, 0x7fffffff, v8
	v_cmp_nlt_f32_e64 s[4:5], |v8|, s4
                                        ; implicit-def: $vgpr15
                                        ; implicit-def: $vgpr16
	s_and_saveexec_b64 s[6:7], s[4:5]
	s_xor_b64 s[14:15], exec, s[6:7]
	s_cbranch_execz .LBB16_55
; %bb.54:
	v_and_b32_e32 v15, 0x7fffff, v9
	v_or_b32_e32 v24, 0x800000, v15
	s_mov_b32 s4, 0xfe5163ab
	v_mad_u64_u32 v[15:16], s[4:5], v24, s4, 0
	v_mov_b32_e32 v17, 0
	s_mov_b32 s4, 0x3c439041
	v_mad_u64_u32 v[18:19], s[4:5], v24, s4, v[16:17]
	s_mov_b32 s4, 0xdb629599
	v_not_b32_e32 v23, 63
	v_mov_b32_e32 v16, v19
	v_mad_u64_u32 v[19:20], s[4:5], v24, s4, v[16:17]
	s_mov_b32 s4, 0xf534ddc0
	s_mov_b32 s6, 0x4e441529
	v_mov_b32_e32 v16, v20
	v_mad_u64_u32 v[20:21], s[4:5], v24, s4, v[16:17]
	v_lshrrev_b32_e32 v16, 23, v9
	v_add_u32_e32 v25, 0xffffff88, v16
	v_mov_b32_e32 v16, v21
	s_mov_b32 s4, 0xfc2757d1
	v_mad_u64_u32 v[21:22], s[4:5], v24, s4, v[16:17]
	v_cmp_lt_u32_e64 s[4:5], 63, v25
	v_cndmask_b32_e64 v16, 0, v23, s[4:5]
	v_add_u32_e32 v25, v16, v25
	v_mov_b32_e32 v16, v22
	v_mad_u64_u32 v[22:23], s[6:7], v24, s6, v[16:17]
	v_not_b32_e32 v26, 31
	v_cmp_lt_u32_e64 s[6:7], 31, v25
	v_cndmask_b32_e64 v16, 0, v26, s[6:7]
	v_add_u32_e32 v25, v16, v25
	v_mov_b32_e32 v16, v23
	s_mov_b32 s8, 0xa2f9836e
	v_mad_u64_u32 v[16:17], s[8:9], v24, s8, v[16:17]
	v_cmp_lt_u32_e64 s[8:9], 31, v25
	v_cndmask_b32_e64 v23, 0, v26, s[8:9]
	v_cndmask_b32_e64 v24, v22, v20, s[4:5]
	;; [unrolled: 1-line block ×4, first 2 shown]
	v_add_u32_e32 v23, v23, v25
	v_cndmask_b32_e64 v25, v16, v24, s[6:7]
	v_cndmask_b32_e64 v16, v17, v16, s[6:7]
	;; [unrolled: 1-line block ×6, first 2 shown]
	v_sub_u32_e32 v24, 32, v23
	v_alignbit_b32 v25, v16, v22, v24
	v_cmp_eq_u32_e64 s[10:11], 0, v23
	v_cndmask_b32_e64 v23, v25, v16, s[10:11]
	v_cndmask_b32_e64 v16, v20, v18, s[4:5]
	;; [unrolled: 1-line block ×4, first 2 shown]
	v_alignbit_b32 v20, v22, v18, v24
	v_cndmask_b32_e64 v15, v19, v15, s[4:5]
	v_cndmask_b32_e64 v20, v20, v22, s[10:11]
	v_bfe_u32 v25, v23, 29, 1
	v_cndmask_b32_e64 v15, v16, v15, s[6:7]
	v_alignbit_b32 v21, v23, v20, 30
	v_sub_u32_e32 v26, 0, v25
	v_cndmask_b32_e64 v15, v17, v15, s[8:9]
	v_xor_b32_e32 v21, v21, v26
	v_alignbit_b32 v16, v18, v15, v24
	v_cndmask_b32_e64 v16, v16, v18, s[10:11]
	v_ffbh_u32_e32 v18, v21
	v_alignbit_b32 v17, v20, v16, 30
	v_min_u32_e32 v18, 32, v18
	v_alignbit_b32 v15, v16, v15, 30
	v_xor_b32_e32 v17, v17, v26
	v_sub_u32_e32 v19, 31, v18
	v_xor_b32_e32 v15, v15, v26
	v_alignbit_b32 v20, v21, v17, v19
	v_alignbit_b32 v15, v17, v15, v19
	;; [unrolled: 1-line block ×3, first 2 shown]
	v_ffbh_u32_e32 v17, v16
	v_min_u32_e32 v17, 32, v17
	v_lshrrev_b32_e32 v22, 29, v23
	v_not_b32_e32 v19, v17
	v_alignbit_b32 v15, v16, v15, v19
	v_lshlrev_b32_e32 v16, 31, v22
	v_or_b32_e32 v19, 0x33000000, v16
	v_add_lshl_u32 v17, v17, v18, 23
	v_lshrrev_b32_e32 v15, 9, v15
	v_sub_u32_e32 v17, v19, v17
	v_or_b32_e32 v16, 0.5, v16
	v_lshlrev_b32_e32 v18, 23, v18
	v_or_b32_e32 v15, v17, v15
	v_lshrrev_b32_e32 v17, 9, v20
	v_sub_u32_e32 v16, v16, v18
	v_or_b32_e32 v16, v17, v16
	s_mov_b32 s4, 0x3fc90fda
	v_mul_f32_e32 v17, 0x3fc90fda, v16
	v_fma_f32 v18, v16, s4, -v17
	v_fmac_f32_e32 v18, 0x33a22168, v16
	v_fmac_f32_e32 v18, 0x3fc90fda, v15
	v_lshrrev_b32_e32 v15, 30, v23
	v_add_f32_e32 v16, v17, v18
	v_add_u32_e32 v15, v25, v15
.LBB16_55:
	s_andn2_saveexec_b64 s[4:5], s[14:15]
	s_cbranch_execz .LBB16_57
; %bb.56:
	s_mov_b32 s6, 0x3f22f983
	v_mul_f32_e64 v15, |v8|, s6
	v_rndne_f32_e32 v17, v15
	s_mov_b32 s6, 0xbfc90fda
	v_cvt_i32_f32_e32 v15, v17
	v_fma_f32 v16, v17, s6, |v8|
	v_fmac_f32_e32 v16, 0xb3a22168, v17
	v_fmac_f32_e32 v16, 0xa7c234c4, v17
.LBB16_57:
	s_or_b64 exec, exec, s[4:5]
	v_mul_f32_e32 v17, v16, v16
	v_mov_b32_e32 v18, 0x3c0881c4
	v_fmac_f32_e32 v18, 0xb94c1982, v17
	v_mov_b32_e32 v19, 0xbe2aaa9d
	v_fmac_f32_e32 v19, v17, v18
	v_mul_f32_e32 v18, v17, v19
	v_fmac_f32_e32 v16, v16, v18
	v_mov_b32_e32 v18, 0xbab64f3b
	v_fmac_f32_e32 v18, 0x37d75334, v17
	v_mov_b32_e32 v19, 0x3d2aabf7
	;; [unrolled: 2-line block ×3, first 2 shown]
	v_fmac_f32_e32 v18, v17, v19
	v_fma_f32 v17, v17, v18, 1.0
	v_and_b32_e32 v18, 1, v15
	v_lshlrev_b32_e32 v15, 30, v15
	v_cmp_eq_u32_e64 s[4:5], 0, v18
	v_and_b32_e32 v15, 0x80000000, v15
	v_xor_b32_e32 v9, v9, v8
	v_cndmask_b32_e64 v16, v17, v16, s[4:5]
	v_xor_b32_e32 v9, v9, v15
	s_movk_i32 s4, 0x1f8
	v_xor_b32_e32 v9, v9, v16
	v_mov_b32_e32 v15, 0x7fc00000
	v_cmp_class_f32_e64 s[4:5], v8, s4
	v_cndmask_b32_e64 v8, v15, v9, s[4:5]
	v_cvt_f16_f32_e32 v9, v8
.LBB16_58:
	s_or_b64 exec, exec, s[12:13]
	v_add_u32_e32 v8, 0x700, v7
	v_cmp_lt_i32_e64 s[4:5], v8, v4
                                        ; implicit-def: $vgpr8
	s_and_saveexec_b64 s[12:13], s[4:5]
	s_cbranch_execnz .LBB16_68
; %bb.59:
	s_or_b64 exec, exec, s[12:13]
	s_and_saveexec_b64 s[4:5], vcc
	s_xor_b64 s[4:5], exec, s[4:5]
	s_cbranch_execnz .LBB16_73
.LBB16_60:
	s_or_b64 exec, exec, s[4:5]
	v_cmp_lt_i32_e32 vcc, v7, v4
	s_and_saveexec_b64 s[4:5], vcc
	s_cbranch_execnz .LBB16_74
.LBB16_61:
	s_or_b64 exec, exec, s[4:5]
	v_cmp_lt_i32_e32 vcc, v7, v4
	s_and_saveexec_b64 s[4:5], vcc
	s_cbranch_execnz .LBB16_75
.LBB16_62:
	s_or_b64 exec, exec, s[4:5]
	v_cmp_lt_i32_e32 vcc, v7, v4
	s_and_saveexec_b64 s[4:5], vcc
	s_cbranch_execnz .LBB16_76
.LBB16_63:
	s_or_b64 exec, exec, s[4:5]
	v_cmp_lt_i32_e32 vcc, v7, v4
	s_and_saveexec_b64 s[4:5], vcc
	s_cbranch_execnz .LBB16_77
.LBB16_64:
	s_or_b64 exec, exec, s[4:5]
	v_cmp_lt_i32_e32 vcc, v7, v4
	s_and_saveexec_b64 s[4:5], vcc
	s_cbranch_execnz .LBB16_78
.LBB16_65:
	s_or_b64 exec, exec, s[4:5]
	v_cmp_lt_i32_e32 vcc, v7, v4
	s_and_saveexec_b64 s[4:5], vcc
	s_cbranch_execnz .LBB16_79
.LBB16_66:
	s_or_b64 exec, exec, s[4:5]
	v_cmp_lt_i32_e32 vcc, v7, v4
	s_and_saveexec_b64 s[4:5], vcc
	s_cbranch_execnz .LBB16_80
.LBB16_67:
	s_or_b64 exec, exec, s[4:5]
	s_waitcnt vmcnt(0) lgkmcnt(0)
	s_setpc_b64 s[30:31]
.LBB16_68:
	s_brev_b32 s4, 18
	v_and_b32_e32 v8, 0x7fffffff, v6
	v_cmp_nlt_f32_e64 s[4:5], |v6|, s4
                                        ; implicit-def: $vgpr15
                                        ; implicit-def: $vgpr16
	s_and_saveexec_b64 s[6:7], s[4:5]
	s_xor_b64 s[14:15], exec, s[6:7]
	s_cbranch_execz .LBB16_70
; %bb.69:
	v_and_b32_e32 v15, 0x7fffff, v8
	v_or_b32_e32 v24, 0x800000, v15
	s_mov_b32 s4, 0xfe5163ab
	v_mad_u64_u32 v[15:16], s[4:5], v24, s4, 0
	v_mov_b32_e32 v17, 0
	s_mov_b32 s4, 0x3c439041
	v_mad_u64_u32 v[18:19], s[4:5], v24, s4, v[16:17]
	s_mov_b32 s4, 0xdb629599
	v_not_b32_e32 v23, 63
	v_mov_b32_e32 v16, v19
	v_mad_u64_u32 v[19:20], s[4:5], v24, s4, v[16:17]
	s_mov_b32 s4, 0xf534ddc0
	s_mov_b32 s6, 0x4e441529
	v_mov_b32_e32 v16, v20
	v_mad_u64_u32 v[20:21], s[4:5], v24, s4, v[16:17]
	v_lshrrev_b32_e32 v16, 23, v8
	v_add_u32_e32 v25, 0xffffff88, v16
	v_mov_b32_e32 v16, v21
	s_mov_b32 s4, 0xfc2757d1
	v_mad_u64_u32 v[21:22], s[4:5], v24, s4, v[16:17]
	v_cmp_lt_u32_e64 s[4:5], 63, v25
	v_cndmask_b32_e64 v16, 0, v23, s[4:5]
	v_add_u32_e32 v25, v16, v25
	v_mov_b32_e32 v16, v22
	v_mad_u64_u32 v[22:23], s[6:7], v24, s6, v[16:17]
	v_not_b32_e32 v26, 31
	v_cmp_lt_u32_e64 s[6:7], 31, v25
	v_cndmask_b32_e64 v16, 0, v26, s[6:7]
	v_add_u32_e32 v25, v16, v25
	v_mov_b32_e32 v16, v23
	s_mov_b32 s8, 0xa2f9836e
	v_mad_u64_u32 v[16:17], s[8:9], v24, s8, v[16:17]
	v_cmp_lt_u32_e64 s[8:9], 31, v25
	v_cndmask_b32_e64 v23, 0, v26, s[8:9]
	v_cndmask_b32_e64 v24, v22, v20, s[4:5]
	;; [unrolled: 1-line block ×4, first 2 shown]
	v_add_u32_e32 v23, v23, v25
	v_cndmask_b32_e64 v25, v16, v24, s[6:7]
	v_cndmask_b32_e64 v16, v17, v16, s[6:7]
	;; [unrolled: 1-line block ×6, first 2 shown]
	v_sub_u32_e32 v24, 32, v23
	v_alignbit_b32 v25, v16, v22, v24
	v_cmp_eq_u32_e64 s[10:11], 0, v23
	v_cndmask_b32_e64 v23, v25, v16, s[10:11]
	v_cndmask_b32_e64 v16, v20, v18, s[4:5]
	;; [unrolled: 1-line block ×4, first 2 shown]
	v_alignbit_b32 v20, v22, v18, v24
	v_cndmask_b32_e64 v15, v19, v15, s[4:5]
	v_cndmask_b32_e64 v20, v20, v22, s[10:11]
	v_bfe_u32 v25, v23, 29, 1
	v_cndmask_b32_e64 v15, v16, v15, s[6:7]
	v_alignbit_b32 v21, v23, v20, 30
	v_sub_u32_e32 v26, 0, v25
	v_cndmask_b32_e64 v15, v17, v15, s[8:9]
	v_xor_b32_e32 v21, v21, v26
	v_alignbit_b32 v16, v18, v15, v24
	v_cndmask_b32_e64 v16, v16, v18, s[10:11]
	v_ffbh_u32_e32 v18, v21
	v_alignbit_b32 v17, v20, v16, 30
	v_min_u32_e32 v18, 32, v18
	v_alignbit_b32 v15, v16, v15, 30
	v_xor_b32_e32 v17, v17, v26
	v_sub_u32_e32 v19, 31, v18
	v_xor_b32_e32 v15, v15, v26
	v_alignbit_b32 v20, v21, v17, v19
	v_alignbit_b32 v15, v17, v15, v19
	;; [unrolled: 1-line block ×3, first 2 shown]
	v_ffbh_u32_e32 v17, v16
	v_min_u32_e32 v17, 32, v17
	v_lshrrev_b32_e32 v22, 29, v23
	v_not_b32_e32 v19, v17
	v_alignbit_b32 v15, v16, v15, v19
	v_lshlrev_b32_e32 v16, 31, v22
	v_or_b32_e32 v19, 0x33000000, v16
	v_add_lshl_u32 v17, v17, v18, 23
	v_lshrrev_b32_e32 v15, 9, v15
	v_sub_u32_e32 v17, v19, v17
	v_or_b32_e32 v16, 0.5, v16
	v_lshlrev_b32_e32 v18, 23, v18
	v_or_b32_e32 v15, v17, v15
	v_lshrrev_b32_e32 v17, 9, v20
	v_sub_u32_e32 v16, v16, v18
	v_or_b32_e32 v16, v17, v16
	s_mov_b32 s4, 0x3fc90fda
	v_mul_f32_e32 v17, 0x3fc90fda, v16
	v_fma_f32 v18, v16, s4, -v17
	v_fmac_f32_e32 v18, 0x33a22168, v16
	v_fmac_f32_e32 v18, 0x3fc90fda, v15
	v_lshrrev_b32_e32 v15, 30, v23
	v_add_f32_e32 v16, v17, v18
	v_add_u32_e32 v15, v25, v15
.LBB16_70:
	s_andn2_saveexec_b64 s[4:5], s[14:15]
	s_cbranch_execz .LBB16_72
; %bb.71:
	s_mov_b32 s6, 0x3f22f983
	v_mul_f32_e64 v15, |v6|, s6
	v_rndne_f32_e32 v17, v15
	s_mov_b32 s6, 0xbfc90fda
	v_cvt_i32_f32_e32 v15, v17
	v_fma_f32 v16, v17, s6, |v6|
	v_fmac_f32_e32 v16, 0xb3a22168, v17
	v_fmac_f32_e32 v16, 0xa7c234c4, v17
.LBB16_72:
	s_or_b64 exec, exec, s[4:5]
	v_mul_f32_e32 v17, v16, v16
	v_mov_b32_e32 v18, 0x3c0881c4
	v_fmac_f32_e32 v18, 0xb94c1982, v17
	v_mov_b32_e32 v19, 0xbe2aaa9d
	v_fmac_f32_e32 v19, v17, v18
	v_mul_f32_e32 v18, v17, v19
	v_fmac_f32_e32 v16, v16, v18
	v_mov_b32_e32 v18, 0xbab64f3b
	v_fmac_f32_e32 v18, 0x37d75334, v17
	v_mov_b32_e32 v19, 0x3d2aabf7
	;; [unrolled: 2-line block ×3, first 2 shown]
	v_fmac_f32_e32 v18, v17, v19
	v_fma_f32 v17, v17, v18, 1.0
	v_and_b32_e32 v18, 1, v15
	v_lshlrev_b32_e32 v15, 30, v15
	v_cmp_eq_u32_e64 s[4:5], 0, v18
	v_and_b32_e32 v15, 0x80000000, v15
	v_xor_b32_e32 v8, v8, v6
	v_cndmask_b32_e64 v16, v17, v16, s[4:5]
	v_xor_b32_e32 v8, v8, v15
	s_movk_i32 s4, 0x1f8
	v_xor_b32_e32 v8, v8, v16
	v_mov_b32_e32 v15, 0x7fc00000
	v_cmp_class_f32_e64 s[4:5], v6, s4
	v_cndmask_b32_e64 v6, v15, v8, s[4:5]
	v_cvt_f16_f32_e32 v8, v6
	s_or_b64 exec, exec, s[12:13]
	s_and_saveexec_b64 s[4:5], vcc
	s_xor_b64 s[4:5], exec, s[4:5]
	s_cbranch_execz .LBB16_60
.LBB16_73:
	v_mov_b32_e32 v6, 0
	v_lshlrev_b64 v[5:6], 1, v[5:6]
	v_mov_b32_e32 v7, v3
	v_add_co_u32_e32 v5, vcc, v0, v5
	v_addc_co_u32_e32 v6, vcc, v1, v6, vcc
	flat_store_short v[5:6], v2
	s_or_b64 exec, exec, s[4:5]
	v_cmp_lt_i32_e32 vcc, v7, v4
	s_and_saveexec_b64 s[4:5], vcc
	s_cbranch_execz .LBB16_61
.LBB16_74:
	v_add_u32_e32 v2, s16, v7
	v_mov_b32_e32 v3, 0
	v_lshlrev_b64 v[2:3], 1, v[2:3]
	v_add_u32_e32 v7, 0x100, v7
	v_add_co_u32_e32 v2, vcc, v0, v2
	v_addc_co_u32_e32 v3, vcc, v1, v3, vcc
	flat_store_short v[2:3], v10
	s_or_b64 exec, exec, s[4:5]
	v_cmp_lt_i32_e32 vcc, v7, v4
	s_and_saveexec_b64 s[4:5], vcc
	s_cbranch_execz .LBB16_62
.LBB16_75:
	v_add_u32_e32 v2, s16, v7
	v_mov_b32_e32 v3, 0
	v_lshlrev_b64 v[2:3], 1, v[2:3]
	v_add_u32_e32 v7, 0x100, v7
	v_add_co_u32_e32 v2, vcc, v0, v2
	v_addc_co_u32_e32 v3, vcc, v1, v3, vcc
	flat_store_short v[2:3], v12
	s_or_b64 exec, exec, s[4:5]
	v_cmp_lt_i32_e32 vcc, v7, v4
	s_and_saveexec_b64 s[4:5], vcc
	s_cbranch_execz .LBB16_63
.LBB16_76:
	v_add_u32_e32 v2, s16, v7
	v_mov_b32_e32 v3, 0
	v_lshlrev_b64 v[2:3], 1, v[2:3]
	v_add_u32_e32 v7, 0x100, v7
	v_add_co_u32_e32 v2, vcc, v0, v2
	v_addc_co_u32_e32 v3, vcc, v1, v3, vcc
	flat_store_short v[2:3], v14
	s_or_b64 exec, exec, s[4:5]
	v_cmp_lt_i32_e32 vcc, v7, v4
	s_and_saveexec_b64 s[4:5], vcc
	s_cbranch_execz .LBB16_64
.LBB16_77:
	v_add_u32_e32 v2, s16, v7
	v_mov_b32_e32 v3, 0
	v_lshlrev_b64 v[2:3], 1, v[2:3]
	v_add_u32_e32 v7, 0x100, v7
	v_add_co_u32_e32 v2, vcc, v0, v2
	v_addc_co_u32_e32 v3, vcc, v1, v3, vcc
	flat_store_short v[2:3], v13
	s_or_b64 exec, exec, s[4:5]
	v_cmp_lt_i32_e32 vcc, v7, v4
	s_and_saveexec_b64 s[4:5], vcc
	s_cbranch_execz .LBB16_65
.LBB16_78:
	v_add_u32_e32 v2, s16, v7
	v_mov_b32_e32 v3, 0
	v_lshlrev_b64 v[2:3], 1, v[2:3]
	v_add_u32_e32 v7, 0x100, v7
	v_add_co_u32_e32 v2, vcc, v0, v2
	v_addc_co_u32_e32 v3, vcc, v1, v3, vcc
	flat_store_short v[2:3], v11
	s_or_b64 exec, exec, s[4:5]
	v_cmp_lt_i32_e32 vcc, v7, v4
	s_and_saveexec_b64 s[4:5], vcc
	s_cbranch_execz .LBB16_66
.LBB16_79:
	v_add_u32_e32 v2, s16, v7
	v_mov_b32_e32 v3, 0
	v_lshlrev_b64 v[2:3], 1, v[2:3]
	v_add_u32_e32 v7, 0x100, v7
	v_add_co_u32_e32 v2, vcc, v0, v2
	v_addc_co_u32_e32 v3, vcc, v1, v3, vcc
	flat_store_short v[2:3], v9
	s_or_b64 exec, exec, s[4:5]
	v_cmp_lt_i32_e32 vcc, v7, v4
	s_and_saveexec_b64 s[4:5], vcc
	s_cbranch_execz .LBB16_67
.LBB16_80:
	v_add_u32_e32 v2, s16, v7
	v_mov_b32_e32 v3, 0
	v_lshlrev_b64 v[2:3], 1, v[2:3]
	v_add_co_u32_e32 v0, vcc, v0, v2
	v_addc_co_u32_e32 v1, vcc, v1, v3, vcc
	flat_store_short v[0:1], v8
	s_or_b64 exec, exec, s[4:5]
	s_waitcnt vmcnt(0) lgkmcnt(0)
	s_setpc_b64 s[30:31]
.Lfunc_end16:
	.size	_ZN2at6native25elementwise_kernel_helperILb0EZZZNS0_15sin_kernel_cudaERNS_18TensorIteratorBaseEENKUlvE0_clEvENKUlvE1_clEvEUlN3c104HalfEE_NS0_6memory8policies11unroll_baseILi256ESt5arrayIPcLm2EE23TrivialOffsetCalculatorILi1EjESG_NS9_15LoadWithoutCastENS9_16StoreWithoutCastELi8ELi1EEEEEvT0_T1_, .Lfunc_end16-_ZN2at6native25elementwise_kernel_helperILb0EZZZNS0_15sin_kernel_cudaERNS_18TensorIteratorBaseEENKUlvE0_clEvENKUlvE1_clEvEUlN3c104HalfEE_NS0_6memory8policies11unroll_baseILi256ESt5arrayIPcLm2EE23TrivialOffsetCalculatorILi1EjESG_NS9_15LoadWithoutCastENS9_16StoreWithoutCastELi8ELi1EEEEEvT0_T1_
                                        ; -- End function
	.set .L_ZN2at6native25elementwise_kernel_helperILb0EZZZNS0_15sin_kernel_cudaERNS_18TensorIteratorBaseEENKUlvE0_clEvENKUlvE1_clEvEUlN3c104HalfEE_NS0_6memory8policies11unroll_baseILi256ESt5arrayIPcLm2EE23TrivialOffsetCalculatorILi1EjESG_NS9_15LoadWithoutCastENS9_16StoreWithoutCastELi8ELi1EEEEEvT0_T1_.num_vgpr, 32
	.set .L_ZN2at6native25elementwise_kernel_helperILb0EZZZNS0_15sin_kernel_cudaERNS_18TensorIteratorBaseEENKUlvE0_clEvENKUlvE1_clEvEUlN3c104HalfEE_NS0_6memory8policies11unroll_baseILi256ESt5arrayIPcLm2EE23TrivialOffsetCalculatorILi1EjESG_NS9_15LoadWithoutCastENS9_16StoreWithoutCastELi8ELi1EEEEEvT0_T1_.num_agpr, 0
	.set .L_ZN2at6native25elementwise_kernel_helperILb0EZZZNS0_15sin_kernel_cudaERNS_18TensorIteratorBaseEENKUlvE0_clEvENKUlvE1_clEvEUlN3c104HalfEE_NS0_6memory8policies11unroll_baseILi256ESt5arrayIPcLm2EE23TrivialOffsetCalculatorILi1EjESG_NS9_15LoadWithoutCastENS9_16StoreWithoutCastELi8ELi1EEEEEvT0_T1_.numbered_sgpr, 32
	.set .L_ZN2at6native25elementwise_kernel_helperILb0EZZZNS0_15sin_kernel_cudaERNS_18TensorIteratorBaseEENKUlvE0_clEvENKUlvE1_clEvEUlN3c104HalfEE_NS0_6memory8policies11unroll_baseILi256ESt5arrayIPcLm2EE23TrivialOffsetCalculatorILi1EjESG_NS9_15LoadWithoutCastENS9_16StoreWithoutCastELi8ELi1EEEEEvT0_T1_.num_named_barrier, 0
	.set .L_ZN2at6native25elementwise_kernel_helperILb0EZZZNS0_15sin_kernel_cudaERNS_18TensorIteratorBaseEENKUlvE0_clEvENKUlvE1_clEvEUlN3c104HalfEE_NS0_6memory8policies11unroll_baseILi256ESt5arrayIPcLm2EE23TrivialOffsetCalculatorILi1EjESG_NS9_15LoadWithoutCastENS9_16StoreWithoutCastELi8ELi1EEEEEvT0_T1_.private_seg_size, 0
	.set .L_ZN2at6native25elementwise_kernel_helperILb0EZZZNS0_15sin_kernel_cudaERNS_18TensorIteratorBaseEENKUlvE0_clEvENKUlvE1_clEvEUlN3c104HalfEE_NS0_6memory8policies11unroll_baseILi256ESt5arrayIPcLm2EE23TrivialOffsetCalculatorILi1EjESG_NS9_15LoadWithoutCastENS9_16StoreWithoutCastELi8ELi1EEEEEvT0_T1_.uses_vcc, 1
	.set .L_ZN2at6native25elementwise_kernel_helperILb0EZZZNS0_15sin_kernel_cudaERNS_18TensorIteratorBaseEENKUlvE0_clEvENKUlvE1_clEvEUlN3c104HalfEE_NS0_6memory8policies11unroll_baseILi256ESt5arrayIPcLm2EE23TrivialOffsetCalculatorILi1EjESG_NS9_15LoadWithoutCastENS9_16StoreWithoutCastELi8ELi1EEEEEvT0_T1_.uses_flat_scratch, 0
	.set .L_ZN2at6native25elementwise_kernel_helperILb0EZZZNS0_15sin_kernel_cudaERNS_18TensorIteratorBaseEENKUlvE0_clEvENKUlvE1_clEvEUlN3c104HalfEE_NS0_6memory8policies11unroll_baseILi256ESt5arrayIPcLm2EE23TrivialOffsetCalculatorILi1EjESG_NS9_15LoadWithoutCastENS9_16StoreWithoutCastELi8ELi1EEEEEvT0_T1_.has_dyn_sized_stack, 0
	.set .L_ZN2at6native25elementwise_kernel_helperILb0EZZZNS0_15sin_kernel_cudaERNS_18TensorIteratorBaseEENKUlvE0_clEvENKUlvE1_clEvEUlN3c104HalfEE_NS0_6memory8policies11unroll_baseILi256ESt5arrayIPcLm2EE23TrivialOffsetCalculatorILi1EjESG_NS9_15LoadWithoutCastENS9_16StoreWithoutCastELi8ELi1EEEEEvT0_T1_.has_recursion, 0
	.set .L_ZN2at6native25elementwise_kernel_helperILb0EZZZNS0_15sin_kernel_cudaERNS_18TensorIteratorBaseEENKUlvE0_clEvENKUlvE1_clEvEUlN3c104HalfEE_NS0_6memory8policies11unroll_baseILi256ESt5arrayIPcLm2EE23TrivialOffsetCalculatorILi1EjESG_NS9_15LoadWithoutCastENS9_16StoreWithoutCastELi8ELi1EEEEEvT0_T1_.has_indirect_call, 0
	.section	.AMDGPU.csdata,"",@progbits
; Function info:
; codeLenInByte = 8576
; TotalNumSgprs: 36
; NumVgprs: 32
; ScratchSize: 0
; MemoryBound: 0
	.text
	.p2align	2                               ; -- Begin function _ZN2at6native25elementwise_kernel_helperILb0EZZZNS0_15sin_kernel_cudaERNS_18TensorIteratorBaseEENKUlvE0_clEvENKUlvE1_clEvEUlN3c104HalfEE_NS0_6memory8policies10vectorizedILi8ESt5arrayIPcLm2EELi8EEEEEvT0_T1_
	.type	_ZN2at6native25elementwise_kernel_helperILb0EZZZNS0_15sin_kernel_cudaERNS_18TensorIteratorBaseEENKUlvE0_clEvENKUlvE1_clEvEUlN3c104HalfEE_NS0_6memory8policies10vectorizedILi8ESt5arrayIPcLm2EELi8EEEEEvT0_T1_,@function
_ZN2at6native25elementwise_kernel_helperILb0EZZZNS0_15sin_kernel_cudaERNS_18TensorIteratorBaseEENKUlvE0_clEvENKUlvE1_clEvEUlN3c104HalfEE_NS0_6memory8policies10vectorizedILi8ESt5arrayIPcLm2EELi8EEEEEvT0_T1_: ; @_ZN2at6native25elementwise_kernel_helperILb0EZZZNS0_15sin_kernel_cudaERNS_18TensorIteratorBaseEENKUlvE0_clEvENKUlvE1_clEvEUlN3c104HalfEE_NS0_6memory8policies10vectorizedILi8ESt5arrayIPcLm2EELi8EEEEEvT0_T1_
; %bb.0:
	s_waitcnt vmcnt(0) expcnt(0) lgkmcnt(0)
	s_lshl_b32 s4, s12, 11
	s_ashr_i32 s5, s4, 31
	s_lshl_b64 s[10:11], s[4:5], 1
	v_mov_b32_e32 v4, s11
	v_add_co_u32_e32 v2, vcc, s10, v2
	v_addc_co_u32_e32 v3, vcc, v3, v4, vcc
	v_and_b32_e32 v4, 0x3ff, v31
	v_lshlrev_b32_e32 v8, 4, v4
	v_add_co_u32_e32 v2, vcc, v2, v8
	v_addc_co_u32_e32 v3, vcc, 0, v3, vcc
	flat_load_dwordx4 v[2:5], v[2:3]
	s_brev_b32 s4, 18
	v_mov_b32_e32 v7, 0
                                        ; implicit-def: $vgpr11
                                        ; implicit-def: $vgpr6
	s_waitcnt vmcnt(0) lgkmcnt(0)
	v_cvt_f32_f16_e32 v9, v2
	v_and_b32_e32 v10, 0x7fffffff, v9
	v_cmp_nlt_f32_e64 s[4:5], |v9|, s4
	s_and_saveexec_b64 s[6:7], s[4:5]
	s_xor_b64 s[12:13], exec, s[6:7]
	s_cbranch_execz .LBB17_2
; %bb.1:
	v_and_b32_e32 v6, 0x7fffff, v10
	v_or_b32_e32 v18, 0x800000, v6
	s_mov_b32 s4, 0xfe5163ab
	v_mad_u64_u32 v[11:12], s[4:5], v18, s4, 0
	s_mov_b32 s4, 0x3c439041
	v_lshrrev_b32_e32 v16, 23, v10
	v_mov_b32_e32 v6, v12
	v_mad_u64_u32 v[12:13], s[4:5], v18, s4, v[6:7]
	s_mov_b32 s4, 0xdb629599
	v_add_u32_e32 v19, 0xffffff88, v16
	v_mov_b32_e32 v6, v13
	v_mad_u64_u32 v[13:14], s[4:5], v18, s4, v[6:7]
	s_mov_b32 s4, 0xf534ddc0
	v_not_b32_e32 v17, 63
	v_mov_b32_e32 v6, v14
	v_mad_u64_u32 v[14:15], s[4:5], v18, s4, v[6:7]
	s_mov_b32 s4, 0xfc2757d1
	v_cmp_lt_u32_e32 vcc, 63, v19
	v_mov_b32_e32 v6, v15
	v_mad_u64_u32 v[15:16], s[4:5], v18, s4, v[6:7]
	v_cndmask_b32_e32 v6, 0, v17, vcc
	v_add_u32_e32 v19, v6, v19
	v_mov_b32_e32 v6, v16
	s_mov_b32 s4, 0x4e441529
	v_mad_u64_u32 v[16:17], s[4:5], v18, s4, v[6:7]
	v_not_b32_e32 v20, 31
	v_cmp_lt_u32_e64 s[4:5], 31, v19
	v_cndmask_b32_e64 v6, 0, v20, s[4:5]
	v_add_u32_e32 v19, v6, v19
	v_mov_b32_e32 v6, v17
	s_mov_b32 s6, 0xa2f9836e
	v_mad_u64_u32 v[6:7], s[6:7], v18, s6, v[6:7]
	v_cmp_lt_u32_e64 s[6:7], 31, v19
	v_cndmask_b32_e64 v17, 0, v20, s[6:7]
	v_cndmask_b32_e32 v18, v16, v14, vcc
	v_cndmask_b32_e32 v6, v6, v15, vcc
	;; [unrolled: 1-line block ×3, first 2 shown]
	v_add_u32_e32 v17, v17, v19
	v_cndmask_b32_e64 v19, v6, v18, s[4:5]
	v_cndmask_b32_e64 v6, v7, v6, s[4:5]
	v_cndmask_b32_e32 v7, v15, v13, vcc
	v_cndmask_b32_e64 v15, v18, v7, s[4:5]
	v_cndmask_b32_e64 v6, v6, v19, s[6:7]
	;; [unrolled: 1-line block ×3, first 2 shown]
	v_sub_u32_e32 v18, 32, v17
	v_alignbit_b32 v19, v6, v16, v18
	v_cmp_eq_u32_e64 s[8:9], 0, v17
	v_cndmask_b32_e64 v17, v19, v6, s[8:9]
	v_cndmask_b32_e32 v6, v14, v12, vcc
	v_cndmask_b32_e64 v7, v7, v6, s[4:5]
	v_cndmask_b32_e64 v12, v15, v7, s[6:7]
	v_alignbit_b32 v14, v16, v12, v18
	v_cndmask_b32_e32 v11, v13, v11, vcc
	v_cndmask_b32_e64 v14, v14, v16, s[8:9]
	v_bfe_u32 v19, v17, 29, 1
	v_cndmask_b32_e64 v6, v6, v11, s[4:5]
	v_alignbit_b32 v15, v17, v14, 30
	v_sub_u32_e32 v20, 0, v19
	v_cndmask_b32_e64 v6, v7, v6, s[6:7]
	v_xor_b32_e32 v15, v15, v20
	v_alignbit_b32 v7, v12, v6, v18
	v_cndmask_b32_e64 v7, v7, v12, s[8:9]
	v_ffbh_u32_e32 v12, v15
	v_alignbit_b32 v11, v14, v7, 30
	v_min_u32_e32 v12, 32, v12
	v_alignbit_b32 v6, v7, v6, 30
	v_xor_b32_e32 v11, v11, v20
	v_sub_u32_e32 v13, 31, v12
	v_xor_b32_e32 v6, v6, v20
	v_alignbit_b32 v14, v15, v11, v13
	v_alignbit_b32 v6, v11, v6, v13
	;; [unrolled: 1-line block ×3, first 2 shown]
	v_ffbh_u32_e32 v11, v7
	v_min_u32_e32 v11, 32, v11
	v_lshrrev_b32_e32 v16, 29, v17
	v_not_b32_e32 v13, v11
	v_alignbit_b32 v6, v7, v6, v13
	v_lshlrev_b32_e32 v7, 31, v16
	v_or_b32_e32 v13, 0x33000000, v7
	v_add_lshl_u32 v11, v11, v12, 23
	v_lshrrev_b32_e32 v6, 9, v6
	v_sub_u32_e32 v11, v13, v11
	v_or_b32_e32 v7, 0.5, v7
	v_lshlrev_b32_e32 v12, 23, v12
	v_or_b32_e32 v6, v11, v6
	v_lshrrev_b32_e32 v11, 9, v14
	v_sub_u32_e32 v7, v7, v12
	v_or_b32_e32 v7, v11, v7
	s_mov_b32 s4, 0x3fc90fda
	v_mul_f32_e32 v11, 0x3fc90fda, v7
	v_fma_f32 v12, v7, s4, -v11
	v_fmac_f32_e32 v12, 0x33a22168, v7
	v_fmac_f32_e32 v12, 0x3fc90fda, v6
	v_lshrrev_b32_e32 v7, 30, v17
	v_add_f32_e32 v6, v11, v12
	v_add_u32_e32 v11, v19, v7
.LBB17_2:
	s_andn2_saveexec_b64 s[4:5], s[12:13]
	s_cbranch_execz .LBB17_4
; %bb.3:
	s_mov_b32 s6, 0x3f22f983
	v_mul_f32_e64 v6, |v9|, s6
	v_rndne_f32_e32 v7, v6
	s_mov_b32 s6, 0xbfc90fda
	v_cvt_i32_f32_e32 v11, v7
	v_fma_f32 v6, v7, s6, |v9|
	v_fmac_f32_e32 v6, 0xb3a22168, v7
	v_fmac_f32_e32 v6, 0xa7c234c4, v7
.LBB17_4:
	s_or_b64 exec, exec, s[4:5]
	v_cvt_f32_f16_sdwa v2, v2 dst_sel:DWORD dst_unused:UNUSED_PAD src0_sel:WORD_1
	s_brev_b32 s4, 18
                                        ; implicit-def: $vgpr15
                                        ; implicit-def: $vgpr14
	v_and_b32_e32 v7, 0x7fffffff, v2
	v_cmp_nlt_f32_e64 s[4:5], |v2|, s4
	s_and_saveexec_b64 s[6:7], s[4:5]
	s_xor_b64 s[12:13], exec, s[6:7]
	s_cbranch_execz .LBB17_6
; %bb.5:
	v_and_b32_e32 v12, 0x7fffff, v7
	v_or_b32_e32 v21, 0x800000, v12
	s_mov_b32 s4, 0xfe5163ab
	v_mad_u64_u32 v[12:13], s[4:5], v21, s4, 0
	v_mov_b32_e32 v14, 0
	s_mov_b32 s4, 0x3c439041
	v_mad_u64_u32 v[15:16], s[4:5], v21, s4, v[13:14]
	s_mov_b32 s4, 0xdb629599
	v_not_b32_e32 v20, 63
	v_mov_b32_e32 v13, v16
	v_mad_u64_u32 v[16:17], s[4:5], v21, s4, v[13:14]
	s_mov_b32 s4, 0xf534ddc0
	v_not_b32_e32 v23, 31
	v_mov_b32_e32 v13, v17
	v_mad_u64_u32 v[17:18], s[4:5], v21, s4, v[13:14]
	v_lshrrev_b32_e32 v13, 23, v7
	v_add_u32_e32 v22, 0xffffff88, v13
	v_mov_b32_e32 v13, v18
	s_mov_b32 s4, 0xfc2757d1
	v_mad_u64_u32 v[18:19], s[4:5], v21, s4, v[13:14]
	v_cmp_lt_u32_e32 vcc, 63, v22
	v_cndmask_b32_e32 v13, 0, v20, vcc
	v_add_u32_e32 v22, v13, v22
	v_mov_b32_e32 v13, v19
	s_mov_b32 s4, 0x4e441529
	v_mad_u64_u32 v[19:20], s[4:5], v21, s4, v[13:14]
	v_cmp_lt_u32_e64 s[4:5], 31, v22
	v_cndmask_b32_e64 v13, 0, v23, s[4:5]
	v_add_u32_e32 v22, v13, v22
	v_mov_b32_e32 v13, v20
	s_mov_b32 s6, 0xa2f9836e
	v_mad_u64_u32 v[13:14], s[6:7], v21, s6, v[13:14]
	v_cmp_lt_u32_e64 s[6:7], 31, v22
	v_cndmask_b32_e64 v20, 0, v23, s[6:7]
	v_cndmask_b32_e32 v21, v19, v17, vcc
	v_cndmask_b32_e32 v13, v13, v18, vcc
	v_cndmask_b32_e32 v14, v14, v19, vcc
	v_add_u32_e32 v20, v20, v22
	v_cndmask_b32_e64 v22, v13, v21, s[4:5]
	v_cndmask_b32_e64 v13, v14, v13, s[4:5]
	v_cndmask_b32_e32 v14, v18, v16, vcc
	v_cndmask_b32_e64 v18, v21, v14, s[4:5]
	v_cndmask_b32_e32 v15, v17, v15, vcc
	v_cndmask_b32_e64 v13, v13, v22, s[6:7]
	v_cndmask_b32_e64 v19, v22, v18, s[6:7]
	v_sub_u32_e32 v21, 32, v20
	v_cndmask_b32_e64 v14, v14, v15, s[4:5]
	v_alignbit_b32 v22, v13, v19, v21
	v_cmp_eq_u32_e64 s[8:9], 0, v20
	v_cndmask_b32_e64 v17, v18, v14, s[6:7]
	v_cndmask_b32_e64 v13, v22, v13, s[8:9]
	v_alignbit_b32 v18, v19, v17, v21
	v_cndmask_b32_e32 v12, v16, v12, vcc
	v_cndmask_b32_e64 v18, v18, v19, s[8:9]
	v_bfe_u32 v22, v13, 29, 1
	v_cndmask_b32_e64 v12, v15, v12, s[4:5]
	v_alignbit_b32 v19, v13, v18, 30
	v_sub_u32_e32 v23, 0, v22
	v_cndmask_b32_e64 v12, v14, v12, s[6:7]
	v_xor_b32_e32 v19, v19, v23
	v_alignbit_b32 v14, v17, v12, v21
	v_cndmask_b32_e64 v14, v14, v17, s[8:9]
	v_ffbh_u32_e32 v16, v19
	v_alignbit_b32 v15, v18, v14, 30
	v_min_u32_e32 v16, 32, v16
	v_alignbit_b32 v12, v14, v12, 30
	v_xor_b32_e32 v15, v15, v23
	v_sub_u32_e32 v17, 31, v16
	v_xor_b32_e32 v12, v12, v23
	v_alignbit_b32 v18, v19, v15, v17
	v_alignbit_b32 v12, v15, v12, v17
	;; [unrolled: 1-line block ×3, first 2 shown]
	v_ffbh_u32_e32 v15, v14
	v_min_u32_e32 v15, 32, v15
	v_lshrrev_b32_e32 v20, 29, v13
	v_not_b32_e32 v17, v15
	v_alignbit_b32 v12, v14, v12, v17
	v_lshlrev_b32_e32 v14, 31, v20
	v_or_b32_e32 v17, 0x33000000, v14
	v_add_lshl_u32 v15, v15, v16, 23
	v_lshrrev_b32_e32 v12, 9, v12
	v_sub_u32_e32 v15, v17, v15
	v_or_b32_e32 v14, 0.5, v14
	v_lshlrev_b32_e32 v16, 23, v16
	v_or_b32_e32 v12, v15, v12
	v_lshrrev_b32_e32 v15, 9, v18
	v_sub_u32_e32 v14, v14, v16
	v_or_b32_e32 v14, v15, v14
	s_mov_b32 s4, 0x3fc90fda
	v_mul_f32_e32 v15, 0x3fc90fda, v14
	v_fma_f32 v16, v14, s4, -v15
	v_fmac_f32_e32 v16, 0x33a22168, v14
	v_fmac_f32_e32 v16, 0x3fc90fda, v12
	v_lshrrev_b32_e32 v12, 30, v13
	v_add_f32_e32 v14, v15, v16
	v_add_u32_e32 v15, v22, v12
.LBB17_6:
	s_andn2_saveexec_b64 s[4:5], s[12:13]
	s_cbranch_execz .LBB17_8
; %bb.7:
	s_mov_b32 s6, 0x3f22f983
	v_mul_f32_e64 v12, |v2|, s6
	v_rndne_f32_e32 v12, v12
	s_mov_b32 s6, 0xbfc90fda
	v_cvt_i32_f32_e32 v15, v12
	v_fma_f32 v14, v12, s6, |v2|
	v_fmac_f32_e32 v14, 0xb3a22168, v12
	v_fmac_f32_e32 v14, 0xa7c234c4, v12
.LBB17_8:
	s_or_b64 exec, exec, s[4:5]
	v_cvt_f32_f16_e32 v12, v3
	s_brev_b32 s4, 18
                                        ; implicit-def: $vgpr17
                                        ; implicit-def: $vgpr16
	v_and_b32_e32 v13, 0x7fffffff, v12
	v_cmp_nlt_f32_e64 s[4:5], |v12|, s4
	s_and_saveexec_b64 s[6:7], s[4:5]
	s_xor_b64 s[12:13], exec, s[6:7]
	s_cbranch_execz .LBB17_10
; %bb.9:
	v_and_b32_e32 v16, 0x7fffff, v13
	v_or_b32_e32 v25, 0x800000, v16
	s_mov_b32 s4, 0xfe5163ab
	v_mad_u64_u32 v[16:17], s[4:5], v25, s4, 0
	v_mov_b32_e32 v18, 0
	s_mov_b32 s4, 0x3c439041
	v_mad_u64_u32 v[19:20], s[4:5], v25, s4, v[17:18]
	s_mov_b32 s4, 0xdb629599
	v_not_b32_e32 v24, 63
	v_mov_b32_e32 v17, v20
	v_mad_u64_u32 v[20:21], s[4:5], v25, s4, v[17:18]
	s_mov_b32 s4, 0xf534ddc0
	v_not_b32_e32 v27, 31
	v_mov_b32_e32 v17, v21
	v_mad_u64_u32 v[21:22], s[4:5], v25, s4, v[17:18]
	v_lshrrev_b32_e32 v17, 23, v13
	v_add_u32_e32 v26, 0xffffff88, v17
	v_mov_b32_e32 v17, v22
	s_mov_b32 s4, 0xfc2757d1
	v_mad_u64_u32 v[22:23], s[4:5], v25, s4, v[17:18]
	v_cmp_lt_u32_e32 vcc, 63, v26
	v_cndmask_b32_e32 v17, 0, v24, vcc
	v_add_u32_e32 v26, v17, v26
	v_mov_b32_e32 v17, v23
	s_mov_b32 s4, 0x4e441529
	v_mad_u64_u32 v[23:24], s[4:5], v25, s4, v[17:18]
	v_cmp_lt_u32_e64 s[4:5], 31, v26
	v_cndmask_b32_e64 v17, 0, v27, s[4:5]
	v_add_u32_e32 v26, v17, v26
	v_mov_b32_e32 v17, v24
	s_mov_b32 s6, 0xa2f9836e
	v_mad_u64_u32 v[17:18], s[6:7], v25, s6, v[17:18]
	v_cmp_lt_u32_e64 s[6:7], 31, v26
	v_cndmask_b32_e64 v24, 0, v27, s[6:7]
	v_cndmask_b32_e32 v25, v23, v21, vcc
	v_cndmask_b32_e32 v17, v17, v22, vcc
	;; [unrolled: 1-line block ×3, first 2 shown]
	v_add_u32_e32 v24, v24, v26
	v_cndmask_b32_e64 v26, v17, v25, s[4:5]
	v_cndmask_b32_e64 v17, v18, v17, s[4:5]
	v_cndmask_b32_e32 v18, v22, v20, vcc
	v_cndmask_b32_e64 v22, v25, v18, s[4:5]
	v_cndmask_b32_e32 v19, v21, v19, vcc
	v_cndmask_b32_e64 v17, v17, v26, s[6:7]
	v_cndmask_b32_e64 v23, v26, v22, s[6:7]
	v_sub_u32_e32 v25, 32, v24
	v_cndmask_b32_e64 v18, v18, v19, s[4:5]
	v_alignbit_b32 v26, v17, v23, v25
	v_cmp_eq_u32_e64 s[8:9], 0, v24
	v_cndmask_b32_e64 v21, v22, v18, s[6:7]
	v_cndmask_b32_e64 v17, v26, v17, s[8:9]
	v_alignbit_b32 v22, v23, v21, v25
	v_cndmask_b32_e32 v16, v20, v16, vcc
	v_cndmask_b32_e64 v22, v22, v23, s[8:9]
	v_bfe_u32 v26, v17, 29, 1
	v_cndmask_b32_e64 v16, v19, v16, s[4:5]
	v_alignbit_b32 v23, v17, v22, 30
	v_sub_u32_e32 v27, 0, v26
	v_cndmask_b32_e64 v16, v18, v16, s[6:7]
	v_xor_b32_e32 v23, v23, v27
	v_alignbit_b32 v18, v21, v16, v25
	v_cndmask_b32_e64 v18, v18, v21, s[8:9]
	v_ffbh_u32_e32 v20, v23
	v_alignbit_b32 v19, v22, v18, 30
	v_min_u32_e32 v20, 32, v20
	v_alignbit_b32 v16, v18, v16, 30
	v_xor_b32_e32 v19, v19, v27
	v_sub_u32_e32 v21, 31, v20
	v_xor_b32_e32 v16, v16, v27
	v_alignbit_b32 v22, v23, v19, v21
	v_alignbit_b32 v16, v19, v16, v21
	;; [unrolled: 1-line block ×3, first 2 shown]
	v_ffbh_u32_e32 v19, v18
	v_min_u32_e32 v19, 32, v19
	v_lshrrev_b32_e32 v24, 29, v17
	v_not_b32_e32 v21, v19
	v_alignbit_b32 v16, v18, v16, v21
	v_lshlrev_b32_e32 v18, 31, v24
	v_or_b32_e32 v21, 0x33000000, v18
	v_add_lshl_u32 v19, v19, v20, 23
	v_lshrrev_b32_e32 v16, 9, v16
	v_sub_u32_e32 v19, v21, v19
	v_or_b32_e32 v18, 0.5, v18
	v_lshlrev_b32_e32 v20, 23, v20
	v_or_b32_e32 v16, v19, v16
	v_lshrrev_b32_e32 v19, 9, v22
	v_sub_u32_e32 v18, v18, v20
	v_or_b32_e32 v18, v19, v18
	s_mov_b32 s4, 0x3fc90fda
	v_mul_f32_e32 v19, 0x3fc90fda, v18
	v_fma_f32 v20, v18, s4, -v19
	v_fmac_f32_e32 v20, 0x33a22168, v18
	v_fmac_f32_e32 v20, 0x3fc90fda, v16
	v_lshrrev_b32_e32 v17, 30, v17
	v_add_f32_e32 v16, v19, v20
	v_add_u32_e32 v17, v26, v17
.LBB17_10:
	s_andn2_saveexec_b64 s[4:5], s[12:13]
	s_cbranch_execz .LBB17_12
; %bb.11:
	s_mov_b32 s6, 0x3f22f983
	v_mul_f32_e64 v16, |v12|, s6
	v_rndne_f32_e32 v18, v16
	s_mov_b32 s6, 0xbfc90fda
	v_cvt_i32_f32_e32 v17, v18
	v_fma_f32 v16, v18, s6, |v12|
	v_fmac_f32_e32 v16, 0xb3a22168, v18
	v_fmac_f32_e32 v16, 0xa7c234c4, v18
.LBB17_12:
	s_or_b64 exec, exec, s[4:5]
	v_cvt_f32_f16_sdwa v3, v3 dst_sel:DWORD dst_unused:UNUSED_PAD src0_sel:WORD_1
	s_brev_b32 s4, 18
                                        ; implicit-def: $vgpr22
                                        ; implicit-def: $vgpr20
	v_and_b32_e32 v18, 0x7fffffff, v3
	v_cmp_nlt_f32_e64 s[4:5], |v3|, s4
	s_and_saveexec_b64 s[6:7], s[4:5]
	s_xor_b64 s[12:13], exec, s[6:7]
	s_cbranch_execz .LBB17_14
; %bb.13:
	v_and_b32_e32 v19, 0x7fffff, v18
	v_or_b32_e32 v28, 0x800000, v19
	s_mov_b32 s4, 0xfe5163ab
	v_mad_u64_u32 v[19:20], s[4:5], v28, s4, 0
	v_mov_b32_e32 v21, 0
	s_mov_b32 s4, 0x3c439041
	v_mad_u64_u32 v[22:23], s[4:5], v28, s4, v[20:21]
	s_mov_b32 s4, 0xdb629599
	v_not_b32_e32 v27, 63
	v_mov_b32_e32 v20, v23
	v_mad_u64_u32 v[23:24], s[4:5], v28, s4, v[20:21]
	s_mov_b32 s4, 0xf534ddc0
	v_not_b32_e32 v30, 31
	v_mov_b32_e32 v20, v24
	v_mad_u64_u32 v[24:25], s[4:5], v28, s4, v[20:21]
	v_lshrrev_b32_e32 v20, 23, v18
	v_add_u32_e32 v29, 0xffffff88, v20
	v_mov_b32_e32 v20, v25
	s_mov_b32 s4, 0xfc2757d1
	v_mad_u64_u32 v[25:26], s[4:5], v28, s4, v[20:21]
	v_cmp_lt_u32_e32 vcc, 63, v29
	v_cndmask_b32_e32 v20, 0, v27, vcc
	v_add_u32_e32 v29, v20, v29
	v_mov_b32_e32 v20, v26
	s_mov_b32 s4, 0x4e441529
	v_mad_u64_u32 v[26:27], s[4:5], v28, s4, v[20:21]
	v_cmp_lt_u32_e64 s[4:5], 31, v29
	v_cndmask_b32_e64 v20, 0, v30, s[4:5]
	v_add_u32_e32 v29, v20, v29
	v_mov_b32_e32 v20, v27
	s_mov_b32 s6, 0xa2f9836e
	v_mad_u64_u32 v[20:21], s[6:7], v28, s6, v[20:21]
	v_cmp_lt_u32_e64 s[6:7], 31, v29
	v_cndmask_b32_e64 v27, 0, v30, s[6:7]
	v_cndmask_b32_e32 v28, v26, v24, vcc
	v_cndmask_b32_e32 v20, v20, v25, vcc
	;; [unrolled: 1-line block ×3, first 2 shown]
	v_add_u32_e32 v27, v27, v29
	v_cndmask_b32_e64 v29, v20, v28, s[4:5]
	v_cndmask_b32_e64 v20, v21, v20, s[4:5]
	v_cndmask_b32_e32 v21, v25, v23, vcc
	v_cndmask_b32_e64 v25, v28, v21, s[4:5]
	v_cndmask_b32_e64 v20, v20, v29, s[6:7]
	;; [unrolled: 1-line block ×3, first 2 shown]
	v_sub_u32_e32 v28, 32, v27
	v_alignbit_b32 v29, v20, v26, v28
	v_cmp_eq_u32_e64 s[8:9], 0, v27
	v_cndmask_b32_e64 v27, v29, v20, s[8:9]
	v_cndmask_b32_e32 v20, v24, v22, vcc
	v_cndmask_b32_e64 v21, v21, v20, s[4:5]
	v_cndmask_b32_e64 v22, v25, v21, s[6:7]
	v_alignbit_b32 v24, v26, v22, v28
	v_cndmask_b32_e32 v19, v23, v19, vcc
	v_cndmask_b32_e64 v24, v24, v26, s[8:9]
	v_bfe_u32 v29, v27, 29, 1
	v_cndmask_b32_e64 v19, v20, v19, s[4:5]
	v_alignbit_b32 v25, v27, v24, 30
	v_sub_u32_e32 v30, 0, v29
	v_cndmask_b32_e64 v19, v21, v19, s[6:7]
	v_xor_b32_e32 v25, v25, v30
	v_alignbit_b32 v20, v22, v19, v28
	v_cndmask_b32_e64 v20, v20, v22, s[8:9]
	v_ffbh_u32_e32 v22, v25
	v_alignbit_b32 v21, v24, v20, 30
	v_min_u32_e32 v22, 32, v22
	v_alignbit_b32 v19, v20, v19, 30
	v_xor_b32_e32 v21, v21, v30
	v_sub_u32_e32 v23, 31, v22
	v_xor_b32_e32 v19, v19, v30
	v_alignbit_b32 v24, v25, v21, v23
	v_alignbit_b32 v19, v21, v19, v23
	;; [unrolled: 1-line block ×3, first 2 shown]
	v_ffbh_u32_e32 v21, v20
	v_min_u32_e32 v21, 32, v21
	v_lshrrev_b32_e32 v26, 29, v27
	v_not_b32_e32 v23, v21
	v_alignbit_b32 v19, v20, v19, v23
	v_lshlrev_b32_e32 v20, 31, v26
	v_or_b32_e32 v23, 0x33000000, v20
	v_add_lshl_u32 v21, v21, v22, 23
	v_lshrrev_b32_e32 v19, 9, v19
	v_sub_u32_e32 v21, v23, v21
	v_or_b32_e32 v20, 0.5, v20
	v_lshlrev_b32_e32 v22, 23, v22
	v_or_b32_e32 v19, v21, v19
	v_lshrrev_b32_e32 v21, 9, v24
	v_sub_u32_e32 v20, v20, v22
	v_or_b32_e32 v20, v21, v20
	s_mov_b32 s4, 0x3fc90fda
	v_mul_f32_e32 v21, 0x3fc90fda, v20
	v_fma_f32 v22, v20, s4, -v21
	v_fmac_f32_e32 v22, 0x33a22168, v20
	v_fmac_f32_e32 v22, 0x3fc90fda, v19
	v_lshrrev_b32_e32 v19, 30, v27
	v_add_f32_e32 v20, v21, v22
	v_add_u32_e32 v22, v29, v19
.LBB17_14:
	s_andn2_saveexec_b64 s[4:5], s[12:13]
	s_cbranch_execz .LBB17_16
; %bb.15:
	s_mov_b32 s6, 0x3f22f983
	v_mul_f32_e64 v19, |v3|, s6
	v_rndne_f32_e32 v19, v19
	s_mov_b32 s6, 0xbfc90fda
	v_cvt_i32_f32_e32 v22, v19
	v_fma_f32 v20, v19, s6, |v3|
	v_fmac_f32_e32 v20, 0xb3a22168, v19
	v_fmac_f32_e32 v20, 0xa7c234c4, v19
.LBB17_16:
	s_or_b64 exec, exec, s[4:5]
	v_cvt_f32_f16_e32 v19, v4
	s_brev_b32 s4, 18
                                        ; implicit-def: $vgpr25
                                        ; implicit-def: $vgpr23
	v_and_b32_e32 v21, 0x7fffffff, v19
	v_cmp_nlt_f32_e64 s[4:5], |v19|, s4
	s_and_saveexec_b64 s[6:7], s[4:5]
	s_xor_b64 s[12:13], exec, s[6:7]
	s_cbranch_execz .LBB17_18
; %bb.17:
	v_and_b32_e32 v23, 0x7fffff, v21
	v_or_b32_e32 v32, 0x800000, v23
	s_mov_b32 s4, 0xfe5163ab
	v_mad_u64_u32 v[23:24], s[4:5], v32, s4, 0
	v_mov_b32_e32 v25, 0
	s_mov_b32 s4, 0x3c439041
	v_mad_u64_u32 v[26:27], s[4:5], v32, s4, v[24:25]
	s_mov_b32 s4, 0xdb629599
	v_not_b32_e32 v31, 63
	v_mov_b32_e32 v24, v27
	v_mad_u64_u32 v[27:28], s[4:5], v32, s4, v[24:25]
	s_mov_b32 s4, 0xf534ddc0
	v_not_b32_e32 v34, 31
	v_mov_b32_e32 v24, v28
	v_mad_u64_u32 v[28:29], s[4:5], v32, s4, v[24:25]
	v_lshrrev_b32_e32 v24, 23, v21
	v_add_u32_e32 v33, 0xffffff88, v24
	v_mov_b32_e32 v24, v29
	s_mov_b32 s4, 0xfc2757d1
	v_mad_u64_u32 v[29:30], s[4:5], v32, s4, v[24:25]
	v_cmp_lt_u32_e32 vcc, 63, v33
	v_cndmask_b32_e32 v24, 0, v31, vcc
	v_add_u32_e32 v33, v24, v33
	v_mov_b32_e32 v24, v30
	s_mov_b32 s4, 0x4e441529
	v_mad_u64_u32 v[30:31], s[4:5], v32, s4, v[24:25]
	v_cmp_lt_u32_e64 s[4:5], 31, v33
	v_cndmask_b32_e64 v24, 0, v34, s[4:5]
	v_add_u32_e32 v33, v24, v33
	v_mov_b32_e32 v24, v31
	s_mov_b32 s6, 0xa2f9836e
	v_mad_u64_u32 v[24:25], s[6:7], v32, s6, v[24:25]
	v_cmp_lt_u32_e64 s[6:7], 31, v33
	v_cndmask_b32_e64 v31, 0, v34, s[6:7]
	v_cndmask_b32_e32 v32, v30, v28, vcc
	v_cndmask_b32_e32 v24, v24, v29, vcc
	;; [unrolled: 1-line block ×3, first 2 shown]
	v_add_u32_e32 v31, v31, v33
	v_cndmask_b32_e64 v33, v24, v32, s[4:5]
	v_cndmask_b32_e64 v24, v25, v24, s[4:5]
	v_cndmask_b32_e32 v25, v29, v27, vcc
	v_cndmask_b32_e64 v29, v32, v25, s[4:5]
	v_cndmask_b32_e32 v26, v28, v26, vcc
	v_cndmask_b32_e64 v24, v24, v33, s[6:7]
	v_cndmask_b32_e64 v30, v33, v29, s[6:7]
	v_sub_u32_e32 v32, 32, v31
	v_cndmask_b32_e64 v25, v25, v26, s[4:5]
	v_alignbit_b32 v33, v24, v30, v32
	v_cmp_eq_u32_e64 s[8:9], 0, v31
	v_cndmask_b32_e64 v28, v29, v25, s[6:7]
	v_cndmask_b32_e64 v24, v33, v24, s[8:9]
	v_alignbit_b32 v29, v30, v28, v32
	v_cndmask_b32_e32 v23, v27, v23, vcc
	v_cndmask_b32_e64 v29, v29, v30, s[8:9]
	v_bfe_u32 v33, v24, 29, 1
	v_cndmask_b32_e64 v23, v26, v23, s[4:5]
	v_alignbit_b32 v30, v24, v29, 30
	v_sub_u32_e32 v34, 0, v33
	v_cndmask_b32_e64 v23, v25, v23, s[6:7]
	v_xor_b32_e32 v30, v30, v34
	v_alignbit_b32 v25, v28, v23, v32
	v_cndmask_b32_e64 v25, v25, v28, s[8:9]
	v_ffbh_u32_e32 v27, v30
	v_alignbit_b32 v26, v29, v25, 30
	v_min_u32_e32 v27, 32, v27
	v_alignbit_b32 v23, v25, v23, 30
	v_xor_b32_e32 v26, v26, v34
	v_sub_u32_e32 v28, 31, v27
	v_xor_b32_e32 v23, v23, v34
	v_alignbit_b32 v29, v30, v26, v28
	v_alignbit_b32 v23, v26, v23, v28
	;; [unrolled: 1-line block ×3, first 2 shown]
	v_ffbh_u32_e32 v26, v25
	v_min_u32_e32 v26, 32, v26
	v_lshrrev_b32_e32 v31, 29, v24
	v_not_b32_e32 v28, v26
	v_alignbit_b32 v23, v25, v23, v28
	v_lshlrev_b32_e32 v25, 31, v31
	v_or_b32_e32 v28, 0x33000000, v25
	v_add_lshl_u32 v26, v26, v27, 23
	v_lshrrev_b32_e32 v23, 9, v23
	v_sub_u32_e32 v26, v28, v26
	v_or_b32_e32 v25, 0.5, v25
	v_lshlrev_b32_e32 v27, 23, v27
	v_or_b32_e32 v23, v26, v23
	v_lshrrev_b32_e32 v26, 9, v29
	v_sub_u32_e32 v25, v25, v27
	v_or_b32_e32 v25, v26, v25
	s_mov_b32 s4, 0x3fc90fda
	v_mul_f32_e32 v26, 0x3fc90fda, v25
	v_fma_f32 v27, v25, s4, -v26
	v_fmac_f32_e32 v27, 0x33a22168, v25
	v_fmac_f32_e32 v27, 0x3fc90fda, v23
	v_lshrrev_b32_e32 v24, 30, v24
	v_add_f32_e32 v23, v26, v27
	v_add_u32_e32 v25, v33, v24
.LBB17_18:
	s_andn2_saveexec_b64 s[4:5], s[12:13]
	s_cbranch_execz .LBB17_20
; %bb.19:
	s_mov_b32 s6, 0x3f22f983
	v_mul_f32_e64 v23, |v19|, s6
	v_rndne_f32_e32 v24, v23
	s_mov_b32 s6, 0xbfc90fda
	v_cvt_i32_f32_e32 v25, v24
	v_fma_f32 v23, v24, s6, |v19|
	v_fmac_f32_e32 v23, 0xb3a22168, v24
	v_fmac_f32_e32 v23, 0xa7c234c4, v24
.LBB17_20:
	s_or_b64 exec, exec, s[4:5]
	v_cvt_f32_f16_sdwa v4, v4 dst_sel:DWORD dst_unused:UNUSED_PAD src0_sel:WORD_1
	s_brev_b32 s4, 18
                                        ; implicit-def: $vgpr29
                                        ; implicit-def: $vgpr28
	v_and_b32_e32 v24, 0x7fffffff, v4
	v_cmp_nlt_f32_e64 s[4:5], |v4|, s4
	s_and_saveexec_b64 s[6:7], s[4:5]
	s_xor_b64 s[12:13], exec, s[6:7]
	s_cbranch_execz .LBB17_22
; %bb.21:
	v_and_b32_e32 v26, 0x7fffff, v24
	v_or_b32_e32 v35, 0x800000, v26
	s_mov_b32 s4, 0xfe5163ab
	v_mad_u64_u32 v[26:27], s[4:5], v35, s4, 0
	v_mov_b32_e32 v28, 0
	s_mov_b32 s4, 0x3c439041
	v_mad_u64_u32 v[29:30], s[4:5], v35, s4, v[27:28]
	s_mov_b32 s4, 0xdb629599
	v_not_b32_e32 v34, 63
	v_mov_b32_e32 v27, v30
	v_mad_u64_u32 v[30:31], s[4:5], v35, s4, v[27:28]
	s_mov_b32 s4, 0xf534ddc0
	v_not_b32_e32 v37, 31
	v_mov_b32_e32 v27, v31
	v_mad_u64_u32 v[31:32], s[4:5], v35, s4, v[27:28]
	v_lshrrev_b32_e32 v27, 23, v24
	v_add_u32_e32 v36, 0xffffff88, v27
	v_mov_b32_e32 v27, v32
	s_mov_b32 s4, 0xfc2757d1
	v_mad_u64_u32 v[32:33], s[4:5], v35, s4, v[27:28]
	v_cmp_lt_u32_e32 vcc, 63, v36
	v_cndmask_b32_e32 v27, 0, v34, vcc
	v_add_u32_e32 v36, v27, v36
	v_mov_b32_e32 v27, v33
	s_mov_b32 s4, 0x4e441529
	v_mad_u64_u32 v[33:34], s[4:5], v35, s4, v[27:28]
	v_cmp_lt_u32_e64 s[4:5], 31, v36
	v_cndmask_b32_e64 v27, 0, v37, s[4:5]
	v_add_u32_e32 v36, v27, v36
	v_mov_b32_e32 v27, v34
	s_mov_b32 s6, 0xa2f9836e
	v_mad_u64_u32 v[27:28], s[6:7], v35, s6, v[27:28]
	v_cmp_lt_u32_e64 s[6:7], 31, v36
	v_cndmask_b32_e64 v34, 0, v37, s[6:7]
	v_cndmask_b32_e32 v35, v33, v31, vcc
	v_cndmask_b32_e32 v27, v27, v32, vcc
	;; [unrolled: 1-line block ×3, first 2 shown]
	v_add_u32_e32 v34, v34, v36
	v_cndmask_b32_e64 v36, v27, v35, s[4:5]
	v_cndmask_b32_e64 v27, v28, v27, s[4:5]
	v_cndmask_b32_e32 v28, v32, v30, vcc
	v_cndmask_b32_e64 v32, v35, v28, s[4:5]
	v_cndmask_b32_e32 v29, v31, v29, vcc
	v_cndmask_b32_e64 v27, v27, v36, s[6:7]
	v_cndmask_b32_e64 v33, v36, v32, s[6:7]
	v_sub_u32_e32 v35, 32, v34
	v_cndmask_b32_e64 v28, v28, v29, s[4:5]
	v_alignbit_b32 v36, v27, v33, v35
	v_cmp_eq_u32_e64 s[8:9], 0, v34
	v_cndmask_b32_e64 v31, v32, v28, s[6:7]
	v_cndmask_b32_e64 v27, v36, v27, s[8:9]
	v_alignbit_b32 v32, v33, v31, v35
	v_cndmask_b32_e32 v26, v30, v26, vcc
	v_cndmask_b32_e64 v32, v32, v33, s[8:9]
	v_bfe_u32 v36, v27, 29, 1
	v_cndmask_b32_e64 v26, v29, v26, s[4:5]
	v_alignbit_b32 v33, v27, v32, 30
	v_sub_u32_e32 v37, 0, v36
	v_cndmask_b32_e64 v26, v28, v26, s[6:7]
	v_xor_b32_e32 v33, v33, v37
	v_alignbit_b32 v28, v31, v26, v35
	v_cndmask_b32_e64 v28, v28, v31, s[8:9]
	v_ffbh_u32_e32 v30, v33
	v_alignbit_b32 v29, v32, v28, 30
	v_min_u32_e32 v30, 32, v30
	v_alignbit_b32 v26, v28, v26, 30
	v_xor_b32_e32 v29, v29, v37
	v_sub_u32_e32 v31, 31, v30
	v_xor_b32_e32 v26, v26, v37
	v_alignbit_b32 v32, v33, v29, v31
	v_alignbit_b32 v26, v29, v26, v31
	;; [unrolled: 1-line block ×3, first 2 shown]
	v_ffbh_u32_e32 v29, v28
	v_min_u32_e32 v29, 32, v29
	v_lshrrev_b32_e32 v34, 29, v27
	v_not_b32_e32 v31, v29
	v_alignbit_b32 v26, v28, v26, v31
	v_lshlrev_b32_e32 v28, 31, v34
	v_or_b32_e32 v31, 0x33000000, v28
	v_add_lshl_u32 v29, v29, v30, 23
	v_lshrrev_b32_e32 v26, 9, v26
	v_sub_u32_e32 v29, v31, v29
	v_or_b32_e32 v28, 0.5, v28
	v_lshlrev_b32_e32 v30, 23, v30
	v_or_b32_e32 v26, v29, v26
	v_lshrrev_b32_e32 v29, 9, v32
	v_sub_u32_e32 v28, v28, v30
	v_or_b32_e32 v28, v29, v28
	s_mov_b32 s4, 0x3fc90fda
	v_mul_f32_e32 v29, 0x3fc90fda, v28
	v_fma_f32 v30, v28, s4, -v29
	v_fmac_f32_e32 v30, 0x33a22168, v28
	v_fmac_f32_e32 v30, 0x3fc90fda, v26
	v_lshrrev_b32_e32 v26, 30, v27
	v_add_f32_e32 v28, v29, v30
	v_add_u32_e32 v29, v36, v26
.LBB17_22:
	s_andn2_saveexec_b64 s[4:5], s[12:13]
	s_cbranch_execz .LBB17_24
; %bb.23:
	s_mov_b32 s6, 0x3f22f983
	v_mul_f32_e64 v26, |v4|, s6
	v_rndne_f32_e32 v26, v26
	s_mov_b32 s6, 0xbfc90fda
	v_cvt_i32_f32_e32 v29, v26
	v_fma_f32 v28, v26, s6, |v4|
	v_fmac_f32_e32 v28, 0xb3a22168, v26
	v_fmac_f32_e32 v28, 0xa7c234c4, v26
.LBB17_24:
	s_or_b64 exec, exec, s[4:5]
	v_cvt_f32_f16_e32 v26, v5
	s_brev_b32 s4, 18
                                        ; implicit-def: $vgpr33
                                        ; implicit-def: $vgpr30
	v_and_b32_e32 v27, 0x7fffffff, v26
	v_cmp_nlt_f32_e64 s[4:5], |v26|, s4
	s_and_saveexec_b64 s[6:7], s[4:5]
	s_xor_b64 s[12:13], exec, s[6:7]
	s_cbranch_execz .LBB17_26
; %bb.25:
	v_and_b32_e32 v30, 0x7fffff, v27
	v_or_b32_e32 v39, 0x800000, v30
	s_mov_b32 s4, 0xfe5163ab
	v_mad_u64_u32 v[30:31], s[4:5], v39, s4, 0
	v_mov_b32_e32 v32, 0
	s_mov_b32 s4, 0x3c439041
	v_mad_u64_u32 v[33:34], s[4:5], v39, s4, v[31:32]
	s_mov_b32 s4, 0xdb629599
	v_not_b32_e32 v38, 63
	v_mov_b32_e32 v31, v34
	v_mad_u64_u32 v[34:35], s[4:5], v39, s4, v[31:32]
	s_mov_b32 s4, 0xf534ddc0
	v_not_b32_e32 v49, 31
	v_mov_b32_e32 v31, v35
	v_mad_u64_u32 v[35:36], s[4:5], v39, s4, v[31:32]
	v_lshrrev_b32_e32 v31, 23, v27
	v_add_u32_e32 v48, 0xffffff88, v31
	v_mov_b32_e32 v31, v36
	s_mov_b32 s4, 0xfc2757d1
	v_mad_u64_u32 v[36:37], s[4:5], v39, s4, v[31:32]
	v_cmp_lt_u32_e32 vcc, 63, v48
	v_cndmask_b32_e32 v31, 0, v38, vcc
	v_add_u32_e32 v48, v31, v48
	v_mov_b32_e32 v31, v37
	s_mov_b32 s4, 0x4e441529
	v_mad_u64_u32 v[37:38], s[4:5], v39, s4, v[31:32]
	v_cmp_lt_u32_e64 s[4:5], 31, v48
	v_cndmask_b32_e64 v31, 0, v49, s[4:5]
	v_add_u32_e32 v48, v31, v48
	v_mov_b32_e32 v31, v38
	s_mov_b32 s6, 0xa2f9836e
	v_mad_u64_u32 v[31:32], s[6:7], v39, s6, v[31:32]
	v_cmp_lt_u32_e64 s[6:7], 31, v48
	v_cndmask_b32_e64 v38, 0, v49, s[6:7]
	v_cndmask_b32_e32 v39, v37, v35, vcc
	v_cndmask_b32_e32 v31, v31, v36, vcc
	;; [unrolled: 1-line block ×3, first 2 shown]
	v_add_u32_e32 v38, v38, v48
	v_cndmask_b32_e64 v48, v31, v39, s[4:5]
	v_cndmask_b32_e64 v31, v32, v31, s[4:5]
	v_cndmask_b32_e32 v32, v36, v34, vcc
	v_cndmask_b32_e64 v36, v39, v32, s[4:5]
	v_cndmask_b32_e32 v33, v35, v33, vcc
	v_cndmask_b32_e64 v31, v31, v48, s[6:7]
	v_cndmask_b32_e64 v37, v48, v36, s[6:7]
	v_sub_u32_e32 v39, 32, v38
	v_cndmask_b32_e64 v32, v32, v33, s[4:5]
	v_alignbit_b32 v48, v31, v37, v39
	v_cmp_eq_u32_e64 s[8:9], 0, v38
	v_cndmask_b32_e64 v35, v36, v32, s[6:7]
	v_cndmask_b32_e64 v31, v48, v31, s[8:9]
	v_alignbit_b32 v36, v37, v35, v39
	v_cndmask_b32_e32 v30, v34, v30, vcc
	v_cndmask_b32_e64 v36, v36, v37, s[8:9]
	v_bfe_u32 v48, v31, 29, 1
	v_cndmask_b32_e64 v30, v33, v30, s[4:5]
	v_alignbit_b32 v37, v31, v36, 30
	v_sub_u32_e32 v49, 0, v48
	v_cndmask_b32_e64 v30, v32, v30, s[6:7]
	v_xor_b32_e32 v37, v37, v49
	v_alignbit_b32 v32, v35, v30, v39
	v_cndmask_b32_e64 v32, v32, v35, s[8:9]
	v_ffbh_u32_e32 v34, v37
	v_alignbit_b32 v33, v36, v32, 30
	v_min_u32_e32 v34, 32, v34
	v_alignbit_b32 v30, v32, v30, 30
	v_xor_b32_e32 v33, v33, v49
	v_sub_u32_e32 v35, 31, v34
	v_xor_b32_e32 v30, v30, v49
	v_alignbit_b32 v36, v37, v33, v35
	v_alignbit_b32 v30, v33, v30, v35
	v_alignbit_b32 v32, v36, v30, 9
	v_ffbh_u32_e32 v33, v32
	v_min_u32_e32 v33, 32, v33
	v_lshrrev_b32_e32 v38, 29, v31
	v_not_b32_e32 v35, v33
	v_alignbit_b32 v30, v32, v30, v35
	v_lshlrev_b32_e32 v32, 31, v38
	v_or_b32_e32 v35, 0x33000000, v32
	v_add_lshl_u32 v33, v33, v34, 23
	v_lshrrev_b32_e32 v30, 9, v30
	v_sub_u32_e32 v33, v35, v33
	v_or_b32_e32 v32, 0.5, v32
	v_lshlrev_b32_e32 v34, 23, v34
	v_or_b32_e32 v30, v33, v30
	v_lshrrev_b32_e32 v33, 9, v36
	v_sub_u32_e32 v32, v32, v34
	v_or_b32_e32 v32, v33, v32
	s_mov_b32 s4, 0x3fc90fda
	v_mul_f32_e32 v33, 0x3fc90fda, v32
	v_fma_f32 v34, v32, s4, -v33
	v_fmac_f32_e32 v34, 0x33a22168, v32
	v_fmac_f32_e32 v34, 0x3fc90fda, v30
	v_lshrrev_b32_e32 v31, 30, v31
	v_add_f32_e32 v30, v33, v34
	v_add_u32_e32 v33, v48, v31
.LBB17_26:
	s_andn2_saveexec_b64 s[4:5], s[12:13]
	s_cbranch_execz .LBB17_28
; %bb.27:
	s_mov_b32 s6, 0x3f22f983
	v_mul_f32_e64 v30, |v26|, s6
	v_rndne_f32_e32 v31, v30
	s_mov_b32 s6, 0xbfc90fda
	v_cvt_i32_f32_e32 v33, v31
	v_fma_f32 v30, v31, s6, |v26|
	v_fmac_f32_e32 v30, 0xb3a22168, v31
	v_fmac_f32_e32 v30, 0xa7c234c4, v31
.LBB17_28:
	s_or_b64 exec, exec, s[4:5]
	v_cvt_f32_f16_sdwa v5, v5 dst_sel:DWORD dst_unused:UNUSED_PAD src0_sel:WORD_1
	s_brev_b32 s4, 18
                                        ; implicit-def: $vgpr34
                                        ; implicit-def: $vgpr32
	v_and_b32_e32 v31, 0x7fffffff, v5
	v_cmp_nlt_f32_e64 s[4:5], |v5|, s4
	s_and_saveexec_b64 s[6:7], s[4:5]
	s_xor_b64 s[12:13], exec, s[6:7]
	s_cbranch_execz .LBB17_30
; %bb.29:
	v_and_b32_e32 v32, 0x7fffff, v31
	v_or_b32_e32 v32, 0x800000, v32
	s_mov_b32 s4, 0xfe5163ab
	v_mad_u64_u32 v[34:35], s[4:5], v32, s4, 0
	v_mov_b32_e32 v36, 0
	s_mov_b32 s4, 0x3c439041
	v_mad_u64_u32 v[37:38], s[4:5], v32, s4, v[35:36]
	s_mov_b32 s4, 0xdb629599
	v_not_b32_e32 v52, 31
	v_mov_b32_e32 v35, v38
	v_mad_u64_u32 v[38:39], s[4:5], v32, s4, v[35:36]
	s_mov_b32 s4, 0xf534ddc0
	s_mov_b32 s6, 0xa2f9836e
	v_mov_b32_e32 v35, v39
	v_mad_u64_u32 v[48:49], s[4:5], v32, s4, v[35:36]
	v_lshrrev_b32_e32 v35, 23, v31
	v_add_u32_e32 v51, 0xffffff88, v35
	v_mov_b32_e32 v35, v49
	s_mov_b32 s4, 0xfc2757d1
	v_mad_u64_u32 v[49:50], s[4:5], v32, s4, v[35:36]
	v_not_b32_e32 v39, 63
	v_cmp_lt_u32_e32 vcc, 63, v51
	v_cndmask_b32_e32 v35, 0, v39, vcc
	v_add_u32_e32 v39, v35, v51
	v_mov_b32_e32 v35, v50
	s_mov_b32 s4, 0x4e441529
	v_mad_u64_u32 v[50:51], s[4:5], v32, s4, v[35:36]
	v_cmp_lt_u32_e64 s[4:5], 31, v39
	v_cndmask_b32_e64 v35, 0, v52, s[4:5]
	v_add_u32_e32 v39, v35, v39
	v_mov_b32_e32 v35, v51
	v_mad_u64_u32 v[35:36], s[6:7], v32, s6, v[35:36]
	v_cmp_lt_u32_e64 s[6:7], 31, v39
	v_cndmask_b32_e64 v32, 0, v52, s[6:7]
	v_add_u32_e32 v32, v32, v39
	v_cndmask_b32_e32 v39, v50, v48, vcc
	v_cndmask_b32_e32 v35, v35, v49, vcc
	;; [unrolled: 1-line block ×3, first 2 shown]
	v_cndmask_b32_e64 v51, v35, v39, s[4:5]
	v_cndmask_b32_e64 v35, v36, v35, s[4:5]
	v_cndmask_b32_e32 v36, v49, v38, vcc
	v_cndmask_b32_e64 v39, v39, v36, s[4:5]
	v_sub_u32_e32 v50, 32, v32
	v_cmp_eq_u32_e64 s[8:9], 0, v32
	v_cndmask_b32_e32 v32, v48, v37, vcc
	v_cndmask_b32_e64 v35, v35, v51, s[6:7]
	v_cndmask_b32_e64 v49, v51, v39, s[6:7]
	;; [unrolled: 1-line block ×3, first 2 shown]
	v_alignbit_b32 v51, v35, v49, v50
	v_cndmask_b32_e64 v37, v39, v36, s[6:7]
	v_cndmask_b32_e64 v35, v51, v35, s[8:9]
	v_alignbit_b32 v39, v49, v37, v50
	v_cndmask_b32_e32 v34, v38, v34, vcc
	v_cndmask_b32_e64 v39, v39, v49, s[8:9]
	v_bfe_u32 v51, v35, 29, 1
	v_cndmask_b32_e64 v32, v32, v34, s[4:5]
	v_alignbit_b32 v48, v35, v39, 30
	v_sub_u32_e32 v52, 0, v51
	v_cndmask_b32_e64 v32, v36, v32, s[6:7]
	v_xor_b32_e32 v48, v48, v52
	v_alignbit_b32 v34, v37, v32, v50
	v_cndmask_b32_e64 v34, v34, v37, s[8:9]
	v_ffbh_u32_e32 v37, v48
	v_alignbit_b32 v36, v39, v34, 30
	v_min_u32_e32 v37, 32, v37
	v_alignbit_b32 v32, v34, v32, 30
	v_xor_b32_e32 v36, v36, v52
	v_sub_u32_e32 v38, 31, v37
	v_xor_b32_e32 v32, v32, v52
	v_alignbit_b32 v39, v48, v36, v38
	v_alignbit_b32 v32, v36, v32, v38
	;; [unrolled: 1-line block ×3, first 2 shown]
	v_ffbh_u32_e32 v36, v34
	v_min_u32_e32 v36, 32, v36
	v_lshrrev_b32_e32 v49, 29, v35
	v_not_b32_e32 v38, v36
	v_alignbit_b32 v32, v34, v32, v38
	v_lshlrev_b32_e32 v34, 31, v49
	v_or_b32_e32 v38, 0x33000000, v34
	v_add_lshl_u32 v36, v36, v37, 23
	v_lshrrev_b32_e32 v32, 9, v32
	v_sub_u32_e32 v36, v38, v36
	v_or_b32_e32 v34, 0.5, v34
	v_lshlrev_b32_e32 v37, 23, v37
	v_or_b32_e32 v32, v36, v32
	v_lshrrev_b32_e32 v36, 9, v39
	v_sub_u32_e32 v34, v34, v37
	v_or_b32_e32 v34, v36, v34
	s_mov_b32 s4, 0x3fc90fda
	v_mul_f32_e32 v36, 0x3fc90fda, v34
	v_fma_f32 v37, v34, s4, -v36
	v_fmac_f32_e32 v37, 0x33a22168, v34
	v_fmac_f32_e32 v37, 0x3fc90fda, v32
	v_lshrrev_b32_e32 v34, 30, v35
	v_add_f32_e32 v32, v36, v37
	v_add_u32_e32 v34, v51, v34
.LBB17_30:
	s_andn2_saveexec_b64 s[4:5], s[12:13]
	s_cbranch_execz .LBB17_32
; %bb.31:
	s_mov_b32 s6, 0x3f22f983
	v_mul_f32_e64 v32, |v5|, s6
	v_rndne_f32_e32 v35, v32
	s_mov_b32 s6, 0xbfc90fda
	v_cvt_i32_f32_e32 v34, v35
	v_fma_f32 v32, v35, s6, |v5|
	v_fmac_f32_e32 v32, 0xb3a22168, v35
	v_fmac_f32_e32 v32, 0xa7c234c4, v35
.LBB17_32:
	s_or_b64 exec, exec, s[4:5]
	v_lshlrev_b32_e32 v39, 30, v15
	v_xor_b32_e32 v7, v7, v2
	v_and_b32_e32 v39, 0x80000000, v39
	v_mul_f32_e32 v48, v14, v14
	v_xor_b32_e32 v7, v7, v39
	v_mov_b32_e32 v39, 0x3c0881c4
	v_fmac_f32_e32 v39, 0xb94c1982, v48
	v_mov_b32_e32 v49, 0xbe2aaa9d
	v_fma_f32 v39, v48, v39, v49
	v_mul_f32_e32 v39, v48, v39
	v_fmac_f32_e32 v14, v14, v39
	v_mov_b32_e32 v39, 0xbab64f3b
	v_fmac_f32_e32 v39, 0x37d75334, v48
	v_mov_b32_e32 v50, 0x3d2aabf7
	v_fma_f32 v39, v48, v39, v50
	v_mov_b32_e32 v51, 0xbf000004
	v_fma_f32 v39, v48, v39, v51
	v_and_b32_e32 v15, 1, v15
	s_movk_i32 s8, 0x1f8
	v_fma_f32 v39, v48, v39, 1.0
	v_cmp_eq_u32_e32 vcc, 0, v15
	v_cndmask_b32_e32 v14, v39, v14, vcc
	v_cmp_class_f32_e64 vcc, v2, s8
	v_lshlrev_b32_e32 v2, 30, v11
	v_xor_b32_e32 v10, v10, v9
	v_and_b32_e32 v2, 0x80000000, v2
	v_xor_b32_e32 v14, v7, v14
	v_mul_f32_e32 v7, v6, v6
	v_xor_b32_e32 v2, v10, v2
	v_mov_b32_e32 v10, 0x3c0881c4
	v_fmac_f32_e32 v10, 0xb94c1982, v7
	v_fma_f32 v10, v7, v10, v49
	v_mul_f32_e32 v10, v7, v10
	v_fmac_f32_e32 v6, v6, v10
	v_mov_b32_e32 v10, 0xbab64f3b
	v_fmac_f32_e32 v10, 0x37d75334, v7
	v_fma_f32 v10, v7, v10, v50
	v_fma_f32 v10, v7, v10, v51
	v_and_b32_e32 v11, 1, v11
	v_fma_f32 v7, v7, v10, 1.0
	v_cmp_eq_u32_e64 s[4:5], 0, v11
	v_cndmask_b32_e64 v6, v7, v6, s[4:5]
	v_xor_b32_e32 v2, v2, v6
	v_mov_b32_e32 v6, s11
	v_add_co_u32_e64 v0, s[6:7], s10, v0
	v_addc_co_u32_e64 v1, s[6:7], v1, v6, s[6:7]
	v_lshlrev_b32_e32 v53, 30, v17
	v_add_co_u32_e64 v6, s[6:7], v0, v8
	v_addc_co_u32_e64 v7, s[6:7], 0, v1, s[6:7]
	v_xor_b32_e32 v1, v18, v3
	v_xor_b32_e32 v13, v13, v12
	v_and_b32_e32 v18, 0x80000000, v53
	v_cmp_class_f32_e64 s[4:5], v9, s8
	v_mul_f32_e32 v9, v16, v16
	v_xor_b32_e32 v13, v13, v18
	v_mov_b32_e32 v18, 0x3c0881c4
	v_fmac_f32_e32 v18, 0xb94c1982, v9
	v_fma_f32 v18, v9, v18, v49
	v_mul_f32_e32 v18, v9, v18
	v_mul_f32_e32 v0, v20, v20
	v_fmac_f32_e32 v16, v16, v18
	v_mov_b32_e32 v18, 0x3c0881c4
	v_fmac_f32_e32 v18, 0xb94c1982, v0
	v_fma_f32 v18, v0, v18, v49
	v_mul_f32_e32 v18, v0, v18
	v_fmac_f32_e32 v20, v20, v18
	v_mov_b32_e32 v18, 0xbab64f3b
	v_fmac_f32_e32 v18, 0x37d75334, v9
	v_fma_f32 v18, v9, v18, v50
	v_fma_f32 v18, v9, v18, v51
	v_fma_f32 v9, v9, v18, 1.0
	v_mov_b32_e32 v18, 0xbab64f3b
	v_fmac_f32_e32 v18, 0x37d75334, v0
	v_fma_f32 v18, v0, v18, v50
	v_mov_b32_e32 v39, 0x7fc00000
	v_lshlrev_b32_e32 v52, 30, v22
	v_and_b32_e32 v22, 1, v22
	v_fma_f32 v18, v0, v18, v51
	v_and_b32_e32 v17, 1, v17
	v_fma_f32 v0, v0, v18, 1.0
	v_cndmask_b32_e32 v14, v39, v14, vcc
	v_cmp_eq_u32_e32 vcc, 0, v22
	v_and_b32_e32 v8, 0x80000000, v52
	v_cndmask_b32_e32 v0, v0, v20, vcc
	v_cmp_eq_u32_e32 vcc, 0, v17
	v_xor_b32_e32 v1, v1, v8
	v_cndmask_b32_e32 v9, v9, v16, vcc
	v_lshlrev_b32_e32 v48, 30, v29
	v_xor_b32_e32 v0, v1, v0
	v_xor_b32_e32 v1, v13, v9
	v_cmp_class_f32_e64 vcc, v12, s8
	v_lshlrev_b32_e32 v15, 30, v25
	v_cndmask_b32_e32 v1, v39, v1, vcc
	v_cmp_class_f32_e64 vcc, v3, s8
	v_xor_b32_e32 v3, v24, v4
	v_and_b32_e32 v12, 0x80000000, v48
	v_mul_f32_e32 v11, v28, v28
	v_xor_b32_e32 v9, v21, v19
	v_and_b32_e32 v13, 0x80000000, v15
	v_xor_b32_e32 v3, v3, v12
	v_mov_b32_e32 v12, 0x3c0881c4
	v_mul_f32_e32 v10, v23, v23
	v_xor_b32_e32 v9, v9, v13
	v_fmac_f32_e32 v12, 0xb94c1982, v11
	v_mov_b32_e32 v13, 0x3c0881c4
	v_fmac_f32_e32 v13, 0xb94c1982, v10
	v_fma_f32 v12, v11, v12, v49
	v_fma_f32 v13, v10, v13, v49
	v_mul_f32_e32 v12, v11, v12
	v_mul_f32_e32 v13, v10, v13
	v_fmac_f32_e32 v28, v28, v12
	v_mov_b32_e32 v12, 0xbab64f3b
	v_fmac_f32_e32 v23, v23, v13
	v_fmac_f32_e32 v12, 0x37d75334, v11
	v_mov_b32_e32 v13, 0xbab64f3b
	v_fmac_f32_e32 v13, 0x37d75334, v10
	v_fma_f32 v12, v11, v12, v50
	v_and_b32_e32 v29, 1, v29
	v_fma_f32 v13, v10, v13, v50
	v_fma_f32 v12, v11, v12, v51
	v_and_b32_e32 v25, 1, v25
	v_cndmask_b32_e32 v0, v39, v0, vcc
	v_fma_f32 v13, v10, v13, v51
	v_fma_f32 v11, v11, v12, 1.0
	v_cmp_eq_u32_e32 vcc, 0, v29
	v_fma_f32 v10, v10, v13, 1.0
	v_cndmask_b32_e32 v11, v11, v28, vcc
	v_cmp_eq_u32_e32 vcc, 0, v25
	v_cndmask_b32_e32 v10, v10, v23, vcc
	v_xor_b32_e32 v9, v9, v10
	v_cmp_class_f32_e64 vcc, v19, s8
	v_xor_b32_e32 v3, v3, v11
	v_cndmask_b32_e32 v9, v39, v9, vcc
	v_cmp_class_f32_e64 vcc, v4, s8
	v_cndmask_b32_e32 v3, v39, v3, vcc
	v_mul_f32_e32 v37, v30, v30
	v_mul_f32_e32 v38, v32, v32
	v_mov_b32_e32 v8, 0x3c0881c4
	v_cvt_f16_f32_e32 v4, v3
	v_mov_b32_e32 v3, 0x3c0881c4
	v_fmac_f32_e32 v3, 0xb94c1982, v38
	v_fmac_f32_e32 v8, 0xb94c1982, v37
	v_fma_f32 v8, v37, v8, v49
	v_fmac_f32_e32 v49, v38, v3
	v_mul_f32_e32 v3, v38, v49
	v_mov_b32_e32 v18, 0xbab64f3b
	v_fmac_f32_e32 v32, v32, v3
	v_mov_b32_e32 v3, 0xbab64f3b
	v_mul_f32_e32 v8, v37, v8
	v_fmac_f32_e32 v3, 0x37d75334, v38
	v_fmac_f32_e32 v18, 0x37d75334, v37
	;; [unrolled: 1-line block ×3, first 2 shown]
	v_fma_f32 v8, v37, v18, v50
	v_fmac_f32_e32 v50, v38, v3
	v_lshlrev_b32_e32 v35, 30, v34
	v_and_b32_e32 v34, 1, v34
	v_fma_f32 v3, v38, v50, v51
	v_lshlrev_b32_e32 v36, 30, v33
	v_and_b32_e32 v33, 1, v33
	v_fmac_f32_e32 v51, v37, v8
	v_fma_f32 v3, v38, v3, 1.0
	v_cmp_eq_u32_e32 vcc, 0, v34
	v_fma_f32 v8, v37, v51, 1.0
	v_cndmask_b32_e32 v3, v3, v32, vcc
	v_cmp_eq_u32_e32 vcc, 0, v33
	v_and_b32_e32 v11, 0x80000000, v36
	v_xor_b32_e32 v13, v27, v26
	v_cndmask_b32_e32 v8, v8, v30, vcc
	v_and_b32_e32 v10, 0x80000000, v35
	v_xor_b32_e32 v12, v31, v5
	v_xor_b32_e32 v11, v13, v11
	;; [unrolled: 1-line block ×4, first 2 shown]
	v_cmp_class_f32_e64 vcc, v26, s8
	v_xor_b32_e32 v3, v10, v3
	v_cndmask_b32_e32 v8, v39, v8, vcc
	v_cmp_class_f32_e64 vcc, v5, s8
	v_cndmask_b32_e64 v2, v39, v2, s[4:5]
	v_cndmask_b32_e32 v3, v39, v3, vcc
	v_cvt_f16_f32_e32 v14, v14
	v_cvt_f16_f32_e32 v0, v0
	;; [unrolled: 1-line block ×7, first 2 shown]
	v_pack_b32_f16 v3, v5, v3
	v_pack_b32_f16 v2, v8, v4
	;; [unrolled: 1-line block ×4, first 2 shown]
	flat_store_dwordx4 v[6:7], v[0:3]
	s_waitcnt vmcnt(0) lgkmcnt(0)
	s_setpc_b64 s[30:31]
.Lfunc_end17:
	.size	_ZN2at6native25elementwise_kernel_helperILb0EZZZNS0_15sin_kernel_cudaERNS_18TensorIteratorBaseEENKUlvE0_clEvENKUlvE1_clEvEUlN3c104HalfEE_NS0_6memory8policies10vectorizedILi8ESt5arrayIPcLm2EELi8EEEEEvT0_T1_, .Lfunc_end17-_ZN2at6native25elementwise_kernel_helperILb0EZZZNS0_15sin_kernel_cudaERNS_18TensorIteratorBaseEENKUlvE0_clEvENKUlvE1_clEvEUlN3c104HalfEE_NS0_6memory8policies10vectorizedILi8ESt5arrayIPcLm2EELi8EEEEEvT0_T1_
                                        ; -- End function
	.set .L_ZN2at6native25elementwise_kernel_helperILb0EZZZNS0_15sin_kernel_cudaERNS_18TensorIteratorBaseEENKUlvE0_clEvENKUlvE1_clEvEUlN3c104HalfEE_NS0_6memory8policies10vectorizedILi8ESt5arrayIPcLm2EELi8EEEEEvT0_T1_.num_vgpr, 54
	.set .L_ZN2at6native25elementwise_kernel_helperILb0EZZZNS0_15sin_kernel_cudaERNS_18TensorIteratorBaseEENKUlvE0_clEvENKUlvE1_clEvEUlN3c104HalfEE_NS0_6memory8policies10vectorizedILi8ESt5arrayIPcLm2EELi8EEEEEvT0_T1_.num_agpr, 0
	.set .L_ZN2at6native25elementwise_kernel_helperILb0EZZZNS0_15sin_kernel_cudaERNS_18TensorIteratorBaseEENKUlvE0_clEvENKUlvE1_clEvEUlN3c104HalfEE_NS0_6memory8policies10vectorizedILi8ESt5arrayIPcLm2EELi8EEEEEvT0_T1_.numbered_sgpr, 32
	.set .L_ZN2at6native25elementwise_kernel_helperILb0EZZZNS0_15sin_kernel_cudaERNS_18TensorIteratorBaseEENKUlvE0_clEvENKUlvE1_clEvEUlN3c104HalfEE_NS0_6memory8policies10vectorizedILi8ESt5arrayIPcLm2EELi8EEEEEvT0_T1_.num_named_barrier, 0
	.set .L_ZN2at6native25elementwise_kernel_helperILb0EZZZNS0_15sin_kernel_cudaERNS_18TensorIteratorBaseEENKUlvE0_clEvENKUlvE1_clEvEUlN3c104HalfEE_NS0_6memory8policies10vectorizedILi8ESt5arrayIPcLm2EELi8EEEEEvT0_T1_.private_seg_size, 0
	.set .L_ZN2at6native25elementwise_kernel_helperILb0EZZZNS0_15sin_kernel_cudaERNS_18TensorIteratorBaseEENKUlvE0_clEvENKUlvE1_clEvEUlN3c104HalfEE_NS0_6memory8policies10vectorizedILi8ESt5arrayIPcLm2EELi8EEEEEvT0_T1_.uses_vcc, 1
	.set .L_ZN2at6native25elementwise_kernel_helperILb0EZZZNS0_15sin_kernel_cudaERNS_18TensorIteratorBaseEENKUlvE0_clEvENKUlvE1_clEvEUlN3c104HalfEE_NS0_6memory8policies10vectorizedILi8ESt5arrayIPcLm2EELi8EEEEEvT0_T1_.uses_flat_scratch, 0
	.set .L_ZN2at6native25elementwise_kernel_helperILb0EZZZNS0_15sin_kernel_cudaERNS_18TensorIteratorBaseEENKUlvE0_clEvENKUlvE1_clEvEUlN3c104HalfEE_NS0_6memory8policies10vectorizedILi8ESt5arrayIPcLm2EELi8EEEEEvT0_T1_.has_dyn_sized_stack, 0
	.set .L_ZN2at6native25elementwise_kernel_helperILb0EZZZNS0_15sin_kernel_cudaERNS_18TensorIteratorBaseEENKUlvE0_clEvENKUlvE1_clEvEUlN3c104HalfEE_NS0_6memory8policies10vectorizedILi8ESt5arrayIPcLm2EELi8EEEEEvT0_T1_.has_recursion, 0
	.set .L_ZN2at6native25elementwise_kernel_helperILb0EZZZNS0_15sin_kernel_cudaERNS_18TensorIteratorBaseEENKUlvE0_clEvENKUlvE1_clEvEUlN3c104HalfEE_NS0_6memory8policies10vectorizedILi8ESt5arrayIPcLm2EELi8EEEEEvT0_T1_.has_indirect_call, 0
	.section	.AMDGPU.csdata,"",@progbits
; Function info:
; codeLenInByte = 6792
; TotalNumSgprs: 36
; NumVgprs: 54
; ScratchSize: 0
; MemoryBound: 0
	.section	.text._ZN2at6native29vectorized_elementwise_kernelILi16EZZZNS0_15sin_kernel_cudaERNS_18TensorIteratorBaseEENKUlvE0_clEvENKUlvE1_clEvEUlN3c104HalfEE_St5arrayIPcLm2EEEEviT0_T1_,"axG",@progbits,_ZN2at6native29vectorized_elementwise_kernelILi16EZZZNS0_15sin_kernel_cudaERNS_18TensorIteratorBaseEENKUlvE0_clEvENKUlvE1_clEvEUlN3c104HalfEE_St5arrayIPcLm2EEEEviT0_T1_,comdat
	.globl	_ZN2at6native29vectorized_elementwise_kernelILi16EZZZNS0_15sin_kernel_cudaERNS_18TensorIteratorBaseEENKUlvE0_clEvENKUlvE1_clEvEUlN3c104HalfEE_St5arrayIPcLm2EEEEviT0_T1_ ; -- Begin function _ZN2at6native29vectorized_elementwise_kernelILi16EZZZNS0_15sin_kernel_cudaERNS_18TensorIteratorBaseEENKUlvE0_clEvENKUlvE1_clEvEUlN3c104HalfEE_St5arrayIPcLm2EEEEviT0_T1_
	.p2align	8
	.type	_ZN2at6native29vectorized_elementwise_kernelILi16EZZZNS0_15sin_kernel_cudaERNS_18TensorIteratorBaseEENKUlvE0_clEvENKUlvE1_clEvEUlN3c104HalfEE_St5arrayIPcLm2EEEEviT0_T1_,@function
_ZN2at6native29vectorized_elementwise_kernelILi16EZZZNS0_15sin_kernel_cudaERNS_18TensorIteratorBaseEENKUlvE0_clEvENKUlvE1_clEvEUlN3c104HalfEE_St5arrayIPcLm2EEEEviT0_T1_: ; @_ZN2at6native29vectorized_elementwise_kernelILi16EZZZNS0_15sin_kernel_cudaERNS_18TensorIteratorBaseEENKUlvE0_clEvENKUlvE1_clEvEUlN3c104HalfEE_St5arrayIPcLm2EEEEviT0_T1_
; %bb.0:
	s_mov_b32 s14, s6
	s_load_dword s6, s[4:5], 0x0
	s_load_dwordx4 s[16:19], s[4:5], 0x8
	s_add_u32 s0, s0, s7
	s_addc_u32 s1, s1, 0
	s_lshl_b32 s4, s14, 11
	s_waitcnt lgkmcnt(0)
	s_sub_i32 s15, s6, s4
	v_mov_b32_e32 v40, v0
	s_cmpk_gt_i32 s15, 0x7ff
	s_mov_b64 s[4:5], -1
	s_mov_b32 s32, 0
	s_cbranch_scc1 .LBB18_3
; %bb.1:
	s_andn2_b64 vcc, exec, s[4:5]
	s_cbranch_vccz .LBB18_4
.LBB18_2:
	s_endpgm
.LBB18_3:
	s_getpc_b64 s[4:5]
	s_add_u32 s4, s4, _ZN2at6native25elementwise_kernel_helperILb0EZZZNS0_15sin_kernel_cudaERNS_18TensorIteratorBaseEENKUlvE0_clEvENKUlvE1_clEvEUlN3c104HalfEE_NS0_6memory8policies10vectorizedILi8ESt5arrayIPcLm2EELi8EEEEEvT0_T1_@rel32@lo+4
	s_addc_u32 s5, s5, _ZN2at6native25elementwise_kernel_helperILb0EZZZNS0_15sin_kernel_cudaERNS_18TensorIteratorBaseEENKUlvE0_clEvENKUlvE1_clEvEUlN3c104HalfEE_NS0_6memory8policies10vectorizedILi8ESt5arrayIPcLm2EELi8EEEEEvT0_T1_@rel32@hi+12
	s_mov_b32 s12, s14
	v_mov_b32_e32 v31, v40
	v_mov_b32_e32 v0, s16
	;; [unrolled: 1-line block ×5, first 2 shown]
	s_swappc_b64 s[30:31], s[4:5]
	s_cbranch_execnz .LBB18_2
.LBB18_4:
	s_getpc_b64 s[4:5]
	s_add_u32 s4, s4, _ZN2at6native25elementwise_kernel_helperILb0EZZZNS0_15sin_kernel_cudaERNS_18TensorIteratorBaseEENKUlvE0_clEvENKUlvE1_clEvEUlN3c104HalfEE_NS0_6memory8policies11unroll_baseILi256ESt5arrayIPcLm2EE23TrivialOffsetCalculatorILi1EjESG_NS9_15LoadWithoutCastENS9_16StoreWithoutCastELi8ELi1EEEEEvT0_T1_@rel32@lo+4
	s_addc_u32 s5, s5, _ZN2at6native25elementwise_kernel_helperILb0EZZZNS0_15sin_kernel_cudaERNS_18TensorIteratorBaseEENKUlvE0_clEvENKUlvE1_clEvEUlN3c104HalfEE_NS0_6memory8policies11unroll_baseILi256ESt5arrayIPcLm2EE23TrivialOffsetCalculatorILi1EjESG_NS9_15LoadWithoutCastENS9_16StoreWithoutCastELi8ELi1EEEEEvT0_T1_@rel32@hi+12
	s_mov_b32 s12, s14
	v_mov_b32_e32 v31, v40
	v_mov_b32_e32 v0, s16
	;; [unrolled: 1-line block ×6, first 2 shown]
	s_swappc_b64 s[30:31], s[4:5]
	s_endpgm
	.section	.rodata,"a",@progbits
	.p2align	6, 0x0
	.amdhsa_kernel _ZN2at6native29vectorized_elementwise_kernelILi16EZZZNS0_15sin_kernel_cudaERNS_18TensorIteratorBaseEENKUlvE0_clEvENKUlvE1_clEvEUlN3c104HalfEE_St5arrayIPcLm2EEEEviT0_T1_
		.amdhsa_group_segment_fixed_size 0
		.amdhsa_private_segment_fixed_size 0
		.amdhsa_kernarg_size 24
		.amdhsa_user_sgpr_count 6
		.amdhsa_user_sgpr_private_segment_buffer 1
		.amdhsa_user_sgpr_dispatch_ptr 0
		.amdhsa_user_sgpr_queue_ptr 0
		.amdhsa_user_sgpr_kernarg_segment_ptr 1
		.amdhsa_user_sgpr_dispatch_id 0
		.amdhsa_user_sgpr_flat_scratch_init 0
		.amdhsa_user_sgpr_private_segment_size 0
		.amdhsa_uses_dynamic_stack 0
		.amdhsa_system_sgpr_private_segment_wavefront_offset 0
		.amdhsa_system_sgpr_workgroup_id_x 1
		.amdhsa_system_sgpr_workgroup_id_y 0
		.amdhsa_system_sgpr_workgroup_id_z 0
		.amdhsa_system_sgpr_workgroup_info 0
		.amdhsa_system_vgpr_workitem_id 0
		.amdhsa_next_free_vgpr 54
		.amdhsa_next_free_sgpr 33
		.amdhsa_reserve_vcc 1
		.amdhsa_reserve_flat_scratch 0
		.amdhsa_float_round_mode_32 0
		.amdhsa_float_round_mode_16_64 0
		.amdhsa_float_denorm_mode_32 3
		.amdhsa_float_denorm_mode_16_64 3
		.amdhsa_dx10_clamp 1
		.amdhsa_ieee_mode 1
		.amdhsa_fp16_overflow 0
		.amdhsa_exception_fp_ieee_invalid_op 0
		.amdhsa_exception_fp_denorm_src 0
		.amdhsa_exception_fp_ieee_div_zero 0
		.amdhsa_exception_fp_ieee_overflow 0
		.amdhsa_exception_fp_ieee_underflow 0
		.amdhsa_exception_fp_ieee_inexact 0
		.amdhsa_exception_int_div_zero 0
	.end_amdhsa_kernel
	.section	.text._ZN2at6native29vectorized_elementwise_kernelILi16EZZZNS0_15sin_kernel_cudaERNS_18TensorIteratorBaseEENKUlvE0_clEvENKUlvE1_clEvEUlN3c104HalfEE_St5arrayIPcLm2EEEEviT0_T1_,"axG",@progbits,_ZN2at6native29vectorized_elementwise_kernelILi16EZZZNS0_15sin_kernel_cudaERNS_18TensorIteratorBaseEENKUlvE0_clEvENKUlvE1_clEvEUlN3c104HalfEE_St5arrayIPcLm2EEEEviT0_T1_,comdat
.Lfunc_end18:
	.size	_ZN2at6native29vectorized_elementwise_kernelILi16EZZZNS0_15sin_kernel_cudaERNS_18TensorIteratorBaseEENKUlvE0_clEvENKUlvE1_clEvEUlN3c104HalfEE_St5arrayIPcLm2EEEEviT0_T1_, .Lfunc_end18-_ZN2at6native29vectorized_elementwise_kernelILi16EZZZNS0_15sin_kernel_cudaERNS_18TensorIteratorBaseEENKUlvE0_clEvENKUlvE1_clEvEUlN3c104HalfEE_St5arrayIPcLm2EEEEviT0_T1_
                                        ; -- End function
	.set _ZN2at6native29vectorized_elementwise_kernelILi16EZZZNS0_15sin_kernel_cudaERNS_18TensorIteratorBaseEENKUlvE0_clEvENKUlvE1_clEvEUlN3c104HalfEE_St5arrayIPcLm2EEEEviT0_T1_.num_vgpr, max(41, .L_ZN2at6native25elementwise_kernel_helperILb0EZZZNS0_15sin_kernel_cudaERNS_18TensorIteratorBaseEENKUlvE0_clEvENKUlvE1_clEvEUlN3c104HalfEE_NS0_6memory8policies10vectorizedILi8ESt5arrayIPcLm2EELi8EEEEEvT0_T1_.num_vgpr, .L_ZN2at6native25elementwise_kernel_helperILb0EZZZNS0_15sin_kernel_cudaERNS_18TensorIteratorBaseEENKUlvE0_clEvENKUlvE1_clEvEUlN3c104HalfEE_NS0_6memory8policies11unroll_baseILi256ESt5arrayIPcLm2EE23TrivialOffsetCalculatorILi1EjESG_NS9_15LoadWithoutCastENS9_16StoreWithoutCastELi8ELi1EEEEEvT0_T1_.num_vgpr)
	.set _ZN2at6native29vectorized_elementwise_kernelILi16EZZZNS0_15sin_kernel_cudaERNS_18TensorIteratorBaseEENKUlvE0_clEvENKUlvE1_clEvEUlN3c104HalfEE_St5arrayIPcLm2EEEEviT0_T1_.num_agpr, max(0, .L_ZN2at6native25elementwise_kernel_helperILb0EZZZNS0_15sin_kernel_cudaERNS_18TensorIteratorBaseEENKUlvE0_clEvENKUlvE1_clEvEUlN3c104HalfEE_NS0_6memory8policies10vectorizedILi8ESt5arrayIPcLm2EELi8EEEEEvT0_T1_.num_agpr, .L_ZN2at6native25elementwise_kernel_helperILb0EZZZNS0_15sin_kernel_cudaERNS_18TensorIteratorBaseEENKUlvE0_clEvENKUlvE1_clEvEUlN3c104HalfEE_NS0_6memory8policies11unroll_baseILi256ESt5arrayIPcLm2EE23TrivialOffsetCalculatorILi1EjESG_NS9_15LoadWithoutCastENS9_16StoreWithoutCastELi8ELi1EEEEEvT0_T1_.num_agpr)
	.set _ZN2at6native29vectorized_elementwise_kernelILi16EZZZNS0_15sin_kernel_cudaERNS_18TensorIteratorBaseEENKUlvE0_clEvENKUlvE1_clEvEUlN3c104HalfEE_St5arrayIPcLm2EEEEviT0_T1_.numbered_sgpr, max(33, .L_ZN2at6native25elementwise_kernel_helperILb0EZZZNS0_15sin_kernel_cudaERNS_18TensorIteratorBaseEENKUlvE0_clEvENKUlvE1_clEvEUlN3c104HalfEE_NS0_6memory8policies10vectorizedILi8ESt5arrayIPcLm2EELi8EEEEEvT0_T1_.numbered_sgpr, .L_ZN2at6native25elementwise_kernel_helperILb0EZZZNS0_15sin_kernel_cudaERNS_18TensorIteratorBaseEENKUlvE0_clEvENKUlvE1_clEvEUlN3c104HalfEE_NS0_6memory8policies11unroll_baseILi256ESt5arrayIPcLm2EE23TrivialOffsetCalculatorILi1EjESG_NS9_15LoadWithoutCastENS9_16StoreWithoutCastELi8ELi1EEEEEvT0_T1_.numbered_sgpr)
	.set _ZN2at6native29vectorized_elementwise_kernelILi16EZZZNS0_15sin_kernel_cudaERNS_18TensorIteratorBaseEENKUlvE0_clEvENKUlvE1_clEvEUlN3c104HalfEE_St5arrayIPcLm2EEEEviT0_T1_.num_named_barrier, max(0, .L_ZN2at6native25elementwise_kernel_helperILb0EZZZNS0_15sin_kernel_cudaERNS_18TensorIteratorBaseEENKUlvE0_clEvENKUlvE1_clEvEUlN3c104HalfEE_NS0_6memory8policies10vectorizedILi8ESt5arrayIPcLm2EELi8EEEEEvT0_T1_.num_named_barrier, .L_ZN2at6native25elementwise_kernel_helperILb0EZZZNS0_15sin_kernel_cudaERNS_18TensorIteratorBaseEENKUlvE0_clEvENKUlvE1_clEvEUlN3c104HalfEE_NS0_6memory8policies11unroll_baseILi256ESt5arrayIPcLm2EE23TrivialOffsetCalculatorILi1EjESG_NS9_15LoadWithoutCastENS9_16StoreWithoutCastELi8ELi1EEEEEvT0_T1_.num_named_barrier)
	.set _ZN2at6native29vectorized_elementwise_kernelILi16EZZZNS0_15sin_kernel_cudaERNS_18TensorIteratorBaseEENKUlvE0_clEvENKUlvE1_clEvEUlN3c104HalfEE_St5arrayIPcLm2EEEEviT0_T1_.private_seg_size, 0+max(.L_ZN2at6native25elementwise_kernel_helperILb0EZZZNS0_15sin_kernel_cudaERNS_18TensorIteratorBaseEENKUlvE0_clEvENKUlvE1_clEvEUlN3c104HalfEE_NS0_6memory8policies10vectorizedILi8ESt5arrayIPcLm2EELi8EEEEEvT0_T1_.private_seg_size, .L_ZN2at6native25elementwise_kernel_helperILb0EZZZNS0_15sin_kernel_cudaERNS_18TensorIteratorBaseEENKUlvE0_clEvENKUlvE1_clEvEUlN3c104HalfEE_NS0_6memory8policies11unroll_baseILi256ESt5arrayIPcLm2EE23TrivialOffsetCalculatorILi1EjESG_NS9_15LoadWithoutCastENS9_16StoreWithoutCastELi8ELi1EEEEEvT0_T1_.private_seg_size)
	.set _ZN2at6native29vectorized_elementwise_kernelILi16EZZZNS0_15sin_kernel_cudaERNS_18TensorIteratorBaseEENKUlvE0_clEvENKUlvE1_clEvEUlN3c104HalfEE_St5arrayIPcLm2EEEEviT0_T1_.uses_vcc, or(1, .L_ZN2at6native25elementwise_kernel_helperILb0EZZZNS0_15sin_kernel_cudaERNS_18TensorIteratorBaseEENKUlvE0_clEvENKUlvE1_clEvEUlN3c104HalfEE_NS0_6memory8policies10vectorizedILi8ESt5arrayIPcLm2EELi8EEEEEvT0_T1_.uses_vcc, .L_ZN2at6native25elementwise_kernel_helperILb0EZZZNS0_15sin_kernel_cudaERNS_18TensorIteratorBaseEENKUlvE0_clEvENKUlvE1_clEvEUlN3c104HalfEE_NS0_6memory8policies11unroll_baseILi256ESt5arrayIPcLm2EE23TrivialOffsetCalculatorILi1EjESG_NS9_15LoadWithoutCastENS9_16StoreWithoutCastELi8ELi1EEEEEvT0_T1_.uses_vcc)
	.set _ZN2at6native29vectorized_elementwise_kernelILi16EZZZNS0_15sin_kernel_cudaERNS_18TensorIteratorBaseEENKUlvE0_clEvENKUlvE1_clEvEUlN3c104HalfEE_St5arrayIPcLm2EEEEviT0_T1_.uses_flat_scratch, or(0, .L_ZN2at6native25elementwise_kernel_helperILb0EZZZNS0_15sin_kernel_cudaERNS_18TensorIteratorBaseEENKUlvE0_clEvENKUlvE1_clEvEUlN3c104HalfEE_NS0_6memory8policies10vectorizedILi8ESt5arrayIPcLm2EELi8EEEEEvT0_T1_.uses_flat_scratch, .L_ZN2at6native25elementwise_kernel_helperILb0EZZZNS0_15sin_kernel_cudaERNS_18TensorIteratorBaseEENKUlvE0_clEvENKUlvE1_clEvEUlN3c104HalfEE_NS0_6memory8policies11unroll_baseILi256ESt5arrayIPcLm2EE23TrivialOffsetCalculatorILi1EjESG_NS9_15LoadWithoutCastENS9_16StoreWithoutCastELi8ELi1EEEEEvT0_T1_.uses_flat_scratch)
	.set _ZN2at6native29vectorized_elementwise_kernelILi16EZZZNS0_15sin_kernel_cudaERNS_18TensorIteratorBaseEENKUlvE0_clEvENKUlvE1_clEvEUlN3c104HalfEE_St5arrayIPcLm2EEEEviT0_T1_.has_dyn_sized_stack, or(0, .L_ZN2at6native25elementwise_kernel_helperILb0EZZZNS0_15sin_kernel_cudaERNS_18TensorIteratorBaseEENKUlvE0_clEvENKUlvE1_clEvEUlN3c104HalfEE_NS0_6memory8policies10vectorizedILi8ESt5arrayIPcLm2EELi8EEEEEvT0_T1_.has_dyn_sized_stack, .L_ZN2at6native25elementwise_kernel_helperILb0EZZZNS0_15sin_kernel_cudaERNS_18TensorIteratorBaseEENKUlvE0_clEvENKUlvE1_clEvEUlN3c104HalfEE_NS0_6memory8policies11unroll_baseILi256ESt5arrayIPcLm2EE23TrivialOffsetCalculatorILi1EjESG_NS9_15LoadWithoutCastENS9_16StoreWithoutCastELi8ELi1EEEEEvT0_T1_.has_dyn_sized_stack)
	.set _ZN2at6native29vectorized_elementwise_kernelILi16EZZZNS0_15sin_kernel_cudaERNS_18TensorIteratorBaseEENKUlvE0_clEvENKUlvE1_clEvEUlN3c104HalfEE_St5arrayIPcLm2EEEEviT0_T1_.has_recursion, or(0, .L_ZN2at6native25elementwise_kernel_helperILb0EZZZNS0_15sin_kernel_cudaERNS_18TensorIteratorBaseEENKUlvE0_clEvENKUlvE1_clEvEUlN3c104HalfEE_NS0_6memory8policies10vectorizedILi8ESt5arrayIPcLm2EELi8EEEEEvT0_T1_.has_recursion, .L_ZN2at6native25elementwise_kernel_helperILb0EZZZNS0_15sin_kernel_cudaERNS_18TensorIteratorBaseEENKUlvE0_clEvENKUlvE1_clEvEUlN3c104HalfEE_NS0_6memory8policies11unroll_baseILi256ESt5arrayIPcLm2EE23TrivialOffsetCalculatorILi1EjESG_NS9_15LoadWithoutCastENS9_16StoreWithoutCastELi8ELi1EEEEEvT0_T1_.has_recursion)
	.set _ZN2at6native29vectorized_elementwise_kernelILi16EZZZNS0_15sin_kernel_cudaERNS_18TensorIteratorBaseEENKUlvE0_clEvENKUlvE1_clEvEUlN3c104HalfEE_St5arrayIPcLm2EEEEviT0_T1_.has_indirect_call, or(0, .L_ZN2at6native25elementwise_kernel_helperILb0EZZZNS0_15sin_kernel_cudaERNS_18TensorIteratorBaseEENKUlvE0_clEvENKUlvE1_clEvEUlN3c104HalfEE_NS0_6memory8policies10vectorizedILi8ESt5arrayIPcLm2EELi8EEEEEvT0_T1_.has_indirect_call, .L_ZN2at6native25elementwise_kernel_helperILb0EZZZNS0_15sin_kernel_cudaERNS_18TensorIteratorBaseEENKUlvE0_clEvENKUlvE1_clEvEUlN3c104HalfEE_NS0_6memory8policies11unroll_baseILi256ESt5arrayIPcLm2EE23TrivialOffsetCalculatorILi1EjESG_NS9_15LoadWithoutCastENS9_16StoreWithoutCastELi8ELi1EEEEEvT0_T1_.has_indirect_call)
	.section	.AMDGPU.csdata,"",@progbits
; Kernel info:
; codeLenInByte = 180
; TotalNumSgprs: 37
; NumVgprs: 54
; ScratchSize: 0
; MemoryBound: 0
; FloatMode: 240
; IeeeMode: 1
; LDSByteSize: 0 bytes/workgroup (compile time only)
; SGPRBlocks: 4
; VGPRBlocks: 13
; NumSGPRsForWavesPerEU: 37
; NumVGPRsForWavesPerEU: 54
; Occupancy: 4
; WaveLimiterHint : 0
; COMPUTE_PGM_RSRC2:SCRATCH_EN: 0
; COMPUTE_PGM_RSRC2:USER_SGPR: 6
; COMPUTE_PGM_RSRC2:TRAP_HANDLER: 0
; COMPUTE_PGM_RSRC2:TGID_X_EN: 1
; COMPUTE_PGM_RSRC2:TGID_Y_EN: 0
; COMPUTE_PGM_RSRC2:TGID_Z_EN: 0
; COMPUTE_PGM_RSRC2:TIDIG_COMP_CNT: 0
	.section	.text._ZN2at6native29vectorized_elementwise_kernelILi8EZZZNS0_15sin_kernel_cudaERNS_18TensorIteratorBaseEENKUlvE0_clEvENKUlvE1_clEvEUlN3c104HalfEE_St5arrayIPcLm2EEEEviT0_T1_,"axG",@progbits,_ZN2at6native29vectorized_elementwise_kernelILi8EZZZNS0_15sin_kernel_cudaERNS_18TensorIteratorBaseEENKUlvE0_clEvENKUlvE1_clEvEUlN3c104HalfEE_St5arrayIPcLm2EEEEviT0_T1_,comdat
	.globl	_ZN2at6native29vectorized_elementwise_kernelILi8EZZZNS0_15sin_kernel_cudaERNS_18TensorIteratorBaseEENKUlvE0_clEvENKUlvE1_clEvEUlN3c104HalfEE_St5arrayIPcLm2EEEEviT0_T1_ ; -- Begin function _ZN2at6native29vectorized_elementwise_kernelILi8EZZZNS0_15sin_kernel_cudaERNS_18TensorIteratorBaseEENKUlvE0_clEvENKUlvE1_clEvEUlN3c104HalfEE_St5arrayIPcLm2EEEEviT0_T1_
	.p2align	8
	.type	_ZN2at6native29vectorized_elementwise_kernelILi8EZZZNS0_15sin_kernel_cudaERNS_18TensorIteratorBaseEENKUlvE0_clEvENKUlvE1_clEvEUlN3c104HalfEE_St5arrayIPcLm2EEEEviT0_T1_,@function
_ZN2at6native29vectorized_elementwise_kernelILi8EZZZNS0_15sin_kernel_cudaERNS_18TensorIteratorBaseEENKUlvE0_clEvENKUlvE1_clEvEUlN3c104HalfEE_St5arrayIPcLm2EEEEviT0_T1_: ; @_ZN2at6native29vectorized_elementwise_kernelILi8EZZZNS0_15sin_kernel_cudaERNS_18TensorIteratorBaseEENKUlvE0_clEvENKUlvE1_clEvEUlN3c104HalfEE_St5arrayIPcLm2EEEEviT0_T1_
; %bb.0:
	s_mov_b32 s14, s6
	s_load_dword s6, s[4:5], 0x0
	s_load_dwordx4 s[16:19], s[4:5], 0x8
	s_add_u32 s0, s0, s7
	s_addc_u32 s1, s1, 0
	s_lshl_b32 s4, s14, 11
	s_waitcnt lgkmcnt(0)
	s_sub_i32 s15, s6, s4
	v_mov_b32_e32 v40, v0
	s_cmpk_gt_i32 s15, 0x7ff
	s_mov_b64 s[4:5], -1
	s_mov_b32 s32, 0
	s_cbranch_scc1 .LBB19_3
; %bb.1:
	s_andn2_b64 vcc, exec, s[4:5]
	s_cbranch_vccz .LBB19_4
.LBB19_2:
	s_endpgm
.LBB19_3:
	s_getpc_b64 s[4:5]
	s_add_u32 s4, s4, _ZN2at6native25elementwise_kernel_helperILb0EZZZNS0_15sin_kernel_cudaERNS_18TensorIteratorBaseEENKUlvE0_clEvENKUlvE1_clEvEUlN3c104HalfEE_NS0_6memory8policies10vectorizedILi8ESt5arrayIPcLm2EELi8EEEEEvT0_T1_@rel32@lo+4
	s_addc_u32 s5, s5, _ZN2at6native25elementwise_kernel_helperILb0EZZZNS0_15sin_kernel_cudaERNS_18TensorIteratorBaseEENKUlvE0_clEvENKUlvE1_clEvEUlN3c104HalfEE_NS0_6memory8policies10vectorizedILi8ESt5arrayIPcLm2EELi8EEEEEvT0_T1_@rel32@hi+12
	s_mov_b32 s12, s14
	v_mov_b32_e32 v31, v40
	v_mov_b32_e32 v0, s16
	;; [unrolled: 1-line block ×5, first 2 shown]
	s_swappc_b64 s[30:31], s[4:5]
	s_cbranch_execnz .LBB19_2
.LBB19_4:
	s_getpc_b64 s[4:5]
	s_add_u32 s4, s4, _ZN2at6native25elementwise_kernel_helperILb0EZZZNS0_15sin_kernel_cudaERNS_18TensorIteratorBaseEENKUlvE0_clEvENKUlvE1_clEvEUlN3c104HalfEE_NS0_6memory8policies11unroll_baseILi256ESt5arrayIPcLm2EE23TrivialOffsetCalculatorILi1EjESG_NS9_15LoadWithoutCastENS9_16StoreWithoutCastELi8ELi1EEEEEvT0_T1_@rel32@lo+4
	s_addc_u32 s5, s5, _ZN2at6native25elementwise_kernel_helperILb0EZZZNS0_15sin_kernel_cudaERNS_18TensorIteratorBaseEENKUlvE0_clEvENKUlvE1_clEvEUlN3c104HalfEE_NS0_6memory8policies11unroll_baseILi256ESt5arrayIPcLm2EE23TrivialOffsetCalculatorILi1EjESG_NS9_15LoadWithoutCastENS9_16StoreWithoutCastELi8ELi1EEEEEvT0_T1_@rel32@hi+12
	s_mov_b32 s12, s14
	v_mov_b32_e32 v31, v40
	v_mov_b32_e32 v0, s16
	v_mov_b32_e32 v1, s17
	v_mov_b32_e32 v2, s18
	v_mov_b32_e32 v3, s19
	v_mov_b32_e32 v4, s15
	s_swappc_b64 s[30:31], s[4:5]
	s_endpgm
	.section	.rodata,"a",@progbits
	.p2align	6, 0x0
	.amdhsa_kernel _ZN2at6native29vectorized_elementwise_kernelILi8EZZZNS0_15sin_kernel_cudaERNS_18TensorIteratorBaseEENKUlvE0_clEvENKUlvE1_clEvEUlN3c104HalfEE_St5arrayIPcLm2EEEEviT0_T1_
		.amdhsa_group_segment_fixed_size 0
		.amdhsa_private_segment_fixed_size 0
		.amdhsa_kernarg_size 24
		.amdhsa_user_sgpr_count 6
		.amdhsa_user_sgpr_private_segment_buffer 1
		.amdhsa_user_sgpr_dispatch_ptr 0
		.amdhsa_user_sgpr_queue_ptr 0
		.amdhsa_user_sgpr_kernarg_segment_ptr 1
		.amdhsa_user_sgpr_dispatch_id 0
		.amdhsa_user_sgpr_flat_scratch_init 0
		.amdhsa_user_sgpr_private_segment_size 0
		.amdhsa_uses_dynamic_stack 0
		.amdhsa_system_sgpr_private_segment_wavefront_offset 0
		.amdhsa_system_sgpr_workgroup_id_x 1
		.amdhsa_system_sgpr_workgroup_id_y 0
		.amdhsa_system_sgpr_workgroup_id_z 0
		.amdhsa_system_sgpr_workgroup_info 0
		.amdhsa_system_vgpr_workitem_id 0
		.amdhsa_next_free_vgpr 54
		.amdhsa_next_free_sgpr 33
		.amdhsa_reserve_vcc 1
		.amdhsa_reserve_flat_scratch 0
		.amdhsa_float_round_mode_32 0
		.amdhsa_float_round_mode_16_64 0
		.amdhsa_float_denorm_mode_32 3
		.amdhsa_float_denorm_mode_16_64 3
		.amdhsa_dx10_clamp 1
		.amdhsa_ieee_mode 1
		.amdhsa_fp16_overflow 0
		.amdhsa_exception_fp_ieee_invalid_op 0
		.amdhsa_exception_fp_denorm_src 0
		.amdhsa_exception_fp_ieee_div_zero 0
		.amdhsa_exception_fp_ieee_overflow 0
		.amdhsa_exception_fp_ieee_underflow 0
		.amdhsa_exception_fp_ieee_inexact 0
		.amdhsa_exception_int_div_zero 0
	.end_amdhsa_kernel
	.section	.text._ZN2at6native29vectorized_elementwise_kernelILi8EZZZNS0_15sin_kernel_cudaERNS_18TensorIteratorBaseEENKUlvE0_clEvENKUlvE1_clEvEUlN3c104HalfEE_St5arrayIPcLm2EEEEviT0_T1_,"axG",@progbits,_ZN2at6native29vectorized_elementwise_kernelILi8EZZZNS0_15sin_kernel_cudaERNS_18TensorIteratorBaseEENKUlvE0_clEvENKUlvE1_clEvEUlN3c104HalfEE_St5arrayIPcLm2EEEEviT0_T1_,comdat
.Lfunc_end19:
	.size	_ZN2at6native29vectorized_elementwise_kernelILi8EZZZNS0_15sin_kernel_cudaERNS_18TensorIteratorBaseEENKUlvE0_clEvENKUlvE1_clEvEUlN3c104HalfEE_St5arrayIPcLm2EEEEviT0_T1_, .Lfunc_end19-_ZN2at6native29vectorized_elementwise_kernelILi8EZZZNS0_15sin_kernel_cudaERNS_18TensorIteratorBaseEENKUlvE0_clEvENKUlvE1_clEvEUlN3c104HalfEE_St5arrayIPcLm2EEEEviT0_T1_
                                        ; -- End function
	.set _ZN2at6native29vectorized_elementwise_kernelILi8EZZZNS0_15sin_kernel_cudaERNS_18TensorIteratorBaseEENKUlvE0_clEvENKUlvE1_clEvEUlN3c104HalfEE_St5arrayIPcLm2EEEEviT0_T1_.num_vgpr, max(41, .L_ZN2at6native25elementwise_kernel_helperILb0EZZZNS0_15sin_kernel_cudaERNS_18TensorIteratorBaseEENKUlvE0_clEvENKUlvE1_clEvEUlN3c104HalfEE_NS0_6memory8policies10vectorizedILi8ESt5arrayIPcLm2EELi8EEEEEvT0_T1_.num_vgpr, .L_ZN2at6native25elementwise_kernel_helperILb0EZZZNS0_15sin_kernel_cudaERNS_18TensorIteratorBaseEENKUlvE0_clEvENKUlvE1_clEvEUlN3c104HalfEE_NS0_6memory8policies11unroll_baseILi256ESt5arrayIPcLm2EE23TrivialOffsetCalculatorILi1EjESG_NS9_15LoadWithoutCastENS9_16StoreWithoutCastELi8ELi1EEEEEvT0_T1_.num_vgpr)
	.set _ZN2at6native29vectorized_elementwise_kernelILi8EZZZNS0_15sin_kernel_cudaERNS_18TensorIteratorBaseEENKUlvE0_clEvENKUlvE1_clEvEUlN3c104HalfEE_St5arrayIPcLm2EEEEviT0_T1_.num_agpr, max(0, .L_ZN2at6native25elementwise_kernel_helperILb0EZZZNS0_15sin_kernel_cudaERNS_18TensorIteratorBaseEENKUlvE0_clEvENKUlvE1_clEvEUlN3c104HalfEE_NS0_6memory8policies10vectorizedILi8ESt5arrayIPcLm2EELi8EEEEEvT0_T1_.num_agpr, .L_ZN2at6native25elementwise_kernel_helperILb0EZZZNS0_15sin_kernel_cudaERNS_18TensorIteratorBaseEENKUlvE0_clEvENKUlvE1_clEvEUlN3c104HalfEE_NS0_6memory8policies11unroll_baseILi256ESt5arrayIPcLm2EE23TrivialOffsetCalculatorILi1EjESG_NS9_15LoadWithoutCastENS9_16StoreWithoutCastELi8ELi1EEEEEvT0_T1_.num_agpr)
	.set _ZN2at6native29vectorized_elementwise_kernelILi8EZZZNS0_15sin_kernel_cudaERNS_18TensorIteratorBaseEENKUlvE0_clEvENKUlvE1_clEvEUlN3c104HalfEE_St5arrayIPcLm2EEEEviT0_T1_.numbered_sgpr, max(33, .L_ZN2at6native25elementwise_kernel_helperILb0EZZZNS0_15sin_kernel_cudaERNS_18TensorIteratorBaseEENKUlvE0_clEvENKUlvE1_clEvEUlN3c104HalfEE_NS0_6memory8policies10vectorizedILi8ESt5arrayIPcLm2EELi8EEEEEvT0_T1_.numbered_sgpr, .L_ZN2at6native25elementwise_kernel_helperILb0EZZZNS0_15sin_kernel_cudaERNS_18TensorIteratorBaseEENKUlvE0_clEvENKUlvE1_clEvEUlN3c104HalfEE_NS0_6memory8policies11unroll_baseILi256ESt5arrayIPcLm2EE23TrivialOffsetCalculatorILi1EjESG_NS9_15LoadWithoutCastENS9_16StoreWithoutCastELi8ELi1EEEEEvT0_T1_.numbered_sgpr)
	.set _ZN2at6native29vectorized_elementwise_kernelILi8EZZZNS0_15sin_kernel_cudaERNS_18TensorIteratorBaseEENKUlvE0_clEvENKUlvE1_clEvEUlN3c104HalfEE_St5arrayIPcLm2EEEEviT0_T1_.num_named_barrier, max(0, .L_ZN2at6native25elementwise_kernel_helperILb0EZZZNS0_15sin_kernel_cudaERNS_18TensorIteratorBaseEENKUlvE0_clEvENKUlvE1_clEvEUlN3c104HalfEE_NS0_6memory8policies10vectorizedILi8ESt5arrayIPcLm2EELi8EEEEEvT0_T1_.num_named_barrier, .L_ZN2at6native25elementwise_kernel_helperILb0EZZZNS0_15sin_kernel_cudaERNS_18TensorIteratorBaseEENKUlvE0_clEvENKUlvE1_clEvEUlN3c104HalfEE_NS0_6memory8policies11unroll_baseILi256ESt5arrayIPcLm2EE23TrivialOffsetCalculatorILi1EjESG_NS9_15LoadWithoutCastENS9_16StoreWithoutCastELi8ELi1EEEEEvT0_T1_.num_named_barrier)
	.set _ZN2at6native29vectorized_elementwise_kernelILi8EZZZNS0_15sin_kernel_cudaERNS_18TensorIteratorBaseEENKUlvE0_clEvENKUlvE1_clEvEUlN3c104HalfEE_St5arrayIPcLm2EEEEviT0_T1_.private_seg_size, 0+max(.L_ZN2at6native25elementwise_kernel_helperILb0EZZZNS0_15sin_kernel_cudaERNS_18TensorIteratorBaseEENKUlvE0_clEvENKUlvE1_clEvEUlN3c104HalfEE_NS0_6memory8policies10vectorizedILi8ESt5arrayIPcLm2EELi8EEEEEvT0_T1_.private_seg_size, .L_ZN2at6native25elementwise_kernel_helperILb0EZZZNS0_15sin_kernel_cudaERNS_18TensorIteratorBaseEENKUlvE0_clEvENKUlvE1_clEvEUlN3c104HalfEE_NS0_6memory8policies11unroll_baseILi256ESt5arrayIPcLm2EE23TrivialOffsetCalculatorILi1EjESG_NS9_15LoadWithoutCastENS9_16StoreWithoutCastELi8ELi1EEEEEvT0_T1_.private_seg_size)
	.set _ZN2at6native29vectorized_elementwise_kernelILi8EZZZNS0_15sin_kernel_cudaERNS_18TensorIteratorBaseEENKUlvE0_clEvENKUlvE1_clEvEUlN3c104HalfEE_St5arrayIPcLm2EEEEviT0_T1_.uses_vcc, or(1, .L_ZN2at6native25elementwise_kernel_helperILb0EZZZNS0_15sin_kernel_cudaERNS_18TensorIteratorBaseEENKUlvE0_clEvENKUlvE1_clEvEUlN3c104HalfEE_NS0_6memory8policies10vectorizedILi8ESt5arrayIPcLm2EELi8EEEEEvT0_T1_.uses_vcc, .L_ZN2at6native25elementwise_kernel_helperILb0EZZZNS0_15sin_kernel_cudaERNS_18TensorIteratorBaseEENKUlvE0_clEvENKUlvE1_clEvEUlN3c104HalfEE_NS0_6memory8policies11unroll_baseILi256ESt5arrayIPcLm2EE23TrivialOffsetCalculatorILi1EjESG_NS9_15LoadWithoutCastENS9_16StoreWithoutCastELi8ELi1EEEEEvT0_T1_.uses_vcc)
	.set _ZN2at6native29vectorized_elementwise_kernelILi8EZZZNS0_15sin_kernel_cudaERNS_18TensorIteratorBaseEENKUlvE0_clEvENKUlvE1_clEvEUlN3c104HalfEE_St5arrayIPcLm2EEEEviT0_T1_.uses_flat_scratch, or(0, .L_ZN2at6native25elementwise_kernel_helperILb0EZZZNS0_15sin_kernel_cudaERNS_18TensorIteratorBaseEENKUlvE0_clEvENKUlvE1_clEvEUlN3c104HalfEE_NS0_6memory8policies10vectorizedILi8ESt5arrayIPcLm2EELi8EEEEEvT0_T1_.uses_flat_scratch, .L_ZN2at6native25elementwise_kernel_helperILb0EZZZNS0_15sin_kernel_cudaERNS_18TensorIteratorBaseEENKUlvE0_clEvENKUlvE1_clEvEUlN3c104HalfEE_NS0_6memory8policies11unroll_baseILi256ESt5arrayIPcLm2EE23TrivialOffsetCalculatorILi1EjESG_NS9_15LoadWithoutCastENS9_16StoreWithoutCastELi8ELi1EEEEEvT0_T1_.uses_flat_scratch)
	.set _ZN2at6native29vectorized_elementwise_kernelILi8EZZZNS0_15sin_kernel_cudaERNS_18TensorIteratorBaseEENKUlvE0_clEvENKUlvE1_clEvEUlN3c104HalfEE_St5arrayIPcLm2EEEEviT0_T1_.has_dyn_sized_stack, or(0, .L_ZN2at6native25elementwise_kernel_helperILb0EZZZNS0_15sin_kernel_cudaERNS_18TensorIteratorBaseEENKUlvE0_clEvENKUlvE1_clEvEUlN3c104HalfEE_NS0_6memory8policies10vectorizedILi8ESt5arrayIPcLm2EELi8EEEEEvT0_T1_.has_dyn_sized_stack, .L_ZN2at6native25elementwise_kernel_helperILb0EZZZNS0_15sin_kernel_cudaERNS_18TensorIteratorBaseEENKUlvE0_clEvENKUlvE1_clEvEUlN3c104HalfEE_NS0_6memory8policies11unroll_baseILi256ESt5arrayIPcLm2EE23TrivialOffsetCalculatorILi1EjESG_NS9_15LoadWithoutCastENS9_16StoreWithoutCastELi8ELi1EEEEEvT0_T1_.has_dyn_sized_stack)
	.set _ZN2at6native29vectorized_elementwise_kernelILi8EZZZNS0_15sin_kernel_cudaERNS_18TensorIteratorBaseEENKUlvE0_clEvENKUlvE1_clEvEUlN3c104HalfEE_St5arrayIPcLm2EEEEviT0_T1_.has_recursion, or(0, .L_ZN2at6native25elementwise_kernel_helperILb0EZZZNS0_15sin_kernel_cudaERNS_18TensorIteratorBaseEENKUlvE0_clEvENKUlvE1_clEvEUlN3c104HalfEE_NS0_6memory8policies10vectorizedILi8ESt5arrayIPcLm2EELi8EEEEEvT0_T1_.has_recursion, .L_ZN2at6native25elementwise_kernel_helperILb0EZZZNS0_15sin_kernel_cudaERNS_18TensorIteratorBaseEENKUlvE0_clEvENKUlvE1_clEvEUlN3c104HalfEE_NS0_6memory8policies11unroll_baseILi256ESt5arrayIPcLm2EE23TrivialOffsetCalculatorILi1EjESG_NS9_15LoadWithoutCastENS9_16StoreWithoutCastELi8ELi1EEEEEvT0_T1_.has_recursion)
	.set _ZN2at6native29vectorized_elementwise_kernelILi8EZZZNS0_15sin_kernel_cudaERNS_18TensorIteratorBaseEENKUlvE0_clEvENKUlvE1_clEvEUlN3c104HalfEE_St5arrayIPcLm2EEEEviT0_T1_.has_indirect_call, or(0, .L_ZN2at6native25elementwise_kernel_helperILb0EZZZNS0_15sin_kernel_cudaERNS_18TensorIteratorBaseEENKUlvE0_clEvENKUlvE1_clEvEUlN3c104HalfEE_NS0_6memory8policies10vectorizedILi8ESt5arrayIPcLm2EELi8EEEEEvT0_T1_.has_indirect_call, .L_ZN2at6native25elementwise_kernel_helperILb0EZZZNS0_15sin_kernel_cudaERNS_18TensorIteratorBaseEENKUlvE0_clEvENKUlvE1_clEvEUlN3c104HalfEE_NS0_6memory8policies11unroll_baseILi256ESt5arrayIPcLm2EE23TrivialOffsetCalculatorILi1EjESG_NS9_15LoadWithoutCastENS9_16StoreWithoutCastELi8ELi1EEEEEvT0_T1_.has_indirect_call)
	.section	.AMDGPU.csdata,"",@progbits
; Kernel info:
; codeLenInByte = 180
; TotalNumSgprs: 37
; NumVgprs: 54
; ScratchSize: 0
; MemoryBound: 0
; FloatMode: 240
; IeeeMode: 1
; LDSByteSize: 0 bytes/workgroup (compile time only)
; SGPRBlocks: 4
; VGPRBlocks: 13
; NumSGPRsForWavesPerEU: 37
; NumVGPRsForWavesPerEU: 54
; Occupancy: 4
; WaveLimiterHint : 0
; COMPUTE_PGM_RSRC2:SCRATCH_EN: 0
; COMPUTE_PGM_RSRC2:USER_SGPR: 6
; COMPUTE_PGM_RSRC2:TRAP_HANDLER: 0
; COMPUTE_PGM_RSRC2:TGID_X_EN: 1
; COMPUTE_PGM_RSRC2:TGID_Y_EN: 0
; COMPUTE_PGM_RSRC2:TGID_Z_EN: 0
; COMPUTE_PGM_RSRC2:TIDIG_COMP_CNT: 0
	.section	.text._ZN2at6native29vectorized_elementwise_kernelILi4EZZZNS0_15sin_kernel_cudaERNS_18TensorIteratorBaseEENKUlvE0_clEvENKUlvE1_clEvEUlN3c104HalfEE_St5arrayIPcLm2EEEEviT0_T1_,"axG",@progbits,_ZN2at6native29vectorized_elementwise_kernelILi4EZZZNS0_15sin_kernel_cudaERNS_18TensorIteratorBaseEENKUlvE0_clEvENKUlvE1_clEvEUlN3c104HalfEE_St5arrayIPcLm2EEEEviT0_T1_,comdat
	.globl	_ZN2at6native29vectorized_elementwise_kernelILi4EZZZNS0_15sin_kernel_cudaERNS_18TensorIteratorBaseEENKUlvE0_clEvENKUlvE1_clEvEUlN3c104HalfEE_St5arrayIPcLm2EEEEviT0_T1_ ; -- Begin function _ZN2at6native29vectorized_elementwise_kernelILi4EZZZNS0_15sin_kernel_cudaERNS_18TensorIteratorBaseEENKUlvE0_clEvENKUlvE1_clEvEUlN3c104HalfEE_St5arrayIPcLm2EEEEviT0_T1_
	.p2align	8
	.type	_ZN2at6native29vectorized_elementwise_kernelILi4EZZZNS0_15sin_kernel_cudaERNS_18TensorIteratorBaseEENKUlvE0_clEvENKUlvE1_clEvEUlN3c104HalfEE_St5arrayIPcLm2EEEEviT0_T1_,@function
_ZN2at6native29vectorized_elementwise_kernelILi4EZZZNS0_15sin_kernel_cudaERNS_18TensorIteratorBaseEENKUlvE0_clEvENKUlvE1_clEvEUlN3c104HalfEE_St5arrayIPcLm2EEEEviT0_T1_: ; @_ZN2at6native29vectorized_elementwise_kernelILi4EZZZNS0_15sin_kernel_cudaERNS_18TensorIteratorBaseEENKUlvE0_clEvENKUlvE1_clEvEUlN3c104HalfEE_St5arrayIPcLm2EEEEviT0_T1_
; %bb.0:
	s_add_u32 s0, s0, s7
	s_load_dword s7, s[4:5], 0x0
	s_load_dwordx4 s[16:19], s[4:5], 0x8
	s_addc_u32 s1, s1, 0
	s_lshl_b32 s4, s6, 11
	s_mov_b64 s[8:9], -1
	s_waitcnt lgkmcnt(0)
	s_sub_i32 s7, s7, s4
	s_cmpk_gt_i32 s7, 0x7ff
	s_mov_b32 s32, 0
	s_cbranch_scc1 .LBB20_3
; %bb.1:
	s_and_b64 vcc, exec, s[8:9]
	s_cbranch_vccnz .LBB20_36
.LBB20_2:
	s_endpgm
.LBB20_3:
	s_ashr_i32 s5, s4, 31
	s_lshl_b64 s[12:13], s[4:5], 1
	s_add_u32 s4, s18, s12
	s_addc_u32 s5, s19, s13
	v_lshlrev_b32_e32 v7, 3, v0
	global_load_dwordx2 v[3:4], v7, s[4:5]
	global_load_dwordx2 v[1:2], v7, s[4:5] offset:2048
	s_brev_b32 s4, 18
	v_mov_b32_e32 v6, 0
                                        ; implicit-def: $vgpr10
                                        ; implicit-def: $vgpr5
	s_waitcnt vmcnt(1)
	v_cvt_f32_f16_e32 v8, v3
	v_and_b32_e32 v9, 0x7fffffff, v8
	v_cmp_nlt_f32_e64 s[4:5], |v8|, s4
	s_and_saveexec_b64 s[8:9], s[4:5]
	s_xor_b64 s[14:15], exec, s[8:9]
	s_cbranch_execz .LBB20_5
; %bb.4:
	v_and_b32_e32 v5, 0x7fffff, v9
	v_or_b32_e32 v17, 0x800000, v5
	s_mov_b32 s4, 0xfe5163ab
	v_mad_u64_u32 v[10:11], s[4:5], v17, s4, 0
	s_mov_b32 s4, 0x3c439041
	v_lshrrev_b32_e32 v15, 23, v9
	v_mov_b32_e32 v5, v11
	v_mad_u64_u32 v[11:12], s[4:5], v17, s4, v[5:6]
	s_mov_b32 s4, 0xdb629599
	v_add_u32_e32 v18, 0xffffff88, v15
	v_mov_b32_e32 v5, v12
	v_mad_u64_u32 v[12:13], s[4:5], v17, s4, v[5:6]
	s_mov_b32 s4, 0xf534ddc0
	v_not_b32_e32 v16, 63
	v_mov_b32_e32 v5, v13
	v_mad_u64_u32 v[13:14], s[4:5], v17, s4, v[5:6]
	s_mov_b32 s4, 0xfc2757d1
	v_cmp_lt_u32_e32 vcc, 63, v18
	v_mov_b32_e32 v5, v14
	v_mad_u64_u32 v[14:15], s[4:5], v17, s4, v[5:6]
	v_cndmask_b32_e32 v5, 0, v16, vcc
	v_add_u32_e32 v18, v5, v18
	v_mov_b32_e32 v5, v15
	s_mov_b32 s4, 0x4e441529
	v_mad_u64_u32 v[15:16], s[4:5], v17, s4, v[5:6]
	v_not_b32_e32 v19, 31
	v_cmp_lt_u32_e64 s[4:5], 31, v18
	v_cndmask_b32_e64 v5, 0, v19, s[4:5]
	v_add_u32_e32 v18, v5, v18
	v_mov_b32_e32 v5, v16
	s_mov_b32 s8, 0xa2f9836e
	v_mad_u64_u32 v[5:6], s[8:9], v17, s8, v[5:6]
	v_cmp_lt_u32_e64 s[8:9], 31, v18
	v_cndmask_b32_e64 v16, 0, v19, s[8:9]
	v_cndmask_b32_e32 v17, v15, v13, vcc
	v_cndmask_b32_e32 v5, v5, v14, vcc
	;; [unrolled: 1-line block ×3, first 2 shown]
	v_add_u32_e32 v16, v16, v18
	v_cndmask_b32_e64 v18, v5, v17, s[4:5]
	v_cndmask_b32_e64 v5, v6, v5, s[4:5]
	v_cndmask_b32_e32 v6, v14, v12, vcc
	v_cndmask_b32_e64 v14, v17, v6, s[4:5]
	v_cndmask_b32_e64 v5, v5, v18, s[8:9]
	;; [unrolled: 1-line block ×3, first 2 shown]
	v_sub_u32_e32 v17, 32, v16
	v_alignbit_b32 v18, v5, v15, v17
	v_cmp_eq_u32_e64 s[10:11], 0, v16
	v_cndmask_b32_e64 v16, v18, v5, s[10:11]
	v_cndmask_b32_e32 v5, v13, v11, vcc
	v_cndmask_b32_e64 v6, v6, v5, s[4:5]
	v_cndmask_b32_e64 v11, v14, v6, s[8:9]
	v_alignbit_b32 v13, v15, v11, v17
	v_cndmask_b32_e32 v10, v12, v10, vcc
	v_cndmask_b32_e64 v13, v13, v15, s[10:11]
	v_bfe_u32 v18, v16, 29, 1
	v_cndmask_b32_e64 v5, v5, v10, s[4:5]
	v_alignbit_b32 v14, v16, v13, 30
	v_sub_u32_e32 v19, 0, v18
	v_cndmask_b32_e64 v5, v6, v5, s[8:9]
	v_xor_b32_e32 v14, v14, v19
	v_alignbit_b32 v6, v11, v5, v17
	v_cndmask_b32_e64 v6, v6, v11, s[10:11]
	v_ffbh_u32_e32 v11, v14
	v_alignbit_b32 v10, v13, v6, 30
	v_min_u32_e32 v11, 32, v11
	v_alignbit_b32 v5, v6, v5, 30
	v_xor_b32_e32 v10, v10, v19
	v_sub_u32_e32 v12, 31, v11
	v_xor_b32_e32 v5, v5, v19
	v_alignbit_b32 v13, v14, v10, v12
	v_alignbit_b32 v5, v10, v5, v12
	;; [unrolled: 1-line block ×3, first 2 shown]
	v_ffbh_u32_e32 v10, v6
	v_min_u32_e32 v10, 32, v10
	v_lshrrev_b32_e32 v15, 29, v16
	v_not_b32_e32 v12, v10
	v_alignbit_b32 v5, v6, v5, v12
	v_lshlrev_b32_e32 v6, 31, v15
	v_or_b32_e32 v12, 0x33000000, v6
	v_add_lshl_u32 v10, v10, v11, 23
	v_lshrrev_b32_e32 v5, 9, v5
	v_sub_u32_e32 v10, v12, v10
	v_or_b32_e32 v6, 0.5, v6
	v_lshlrev_b32_e32 v11, 23, v11
	v_or_b32_e32 v5, v10, v5
	v_lshrrev_b32_e32 v10, 9, v13
	v_sub_u32_e32 v6, v6, v11
	v_or_b32_e32 v6, v10, v6
	s_mov_b32 s4, 0x3fc90fda
	v_mul_f32_e32 v10, 0x3fc90fda, v6
	v_fma_f32 v11, v6, s4, -v10
	v_fmac_f32_e32 v11, 0x33a22168, v6
	v_fmac_f32_e32 v11, 0x3fc90fda, v5
	v_lshrrev_b32_e32 v6, 30, v16
	v_add_f32_e32 v5, v10, v11
	v_add_u32_e32 v10, v18, v6
.LBB20_5:
	s_andn2_saveexec_b64 s[4:5], s[14:15]
	s_cbranch_execz .LBB20_7
; %bb.6:
	s_mov_b32 s8, 0x3f22f983
	v_mul_f32_e64 v5, |v8|, s8
	v_rndne_f32_e32 v6, v5
	s_mov_b32 s8, 0xbfc90fda
	v_cvt_i32_f32_e32 v10, v6
	v_fma_f32 v5, v6, s8, |v8|
	v_fmac_f32_e32 v5, 0xb3a22168, v6
	v_fmac_f32_e32 v5, 0xa7c234c4, v6
.LBB20_7:
	s_or_b64 exec, exec, s[4:5]
	v_cvt_f32_f16_sdwa v3, v3 dst_sel:DWORD dst_unused:UNUSED_PAD src0_sel:WORD_1
	s_brev_b32 s4, 18
                                        ; implicit-def: $vgpr13
                                        ; implicit-def: $vgpr12
	v_and_b32_e32 v6, 0x7fffffff, v3
	v_cmp_nlt_f32_e64 s[4:5], |v3|, s4
	s_and_saveexec_b64 s[8:9], s[4:5]
	s_xor_b64 s[14:15], exec, s[8:9]
	s_cbranch_execz .LBB20_9
; %bb.8:
	v_and_b32_e32 v11, 0x7fffff, v6
	v_or_b32_e32 v20, 0x800000, v11
	s_mov_b32 s4, 0xfe5163ab
	v_mad_u64_u32 v[11:12], s[4:5], v20, s4, 0
	v_mov_b32_e32 v13, 0
	s_mov_b32 s4, 0x3c439041
	v_mad_u64_u32 v[14:15], s[4:5], v20, s4, v[12:13]
	s_mov_b32 s4, 0xdb629599
	v_not_b32_e32 v19, 63
	v_mov_b32_e32 v12, v15
	v_mad_u64_u32 v[15:16], s[4:5], v20, s4, v[12:13]
	s_mov_b32 s4, 0xf534ddc0
	v_not_b32_e32 v22, 31
	v_mov_b32_e32 v12, v16
	v_mad_u64_u32 v[16:17], s[4:5], v20, s4, v[12:13]
	v_lshrrev_b32_e32 v12, 23, v6
	v_add_u32_e32 v21, 0xffffff88, v12
	v_mov_b32_e32 v12, v17
	s_mov_b32 s4, 0xfc2757d1
	v_mad_u64_u32 v[17:18], s[4:5], v20, s4, v[12:13]
	v_cmp_lt_u32_e32 vcc, 63, v21
	v_cndmask_b32_e32 v12, 0, v19, vcc
	v_add_u32_e32 v21, v12, v21
	v_mov_b32_e32 v12, v18
	s_mov_b32 s4, 0x4e441529
	v_mad_u64_u32 v[18:19], s[4:5], v20, s4, v[12:13]
	v_cmp_lt_u32_e64 s[4:5], 31, v21
	v_cndmask_b32_e64 v12, 0, v22, s[4:5]
	v_add_u32_e32 v21, v12, v21
	v_mov_b32_e32 v12, v19
	s_mov_b32 s8, 0xa2f9836e
	v_mad_u64_u32 v[12:13], s[8:9], v20, s8, v[12:13]
	v_cmp_lt_u32_e64 s[8:9], 31, v21
	v_cndmask_b32_e64 v19, 0, v22, s[8:9]
	v_cndmask_b32_e32 v20, v18, v16, vcc
	v_cndmask_b32_e32 v12, v12, v17, vcc
	;; [unrolled: 1-line block ×3, first 2 shown]
	v_add_u32_e32 v19, v19, v21
	v_cndmask_b32_e64 v21, v12, v20, s[4:5]
	v_cndmask_b32_e64 v12, v13, v12, s[4:5]
	v_cndmask_b32_e32 v13, v17, v15, vcc
	v_cndmask_b32_e64 v17, v20, v13, s[4:5]
	v_cndmask_b32_e64 v12, v12, v21, s[8:9]
	v_cndmask_b32_e64 v18, v21, v17, s[8:9]
	v_sub_u32_e32 v20, 32, v19
	v_alignbit_b32 v21, v12, v18, v20
	v_cmp_eq_u32_e64 s[10:11], 0, v19
	v_cndmask_b32_e64 v19, v21, v12, s[10:11]
	v_cndmask_b32_e32 v12, v16, v14, vcc
	v_cndmask_b32_e64 v13, v13, v12, s[4:5]
	v_cndmask_b32_e64 v14, v17, v13, s[8:9]
	v_alignbit_b32 v16, v18, v14, v20
	v_cndmask_b32_e32 v11, v15, v11, vcc
	v_cndmask_b32_e64 v16, v16, v18, s[10:11]
	v_bfe_u32 v21, v19, 29, 1
	v_cndmask_b32_e64 v11, v12, v11, s[4:5]
	v_alignbit_b32 v17, v19, v16, 30
	v_sub_u32_e32 v22, 0, v21
	v_cndmask_b32_e64 v11, v13, v11, s[8:9]
	v_xor_b32_e32 v17, v17, v22
	v_alignbit_b32 v12, v14, v11, v20
	v_cndmask_b32_e64 v12, v12, v14, s[10:11]
	v_ffbh_u32_e32 v14, v17
	v_alignbit_b32 v13, v16, v12, 30
	v_min_u32_e32 v14, 32, v14
	v_alignbit_b32 v11, v12, v11, 30
	v_xor_b32_e32 v13, v13, v22
	v_sub_u32_e32 v15, 31, v14
	v_xor_b32_e32 v11, v11, v22
	v_alignbit_b32 v16, v17, v13, v15
	v_alignbit_b32 v11, v13, v11, v15
	;; [unrolled: 1-line block ×3, first 2 shown]
	v_ffbh_u32_e32 v13, v12
	v_min_u32_e32 v13, 32, v13
	v_lshrrev_b32_e32 v18, 29, v19
	v_not_b32_e32 v15, v13
	v_alignbit_b32 v11, v12, v11, v15
	v_lshlrev_b32_e32 v12, 31, v18
	v_or_b32_e32 v15, 0x33000000, v12
	v_add_lshl_u32 v13, v13, v14, 23
	v_lshrrev_b32_e32 v11, 9, v11
	v_sub_u32_e32 v13, v15, v13
	v_or_b32_e32 v12, 0.5, v12
	v_lshlrev_b32_e32 v14, 23, v14
	v_or_b32_e32 v11, v13, v11
	v_lshrrev_b32_e32 v13, 9, v16
	v_sub_u32_e32 v12, v12, v14
	v_or_b32_e32 v12, v13, v12
	s_mov_b32 s4, 0x3fc90fda
	v_mul_f32_e32 v13, 0x3fc90fda, v12
	v_fma_f32 v14, v12, s4, -v13
	v_fmac_f32_e32 v14, 0x33a22168, v12
	v_fmac_f32_e32 v14, 0x3fc90fda, v11
	v_lshrrev_b32_e32 v11, 30, v19
	v_add_f32_e32 v12, v13, v14
	v_add_u32_e32 v13, v21, v11
.LBB20_9:
	s_andn2_saveexec_b64 s[4:5], s[14:15]
	s_cbranch_execz .LBB20_11
; %bb.10:
	s_mov_b32 s8, 0x3f22f983
	v_mul_f32_e64 v11, |v3|, s8
	v_rndne_f32_e32 v11, v11
	s_mov_b32 s8, 0xbfc90fda
	v_cvt_i32_f32_e32 v13, v11
	v_fma_f32 v12, v11, s8, |v3|
	v_fmac_f32_e32 v12, 0xb3a22168, v11
	v_fmac_f32_e32 v12, 0xa7c234c4, v11
.LBB20_11:
	s_or_b64 exec, exec, s[4:5]
	v_cvt_f32_f16_e32 v11, v4
	s_brev_b32 s4, 18
                                        ; implicit-def: $vgpr16
                                        ; implicit-def: $vgpr15
	v_and_b32_e32 v14, 0x7fffffff, v11
	v_cmp_nlt_f32_e64 s[4:5], |v11|, s4
	s_and_saveexec_b64 s[8:9], s[4:5]
	s_xor_b64 s[14:15], exec, s[8:9]
	s_cbranch_execz .LBB20_13
; %bb.12:
	v_and_b32_e32 v15, 0x7fffff, v14
	v_or_b32_e32 v24, 0x800000, v15
	s_mov_b32 s4, 0xfe5163ab
	v_mad_u64_u32 v[15:16], s[4:5], v24, s4, 0
	v_mov_b32_e32 v17, 0
	s_mov_b32 s4, 0x3c439041
	v_mad_u64_u32 v[18:19], s[4:5], v24, s4, v[16:17]
	s_mov_b32 s4, 0xdb629599
	v_not_b32_e32 v23, 63
	v_mov_b32_e32 v16, v19
	v_mad_u64_u32 v[19:20], s[4:5], v24, s4, v[16:17]
	s_mov_b32 s4, 0xf534ddc0
	v_not_b32_e32 v26, 31
	v_mov_b32_e32 v16, v20
	v_mad_u64_u32 v[20:21], s[4:5], v24, s4, v[16:17]
	v_lshrrev_b32_e32 v16, 23, v14
	v_add_u32_e32 v25, 0xffffff88, v16
	v_mov_b32_e32 v16, v21
	s_mov_b32 s4, 0xfc2757d1
	v_mad_u64_u32 v[21:22], s[4:5], v24, s4, v[16:17]
	v_cmp_lt_u32_e32 vcc, 63, v25
	v_cndmask_b32_e32 v16, 0, v23, vcc
	v_add_u32_e32 v25, v16, v25
	v_mov_b32_e32 v16, v22
	s_mov_b32 s4, 0x4e441529
	v_mad_u64_u32 v[22:23], s[4:5], v24, s4, v[16:17]
	v_cmp_lt_u32_e64 s[4:5], 31, v25
	v_cndmask_b32_e64 v16, 0, v26, s[4:5]
	v_add_u32_e32 v25, v16, v25
	v_mov_b32_e32 v16, v23
	s_mov_b32 s8, 0xa2f9836e
	v_mad_u64_u32 v[16:17], s[8:9], v24, s8, v[16:17]
	v_cmp_lt_u32_e64 s[8:9], 31, v25
	v_cndmask_b32_e64 v23, 0, v26, s[8:9]
	v_cndmask_b32_e32 v24, v22, v20, vcc
	v_cndmask_b32_e32 v16, v16, v21, vcc
	;; [unrolled: 1-line block ×3, first 2 shown]
	v_add_u32_e32 v23, v23, v25
	v_cndmask_b32_e64 v25, v16, v24, s[4:5]
	v_cndmask_b32_e64 v16, v17, v16, s[4:5]
	v_cndmask_b32_e32 v17, v21, v19, vcc
	v_cndmask_b32_e64 v21, v24, v17, s[4:5]
	v_cndmask_b32_e32 v18, v20, v18, vcc
	v_cndmask_b32_e64 v16, v16, v25, s[8:9]
	v_cndmask_b32_e64 v22, v25, v21, s[8:9]
	v_sub_u32_e32 v24, 32, v23
	v_cndmask_b32_e64 v17, v17, v18, s[4:5]
	v_alignbit_b32 v25, v16, v22, v24
	v_cmp_eq_u32_e64 s[10:11], 0, v23
	v_cndmask_b32_e64 v20, v21, v17, s[8:9]
	v_cndmask_b32_e64 v16, v25, v16, s[10:11]
	v_alignbit_b32 v21, v22, v20, v24
	v_cndmask_b32_e32 v15, v19, v15, vcc
	v_cndmask_b32_e64 v21, v21, v22, s[10:11]
	v_bfe_u32 v25, v16, 29, 1
	v_cndmask_b32_e64 v15, v18, v15, s[4:5]
	v_alignbit_b32 v22, v16, v21, 30
	v_sub_u32_e32 v26, 0, v25
	v_cndmask_b32_e64 v15, v17, v15, s[8:9]
	v_xor_b32_e32 v22, v22, v26
	v_alignbit_b32 v17, v20, v15, v24
	v_cndmask_b32_e64 v17, v17, v20, s[10:11]
	v_ffbh_u32_e32 v19, v22
	v_alignbit_b32 v18, v21, v17, 30
	v_min_u32_e32 v19, 32, v19
	v_alignbit_b32 v15, v17, v15, 30
	v_xor_b32_e32 v18, v18, v26
	v_sub_u32_e32 v20, 31, v19
	v_xor_b32_e32 v15, v15, v26
	v_alignbit_b32 v21, v22, v18, v20
	v_alignbit_b32 v15, v18, v15, v20
	;; [unrolled: 1-line block ×3, first 2 shown]
	v_ffbh_u32_e32 v18, v17
	v_min_u32_e32 v18, 32, v18
	v_lshrrev_b32_e32 v23, 29, v16
	v_not_b32_e32 v20, v18
	v_alignbit_b32 v15, v17, v15, v20
	v_lshlrev_b32_e32 v17, 31, v23
	v_or_b32_e32 v20, 0x33000000, v17
	v_add_lshl_u32 v18, v18, v19, 23
	v_lshrrev_b32_e32 v15, 9, v15
	v_sub_u32_e32 v18, v20, v18
	v_or_b32_e32 v17, 0.5, v17
	v_lshlrev_b32_e32 v19, 23, v19
	v_or_b32_e32 v15, v18, v15
	v_lshrrev_b32_e32 v18, 9, v21
	v_sub_u32_e32 v17, v17, v19
	v_or_b32_e32 v17, v18, v17
	s_mov_b32 s4, 0x3fc90fda
	v_mul_f32_e32 v18, 0x3fc90fda, v17
	v_fma_f32 v19, v17, s4, -v18
	v_fmac_f32_e32 v19, 0x33a22168, v17
	v_fmac_f32_e32 v19, 0x3fc90fda, v15
	v_lshrrev_b32_e32 v16, 30, v16
	v_add_f32_e32 v15, v18, v19
	v_add_u32_e32 v16, v25, v16
.LBB20_13:
	s_andn2_saveexec_b64 s[4:5], s[14:15]
	s_cbranch_execz .LBB20_15
; %bb.14:
	s_mov_b32 s8, 0x3f22f983
	v_mul_f32_e64 v15, |v11|, s8
	v_rndne_f32_e32 v17, v15
	s_mov_b32 s8, 0xbfc90fda
	v_cvt_i32_f32_e32 v16, v17
	v_fma_f32 v15, v17, s8, |v11|
	v_fmac_f32_e32 v15, 0xb3a22168, v17
	v_fmac_f32_e32 v15, 0xa7c234c4, v17
.LBB20_15:
	s_or_b64 exec, exec, s[4:5]
	v_cvt_f32_f16_sdwa v4, v4 dst_sel:DWORD dst_unused:UNUSED_PAD src0_sel:WORD_1
	s_brev_b32 s4, 18
                                        ; implicit-def: $vgpr21
                                        ; implicit-def: $vgpr19
	v_and_b32_e32 v17, 0x7fffffff, v4
	v_cmp_nlt_f32_e64 s[4:5], |v4|, s4
	s_and_saveexec_b64 s[8:9], s[4:5]
	s_xor_b64 s[14:15], exec, s[8:9]
	s_cbranch_execz .LBB20_17
; %bb.16:
	v_and_b32_e32 v18, 0x7fffff, v17
	v_or_b32_e32 v27, 0x800000, v18
	s_mov_b32 s4, 0xfe5163ab
	v_mad_u64_u32 v[18:19], s[4:5], v27, s4, 0
	v_mov_b32_e32 v20, 0
	s_mov_b32 s4, 0x3c439041
	v_mad_u64_u32 v[21:22], s[4:5], v27, s4, v[19:20]
	s_mov_b32 s4, 0xdb629599
	v_not_b32_e32 v26, 63
	v_mov_b32_e32 v19, v22
	v_mad_u64_u32 v[22:23], s[4:5], v27, s4, v[19:20]
	s_mov_b32 s4, 0xf534ddc0
	v_not_b32_e32 v29, 31
	v_mov_b32_e32 v19, v23
	v_mad_u64_u32 v[23:24], s[4:5], v27, s4, v[19:20]
	v_lshrrev_b32_e32 v19, 23, v17
	v_add_u32_e32 v28, 0xffffff88, v19
	v_mov_b32_e32 v19, v24
	s_mov_b32 s4, 0xfc2757d1
	v_mad_u64_u32 v[24:25], s[4:5], v27, s4, v[19:20]
	v_cmp_lt_u32_e32 vcc, 63, v28
	v_cndmask_b32_e32 v19, 0, v26, vcc
	v_add_u32_e32 v28, v19, v28
	v_mov_b32_e32 v19, v25
	s_mov_b32 s4, 0x4e441529
	v_mad_u64_u32 v[25:26], s[4:5], v27, s4, v[19:20]
	v_cmp_lt_u32_e64 s[4:5], 31, v28
	v_cndmask_b32_e64 v19, 0, v29, s[4:5]
	v_add_u32_e32 v28, v19, v28
	v_mov_b32_e32 v19, v26
	s_mov_b32 s8, 0xa2f9836e
	v_mad_u64_u32 v[19:20], s[8:9], v27, s8, v[19:20]
	v_cmp_lt_u32_e64 s[8:9], 31, v28
	v_cndmask_b32_e64 v26, 0, v29, s[8:9]
	v_cndmask_b32_e32 v27, v25, v23, vcc
	v_cndmask_b32_e32 v19, v19, v24, vcc
	;; [unrolled: 1-line block ×3, first 2 shown]
	v_add_u32_e32 v26, v26, v28
	v_cndmask_b32_e64 v28, v19, v27, s[4:5]
	v_cndmask_b32_e64 v19, v20, v19, s[4:5]
	v_cndmask_b32_e32 v20, v24, v22, vcc
	v_cndmask_b32_e64 v24, v27, v20, s[4:5]
	v_cndmask_b32_e64 v19, v19, v28, s[8:9]
	;; [unrolled: 1-line block ×3, first 2 shown]
	v_sub_u32_e32 v27, 32, v26
	v_alignbit_b32 v28, v19, v25, v27
	v_cmp_eq_u32_e64 s[10:11], 0, v26
	v_cndmask_b32_e64 v26, v28, v19, s[10:11]
	v_cndmask_b32_e32 v19, v23, v21, vcc
	v_cndmask_b32_e64 v20, v20, v19, s[4:5]
	v_cndmask_b32_e64 v21, v24, v20, s[8:9]
	v_alignbit_b32 v23, v25, v21, v27
	v_cndmask_b32_e32 v18, v22, v18, vcc
	v_cndmask_b32_e64 v23, v23, v25, s[10:11]
	v_bfe_u32 v28, v26, 29, 1
	v_cndmask_b32_e64 v18, v19, v18, s[4:5]
	v_alignbit_b32 v24, v26, v23, 30
	v_sub_u32_e32 v29, 0, v28
	v_cndmask_b32_e64 v18, v20, v18, s[8:9]
	v_xor_b32_e32 v24, v24, v29
	v_alignbit_b32 v19, v21, v18, v27
	v_cndmask_b32_e64 v19, v19, v21, s[10:11]
	v_ffbh_u32_e32 v21, v24
	v_alignbit_b32 v20, v23, v19, 30
	v_min_u32_e32 v21, 32, v21
	v_alignbit_b32 v18, v19, v18, 30
	v_xor_b32_e32 v20, v20, v29
	v_sub_u32_e32 v22, 31, v21
	v_xor_b32_e32 v18, v18, v29
	v_alignbit_b32 v23, v24, v20, v22
	v_alignbit_b32 v18, v20, v18, v22
	;; [unrolled: 1-line block ×3, first 2 shown]
	v_ffbh_u32_e32 v20, v19
	v_min_u32_e32 v20, 32, v20
	v_lshrrev_b32_e32 v25, 29, v26
	v_not_b32_e32 v22, v20
	v_alignbit_b32 v18, v19, v18, v22
	v_lshlrev_b32_e32 v19, 31, v25
	v_or_b32_e32 v22, 0x33000000, v19
	v_add_lshl_u32 v20, v20, v21, 23
	v_lshrrev_b32_e32 v18, 9, v18
	v_sub_u32_e32 v20, v22, v20
	v_or_b32_e32 v19, 0.5, v19
	v_lshlrev_b32_e32 v21, 23, v21
	v_or_b32_e32 v18, v20, v18
	v_lshrrev_b32_e32 v20, 9, v23
	v_sub_u32_e32 v19, v19, v21
	v_or_b32_e32 v19, v20, v19
	s_mov_b32 s4, 0x3fc90fda
	v_mul_f32_e32 v20, 0x3fc90fda, v19
	v_fma_f32 v21, v19, s4, -v20
	v_fmac_f32_e32 v21, 0x33a22168, v19
	v_fmac_f32_e32 v21, 0x3fc90fda, v18
	v_lshrrev_b32_e32 v18, 30, v26
	v_add_f32_e32 v19, v20, v21
	v_add_u32_e32 v21, v28, v18
.LBB20_17:
	s_andn2_saveexec_b64 s[4:5], s[14:15]
	s_cbranch_execz .LBB20_19
; %bb.18:
	s_mov_b32 s8, 0x3f22f983
	v_mul_f32_e64 v18, |v4|, s8
	v_rndne_f32_e32 v18, v18
	s_mov_b32 s8, 0xbfc90fda
	v_cvt_i32_f32_e32 v21, v18
	v_fma_f32 v19, v18, s8, |v4|
	v_fmac_f32_e32 v19, 0xb3a22168, v18
	v_fmac_f32_e32 v19, 0xa7c234c4, v18
.LBB20_19:
	s_or_b64 exec, exec, s[4:5]
	s_waitcnt vmcnt(0)
	v_cvt_f32_f16_e32 v18, v1
	s_brev_b32 s4, 18
                                        ; implicit-def: $vgpr27
                                        ; implicit-def: $vgpr22
	v_and_b32_e32 v20, 0x7fffffff, v18
	v_cmp_nlt_f32_e64 s[4:5], |v18|, s4
	s_and_saveexec_b64 s[8:9], s[4:5]
	s_xor_b64 s[14:15], exec, s[8:9]
	s_cbranch_execz .LBB20_21
; %bb.20:
	v_and_b32_e32 v22, 0x7fffff, v20
	v_or_b32_e32 v31, 0x800000, v22
	s_mov_b32 s4, 0xfe5163ab
	v_mad_u64_u32 v[22:23], s[4:5], v31, s4, 0
	v_mov_b32_e32 v24, 0
	s_mov_b32 s4, 0x3c439041
	v_mad_u64_u32 v[25:26], s[4:5], v31, s4, v[23:24]
	s_mov_b32 s4, 0xdb629599
	v_not_b32_e32 v30, 63
	v_mov_b32_e32 v23, v26
	v_mad_u64_u32 v[26:27], s[4:5], v31, s4, v[23:24]
	s_mov_b32 s4, 0xf534ddc0
	v_not_b32_e32 v33, 31
	v_mov_b32_e32 v23, v27
	v_mad_u64_u32 v[27:28], s[4:5], v31, s4, v[23:24]
	v_lshrrev_b32_e32 v23, 23, v20
	v_add_u32_e32 v32, 0xffffff88, v23
	v_mov_b32_e32 v23, v28
	s_mov_b32 s4, 0xfc2757d1
	v_mad_u64_u32 v[28:29], s[4:5], v31, s4, v[23:24]
	v_cmp_lt_u32_e32 vcc, 63, v32
	v_cndmask_b32_e32 v23, 0, v30, vcc
	v_add_u32_e32 v32, v23, v32
	v_mov_b32_e32 v23, v29
	s_mov_b32 s4, 0x4e441529
	v_mad_u64_u32 v[29:30], s[4:5], v31, s4, v[23:24]
	v_cmp_lt_u32_e64 s[4:5], 31, v32
	v_cndmask_b32_e64 v23, 0, v33, s[4:5]
	v_add_u32_e32 v32, v23, v32
	v_mov_b32_e32 v23, v30
	s_mov_b32 s8, 0xa2f9836e
	v_mad_u64_u32 v[23:24], s[8:9], v31, s8, v[23:24]
	v_cmp_lt_u32_e64 s[8:9], 31, v32
	v_cndmask_b32_e64 v30, 0, v33, s[8:9]
	v_cndmask_b32_e32 v31, v29, v27, vcc
	v_cndmask_b32_e32 v23, v23, v28, vcc
	;; [unrolled: 1-line block ×3, first 2 shown]
	v_add_u32_e32 v30, v30, v32
	v_cndmask_b32_e64 v32, v23, v31, s[4:5]
	v_cndmask_b32_e64 v23, v24, v23, s[4:5]
	v_cndmask_b32_e32 v24, v28, v26, vcc
	v_cndmask_b32_e64 v28, v31, v24, s[4:5]
	v_cndmask_b32_e32 v25, v27, v25, vcc
	v_cndmask_b32_e64 v23, v23, v32, s[8:9]
	v_cndmask_b32_e64 v29, v32, v28, s[8:9]
	v_sub_u32_e32 v31, 32, v30
	v_cndmask_b32_e64 v24, v24, v25, s[4:5]
	v_alignbit_b32 v32, v23, v29, v31
	v_cmp_eq_u32_e64 s[10:11], 0, v30
	v_cndmask_b32_e64 v27, v28, v24, s[8:9]
	v_cndmask_b32_e64 v23, v32, v23, s[10:11]
	v_alignbit_b32 v28, v29, v27, v31
	v_cndmask_b32_e32 v22, v26, v22, vcc
	v_cndmask_b32_e64 v28, v28, v29, s[10:11]
	v_bfe_u32 v32, v23, 29, 1
	v_cndmask_b32_e64 v22, v25, v22, s[4:5]
	v_alignbit_b32 v29, v23, v28, 30
	v_sub_u32_e32 v33, 0, v32
	v_cndmask_b32_e64 v22, v24, v22, s[8:9]
	v_xor_b32_e32 v29, v29, v33
	v_alignbit_b32 v24, v27, v22, v31
	v_cndmask_b32_e64 v24, v24, v27, s[10:11]
	v_ffbh_u32_e32 v26, v29
	v_alignbit_b32 v25, v28, v24, 30
	v_min_u32_e32 v26, 32, v26
	v_alignbit_b32 v22, v24, v22, 30
	v_xor_b32_e32 v25, v25, v33
	v_sub_u32_e32 v27, 31, v26
	v_xor_b32_e32 v22, v22, v33
	v_alignbit_b32 v28, v29, v25, v27
	v_alignbit_b32 v22, v25, v22, v27
	;; [unrolled: 1-line block ×3, first 2 shown]
	v_ffbh_u32_e32 v25, v24
	v_min_u32_e32 v25, 32, v25
	v_lshrrev_b32_e32 v30, 29, v23
	v_not_b32_e32 v27, v25
	v_alignbit_b32 v22, v24, v22, v27
	v_lshlrev_b32_e32 v24, 31, v30
	v_or_b32_e32 v27, 0x33000000, v24
	v_add_lshl_u32 v25, v25, v26, 23
	v_lshrrev_b32_e32 v22, 9, v22
	v_sub_u32_e32 v25, v27, v25
	v_or_b32_e32 v24, 0.5, v24
	v_lshlrev_b32_e32 v26, 23, v26
	v_or_b32_e32 v22, v25, v22
	v_lshrrev_b32_e32 v25, 9, v28
	v_sub_u32_e32 v24, v24, v26
	v_or_b32_e32 v24, v25, v24
	s_mov_b32 s4, 0x3fc90fda
	v_mul_f32_e32 v25, 0x3fc90fda, v24
	v_fma_f32 v26, v24, s4, -v25
	v_fmac_f32_e32 v26, 0x33a22168, v24
	v_fmac_f32_e32 v26, 0x3fc90fda, v22
	v_lshrrev_b32_e32 v23, 30, v23
	v_add_f32_e32 v22, v25, v26
	v_add_u32_e32 v27, v32, v23
.LBB20_21:
	s_andn2_saveexec_b64 s[4:5], s[14:15]
	s_cbranch_execz .LBB20_23
; %bb.22:
	s_mov_b32 s8, 0x3f22f983
	v_mul_f32_e64 v22, |v18|, s8
	v_rndne_f32_e32 v23, v22
	s_mov_b32 s8, 0xbfc90fda
	v_cvt_i32_f32_e32 v27, v23
	v_fma_f32 v22, v23, s8, |v18|
	v_fmac_f32_e32 v22, 0xb3a22168, v23
	v_fmac_f32_e32 v22, 0xa7c234c4, v23
.LBB20_23:
	s_or_b64 exec, exec, s[4:5]
	v_cvt_f32_f16_sdwa v1, v1 dst_sel:DWORD dst_unused:UNUSED_PAD src0_sel:WORD_1
	s_brev_b32 s4, 18
                                        ; implicit-def: $vgpr30
                                        ; implicit-def: $vgpr26
	v_and_b32_e32 v23, 0x7fffffff, v1
	v_cmp_nlt_f32_e64 s[4:5], |v1|, s4
	s_and_saveexec_b64 s[8:9], s[4:5]
	s_xor_b64 s[14:15], exec, s[8:9]
	s_cbranch_execz .LBB20_25
; %bb.24:
	v_and_b32_e32 v24, 0x7fffff, v23
	v_or_b32_e32 v34, 0x800000, v24
	s_mov_b32 s4, 0xfe5163ab
	v_mad_u64_u32 v[24:25], s[4:5], v34, s4, 0
	v_mov_b32_e32 v26, 0
	s_mov_b32 s4, 0x3c439041
	v_mad_u64_u32 v[28:29], s[4:5], v34, s4, v[25:26]
	s_mov_b32 s4, 0xdb629599
	v_not_b32_e32 v33, 63
	v_mov_b32_e32 v25, v29
	v_mad_u64_u32 v[29:30], s[4:5], v34, s4, v[25:26]
	s_mov_b32 s4, 0xf534ddc0
	v_not_b32_e32 v36, 31
	v_mov_b32_e32 v25, v30
	v_mad_u64_u32 v[30:31], s[4:5], v34, s4, v[25:26]
	v_lshrrev_b32_e32 v25, 23, v23
	v_add_u32_e32 v35, 0xffffff88, v25
	v_mov_b32_e32 v25, v31
	s_mov_b32 s4, 0xfc2757d1
	v_mad_u64_u32 v[31:32], s[4:5], v34, s4, v[25:26]
	v_cmp_lt_u32_e32 vcc, 63, v35
	v_cndmask_b32_e32 v25, 0, v33, vcc
	v_add_u32_e32 v35, v25, v35
	v_mov_b32_e32 v25, v32
	s_mov_b32 s4, 0x4e441529
	v_mad_u64_u32 v[32:33], s[4:5], v34, s4, v[25:26]
	v_cmp_lt_u32_e64 s[4:5], 31, v35
	v_cndmask_b32_e64 v25, 0, v36, s[4:5]
	v_add_u32_e32 v35, v25, v35
	v_mov_b32_e32 v25, v33
	s_mov_b32 s8, 0xa2f9836e
	v_mad_u64_u32 v[25:26], s[8:9], v34, s8, v[25:26]
	v_cmp_lt_u32_e64 s[8:9], 31, v35
	v_cndmask_b32_e64 v33, 0, v36, s[8:9]
	v_cndmask_b32_e32 v34, v32, v30, vcc
	v_cndmask_b32_e32 v25, v25, v31, vcc
	;; [unrolled: 1-line block ×3, first 2 shown]
	v_add_u32_e32 v33, v33, v35
	v_cndmask_b32_e64 v35, v25, v34, s[4:5]
	v_cndmask_b32_e64 v25, v26, v25, s[4:5]
	v_cndmask_b32_e32 v26, v31, v29, vcc
	v_cndmask_b32_e64 v31, v34, v26, s[4:5]
	v_cndmask_b32_e32 v28, v30, v28, vcc
	v_cndmask_b32_e64 v25, v25, v35, s[8:9]
	v_cndmask_b32_e64 v32, v35, v31, s[8:9]
	v_sub_u32_e32 v34, 32, v33
	v_cndmask_b32_e64 v26, v26, v28, s[4:5]
	v_alignbit_b32 v35, v25, v32, v34
	v_cmp_eq_u32_e64 s[10:11], 0, v33
	v_cndmask_b32_e64 v30, v31, v26, s[8:9]
	v_cndmask_b32_e64 v25, v35, v25, s[10:11]
	v_alignbit_b32 v31, v32, v30, v34
	v_cndmask_b32_e32 v24, v29, v24, vcc
	v_cndmask_b32_e64 v31, v31, v32, s[10:11]
	v_bfe_u32 v35, v25, 29, 1
	v_cndmask_b32_e64 v24, v28, v24, s[4:5]
	v_alignbit_b32 v32, v25, v31, 30
	v_sub_u32_e32 v36, 0, v35
	v_cndmask_b32_e64 v24, v26, v24, s[8:9]
	v_xor_b32_e32 v32, v32, v36
	v_alignbit_b32 v26, v30, v24, v34
	v_cndmask_b32_e64 v26, v26, v30, s[10:11]
	v_ffbh_u32_e32 v29, v32
	v_alignbit_b32 v28, v31, v26, 30
	v_min_u32_e32 v29, 32, v29
	v_alignbit_b32 v24, v26, v24, 30
	v_xor_b32_e32 v28, v28, v36
	v_sub_u32_e32 v30, 31, v29
	v_xor_b32_e32 v24, v24, v36
	v_alignbit_b32 v31, v32, v28, v30
	v_alignbit_b32 v24, v28, v24, v30
	;; [unrolled: 1-line block ×3, first 2 shown]
	v_ffbh_u32_e32 v28, v26
	v_min_u32_e32 v28, 32, v28
	v_lshrrev_b32_e32 v33, 29, v25
	v_not_b32_e32 v30, v28
	v_alignbit_b32 v24, v26, v24, v30
	v_lshlrev_b32_e32 v26, 31, v33
	v_or_b32_e32 v30, 0x33000000, v26
	v_add_lshl_u32 v28, v28, v29, 23
	v_lshrrev_b32_e32 v24, 9, v24
	v_sub_u32_e32 v28, v30, v28
	v_or_b32_e32 v26, 0.5, v26
	v_lshlrev_b32_e32 v29, 23, v29
	v_or_b32_e32 v24, v28, v24
	v_lshrrev_b32_e32 v28, 9, v31
	v_sub_u32_e32 v26, v26, v29
	v_or_b32_e32 v26, v28, v26
	s_mov_b32 s4, 0x3fc90fda
	v_mul_f32_e32 v28, 0x3fc90fda, v26
	v_fma_f32 v29, v26, s4, -v28
	v_fmac_f32_e32 v29, 0x33a22168, v26
	v_fmac_f32_e32 v29, 0x3fc90fda, v24
	v_lshrrev_b32_e32 v24, 30, v25
	v_add_f32_e32 v26, v28, v29
	v_add_u32_e32 v30, v35, v24
.LBB20_25:
	s_andn2_saveexec_b64 s[4:5], s[14:15]
	s_cbranch_execz .LBB20_27
; %bb.26:
	s_mov_b32 s8, 0x3f22f983
	v_mul_f32_e64 v24, |v1|, s8
	v_rndne_f32_e32 v24, v24
	s_mov_b32 s8, 0xbfc90fda
	v_cvt_i32_f32_e32 v30, v24
	v_fma_f32 v26, v24, s8, |v1|
	v_fmac_f32_e32 v26, 0xb3a22168, v24
	v_fmac_f32_e32 v26, 0xa7c234c4, v24
.LBB20_27:
	s_or_b64 exec, exec, s[4:5]
	v_cvt_f32_f16_e32 v24, v2
	s_brev_b32 s4, 18
                                        ; implicit-def: $vgpr32
                                        ; implicit-def: $vgpr28
	v_and_b32_e32 v25, 0x7fffffff, v24
	v_cmp_nlt_f32_e64 s[4:5], |v24|, s4
	s_and_saveexec_b64 s[8:9], s[4:5]
	s_xor_b64 s[14:15], exec, s[8:9]
	s_cbranch_execz .LBB20_29
; %bb.28:
	v_and_b32_e32 v28, 0x7fffff, v25
	v_or_b32_e32 v39, 0x800000, v28
	s_mov_b32 s4, 0xfe5163ab
	v_mad_u64_u32 v[28:29], s[4:5], v39, s4, 0
	v_mov_b32_e32 v32, 0
	s_mov_b32 s4, 0x3c439041
	v_mov_b32_e32 v31, v29
	v_mad_u64_u32 v[33:34], s[4:5], v39, s4, v[31:32]
	s_mov_b32 s4, 0xdb629599
	v_lshrrev_b32_e32 v29, 23, v25
	v_mov_b32_e32 v31, v34
	v_mad_u64_u32 v[34:35], s[4:5], v39, s4, v[31:32]
	s_mov_b32 s4, 0xf534ddc0
	v_add_u32_e32 v29, 0xffffff88, v29
	v_mov_b32_e32 v31, v35
	v_mad_u64_u32 v[35:36], s[4:5], v39, s4, v[31:32]
	s_mov_b32 s4, 0xfc2757d1
	v_not_b32_e32 v38, 63
	v_mov_b32_e32 v31, v36
	v_mad_u64_u32 v[36:37], s[4:5], v39, s4, v[31:32]
	v_cmp_lt_u32_e32 vcc, 63, v29
	v_cndmask_b32_e32 v31, 0, v38, vcc
	v_add_u32_e32 v29, v31, v29
	v_mov_b32_e32 v31, v37
	s_mov_b32 s4, 0x4e441529
	v_mad_u64_u32 v[37:38], s[4:5], v39, s4, v[31:32]
	v_not_b32_e32 v40, 31
	v_cmp_lt_u32_e64 s[4:5], 31, v29
	v_cndmask_b32_e64 v31, 0, v40, s[4:5]
	v_add_u32_e32 v29, v31, v29
	v_mov_b32_e32 v31, v38
	s_mov_b32 s8, 0xa2f9836e
	v_mad_u64_u32 v[31:32], s[8:9], v39, s8, v[31:32]
	v_cmp_lt_u32_e64 s[8:9], 31, v29
	v_cndmask_b32_e64 v38, 0, v40, s[8:9]
	v_add_u32_e32 v29, v38, v29
	v_cndmask_b32_e32 v38, v37, v35, vcc
	v_cndmask_b32_e32 v31, v31, v36, vcc
	;; [unrolled: 1-line block ×3, first 2 shown]
	v_cndmask_b32_e64 v39, v31, v38, s[4:5]
	v_cndmask_b32_e64 v31, v32, v31, s[4:5]
	v_cndmask_b32_e32 v32, v36, v34, vcc
	v_cndmask_b32_e64 v36, v38, v32, s[4:5]
	v_cndmask_b32_e64 v31, v31, v39, s[8:9]
	;; [unrolled: 1-line block ×3, first 2 shown]
	v_sub_u32_e32 v38, 32, v29
	v_alignbit_b32 v39, v31, v37, v38
	v_cmp_eq_u32_e64 s[10:11], 0, v29
	v_cndmask_b32_e64 v29, v39, v31, s[10:11]
	v_cndmask_b32_e32 v31, v35, v33, vcc
	v_cndmask_b32_e64 v32, v32, v31, s[4:5]
	v_cndmask_b32_e64 v33, v36, v32, s[8:9]
	v_alignbit_b32 v35, v37, v33, v38
	v_cndmask_b32_e32 v28, v34, v28, vcc
	v_cndmask_b32_e64 v35, v35, v37, s[10:11]
	v_bfe_u32 v39, v29, 29, 1
	v_cndmask_b32_e64 v28, v31, v28, s[4:5]
	v_alignbit_b32 v36, v29, v35, 30
	v_sub_u32_e32 v40, 0, v39
	v_cndmask_b32_e64 v28, v32, v28, s[8:9]
	v_xor_b32_e32 v36, v36, v40
	v_alignbit_b32 v31, v33, v28, v38
	v_cndmask_b32_e64 v31, v31, v33, s[10:11]
	v_ffbh_u32_e32 v33, v36
	v_alignbit_b32 v32, v35, v31, 30
	v_min_u32_e32 v33, 32, v33
	v_alignbit_b32 v28, v31, v28, 30
	v_xor_b32_e32 v32, v32, v40
	v_sub_u32_e32 v34, 31, v33
	v_xor_b32_e32 v28, v28, v40
	v_alignbit_b32 v35, v36, v32, v34
	v_alignbit_b32 v28, v32, v28, v34
	;; [unrolled: 1-line block ×3, first 2 shown]
	v_ffbh_u32_e32 v32, v31
	v_min_u32_e32 v32, 32, v32
	v_lshrrev_b32_e32 v37, 29, v29
	v_not_b32_e32 v34, v32
	v_alignbit_b32 v28, v31, v28, v34
	v_lshlrev_b32_e32 v31, 31, v37
	v_or_b32_e32 v34, 0x33000000, v31
	v_add_lshl_u32 v32, v32, v33, 23
	v_lshrrev_b32_e32 v28, 9, v28
	v_sub_u32_e32 v32, v34, v32
	v_or_b32_e32 v31, 0.5, v31
	v_lshlrev_b32_e32 v33, 23, v33
	v_or_b32_e32 v28, v32, v28
	v_lshrrev_b32_e32 v32, 9, v35
	v_sub_u32_e32 v31, v31, v33
	v_or_b32_e32 v31, v32, v31
	s_mov_b32 s4, 0x3fc90fda
	v_mul_f32_e32 v32, 0x3fc90fda, v31
	v_fma_f32 v33, v31, s4, -v32
	v_fmac_f32_e32 v33, 0x33a22168, v31
	v_fmac_f32_e32 v33, 0x3fc90fda, v28
	v_lshrrev_b32_e32 v29, 30, v29
	v_add_f32_e32 v28, v32, v33
	v_add_u32_e32 v32, v39, v29
.LBB20_29:
	s_andn2_saveexec_b64 s[4:5], s[14:15]
	s_cbranch_execz .LBB20_31
; %bb.30:
	s_mov_b32 s8, 0x3f22f983
	v_mul_f32_e64 v28, |v24|, s8
	v_rndne_f32_e32 v29, v28
	s_mov_b32 s8, 0xbfc90fda
	v_cvt_i32_f32_e32 v32, v29
	v_fma_f32 v28, v29, s8, |v24|
	v_fmac_f32_e32 v28, 0xb3a22168, v29
	v_fmac_f32_e32 v28, 0xa7c234c4, v29
.LBB20_31:
	s_or_b64 exec, exec, s[4:5]
	v_cvt_f32_f16_sdwa v2, v2 dst_sel:DWORD dst_unused:UNUSED_PAD src0_sel:WORD_1
	s_brev_b32 s4, 18
                                        ; implicit-def: $vgpr33
                                        ; implicit-def: $vgpr31
	v_and_b32_e32 v29, 0x7fffffff, v2
	v_cmp_nlt_f32_e64 s[4:5], |v2|, s4
	s_and_saveexec_b64 s[8:9], s[4:5]
	s_xor_b64 s[14:15], exec, s[8:9]
	s_cbranch_execz .LBB20_33
; %bb.32:
	v_and_b32_e32 v31, 0x7fffff, v29
	v_or_b32_e32 v31, 0x800000, v31
	s_mov_b32 s4, 0xfe5163ab
	v_mad_u64_u32 v[33:34], s[4:5], v31, s4, 0
	v_mov_b32_e32 v35, 0
	s_mov_b32 s4, 0x3c439041
	v_mad_u64_u32 v[36:37], s[4:5], v31, s4, v[34:35]
	s_mov_b32 s4, 0xdb629599
	v_not_b32_e32 v41, 63
	v_mov_b32_e32 v34, v37
	v_mad_u64_u32 v[37:38], s[4:5], v31, s4, v[34:35]
	s_mov_b32 s4, 0xf534ddc0
	v_not_b32_e32 v43, 31
	v_mov_b32_e32 v34, v38
	v_mad_u64_u32 v[38:39], s[4:5], v31, s4, v[34:35]
	v_lshrrev_b32_e32 v34, 23, v29
	v_add_u32_e32 v42, 0xffffff88, v34
	v_mov_b32_e32 v34, v39
	s_mov_b32 s4, 0xfc2757d1
	v_mad_u64_u32 v[39:40], s[4:5], v31, s4, v[34:35]
	v_cmp_lt_u32_e32 vcc, 63, v42
	v_cndmask_b32_e32 v34, 0, v41, vcc
	v_add_u32_e32 v42, v34, v42
	v_mov_b32_e32 v34, v40
	s_mov_b32 s4, 0x4e441529
	v_mad_u64_u32 v[40:41], s[4:5], v31, s4, v[34:35]
	v_cmp_lt_u32_e64 s[4:5], 31, v42
	v_cndmask_b32_e64 v34, 0, v43, s[4:5]
	v_add_u32_e32 v42, v34, v42
	v_mov_b32_e32 v34, v41
	s_mov_b32 s8, 0xa2f9836e
	v_mad_u64_u32 v[34:35], s[8:9], v31, s8, v[34:35]
	v_cmp_lt_u32_e64 s[8:9], 31, v42
	v_cndmask_b32_e64 v31, 0, v43, s[8:9]
	v_cndmask_b32_e32 v41, v40, v38, vcc
	v_cndmask_b32_e32 v34, v34, v39, vcc
	;; [unrolled: 1-line block ×3, first 2 shown]
	v_add_u32_e32 v31, v31, v42
	v_cndmask_b32_e64 v42, v34, v41, s[4:5]
	v_cndmask_b32_e64 v34, v35, v34, s[4:5]
	v_cndmask_b32_e32 v35, v39, v37, vcc
	v_cndmask_b32_e64 v39, v41, v35, s[4:5]
	v_sub_u32_e32 v41, 32, v31
	v_cmp_eq_u32_e64 s[10:11], 0, v31
	v_cndmask_b32_e32 v31, v38, v36, vcc
	v_cndmask_b32_e64 v34, v34, v42, s[8:9]
	v_cndmask_b32_e64 v40, v42, v39, s[8:9]
	;; [unrolled: 1-line block ×3, first 2 shown]
	v_alignbit_b32 v42, v34, v40, v41
	v_cndmask_b32_e64 v36, v39, v35, s[8:9]
	v_cndmask_b32_e64 v34, v42, v34, s[10:11]
	v_alignbit_b32 v38, v40, v36, v41
	v_cndmask_b32_e32 v33, v37, v33, vcc
	v_cndmask_b32_e64 v38, v38, v40, s[10:11]
	v_bfe_u32 v42, v34, 29, 1
	v_cndmask_b32_e64 v31, v31, v33, s[4:5]
	v_alignbit_b32 v39, v34, v38, 30
	v_sub_u32_e32 v43, 0, v42
	v_cndmask_b32_e64 v31, v35, v31, s[8:9]
	v_xor_b32_e32 v39, v39, v43
	v_alignbit_b32 v33, v36, v31, v41
	v_cndmask_b32_e64 v33, v33, v36, s[10:11]
	v_ffbh_u32_e32 v36, v39
	v_alignbit_b32 v35, v38, v33, 30
	v_min_u32_e32 v36, 32, v36
	v_alignbit_b32 v31, v33, v31, 30
	v_xor_b32_e32 v35, v35, v43
	v_sub_u32_e32 v37, 31, v36
	v_xor_b32_e32 v31, v31, v43
	v_alignbit_b32 v38, v39, v35, v37
	v_alignbit_b32 v31, v35, v31, v37
	;; [unrolled: 1-line block ×3, first 2 shown]
	v_ffbh_u32_e32 v35, v33
	v_min_u32_e32 v35, 32, v35
	v_lshrrev_b32_e32 v40, 29, v34
	v_not_b32_e32 v37, v35
	v_alignbit_b32 v31, v33, v31, v37
	v_lshlrev_b32_e32 v33, 31, v40
	v_or_b32_e32 v37, 0x33000000, v33
	v_add_lshl_u32 v35, v35, v36, 23
	v_lshrrev_b32_e32 v31, 9, v31
	v_sub_u32_e32 v35, v37, v35
	v_or_b32_e32 v33, 0.5, v33
	v_lshlrev_b32_e32 v36, 23, v36
	v_or_b32_e32 v31, v35, v31
	v_lshrrev_b32_e32 v35, 9, v38
	v_sub_u32_e32 v33, v33, v36
	v_or_b32_e32 v33, v35, v33
	s_mov_b32 s4, 0x3fc90fda
	v_mul_f32_e32 v35, 0x3fc90fda, v33
	v_fma_f32 v36, v33, s4, -v35
	v_fmac_f32_e32 v36, 0x33a22168, v33
	v_fmac_f32_e32 v36, 0x3fc90fda, v31
	v_lshrrev_b32_e32 v33, 30, v34
	v_add_f32_e32 v31, v35, v36
	v_add_u32_e32 v33, v42, v33
.LBB20_33:
	s_andn2_saveexec_b64 s[4:5], s[14:15]
	s_cbranch_execz .LBB20_35
; %bb.34:
	s_mov_b32 s8, 0x3f22f983
	v_mul_f32_e64 v31, |v2|, s8
	v_rndne_f32_e32 v34, v31
	s_mov_b32 s8, 0xbfc90fda
	v_cvt_i32_f32_e32 v33, v34
	v_fma_f32 v31, v34, s8, |v2|
	v_fmac_f32_e32 v31, 0xb3a22168, v34
	v_fmac_f32_e32 v31, 0xa7c234c4, v34
.LBB20_35:
	s_or_b64 exec, exec, s[4:5]
	v_lshlrev_b32_e32 v40, 30, v10
	v_xor_b32_e32 v9, v9, v8
	v_and_b32_e32 v40, 0x80000000, v40
	v_mul_f32_e32 v41, v5, v5
	v_xor_b32_e32 v9, v9, v40
	v_mov_b32_e32 v40, 0x3c0881c4
	v_fmac_f32_e32 v40, 0xb94c1982, v41
	v_mov_b32_e32 v42, 0xbe2aaa9d
	v_fma_f32 v40, v41, v40, v42
	v_mul_f32_e32 v40, v41, v40
	v_fmac_f32_e32 v5, v5, v40
	v_mov_b32_e32 v40, 0xbab64f3b
	v_fmac_f32_e32 v40, 0x37d75334, v41
	v_mov_b32_e32 v43, 0x3d2aabf7
	v_fma_f32 v40, v41, v40, v43
	v_mov_b32_e32 v44, 0xbf000004
	v_fma_f32 v40, v41, v40, v44
	v_and_b32_e32 v10, 1, v10
	s_movk_i32 s8, 0x1f8
	v_fma_f32 v40, v41, v40, 1.0
	v_cmp_eq_u32_e32 vcc, 0, v10
	v_cndmask_b32_e32 v5, v40, v5, vcc
	v_cmp_class_f32_e64 vcc, v8, s8
	v_lshlrev_b32_e32 v8, 30, v13
	v_xor_b32_e32 v6, v6, v3
	v_and_b32_e32 v8, 0x80000000, v8
	v_mul_f32_e32 v40, v12, v12
	v_xor_b32_e32 v6, v6, v8
	v_mov_b32_e32 v8, 0x3c0881c4
	v_fmac_f32_e32 v8, 0xb94c1982, v40
	v_fma_f32 v8, v40, v8, v42
	v_mul_f32_e32 v8, v40, v8
	v_fmac_f32_e32 v12, v12, v8
	v_mov_b32_e32 v8, 0xbab64f3b
	v_fmac_f32_e32 v8, 0x37d75334, v40
	v_fma_f32 v8, v40, v8, v43
	v_and_b32_e32 v13, 1, v13
	v_fma_f32 v8, v40, v8, v44
	v_cmp_eq_u32_e64 s[4:5], 0, v13
	v_lshlrev_b32_e32 v13, 30, v16
	v_fma_f32 v8, v40, v8, 1.0
	v_xor_b32_e32 v14, v14, v11
	v_and_b32_e32 v13, 0x80000000, v13
	v_cndmask_b32_e64 v8, v8, v12, s[4:5]
	v_mul_f32_e32 v12, v15, v15
	v_xor_b32_e32 v13, v14, v13
	v_mov_b32_e32 v14, 0x3c0881c4
	v_fmac_f32_e32 v14, 0xb94c1982, v12
	v_fma_f32 v14, v12, v14, v42
	v_mul_f32_e32 v14, v12, v14
	v_xor_b32_e32 v6, v6, v8
	v_mul_f32_e32 v8, v19, v19
	v_fmac_f32_e32 v15, v15, v14
	v_mov_b32_e32 v14, 0x3c0881c4
	v_fmac_f32_e32 v14, 0xb94c1982, v8
	v_fma_f32 v14, v8, v14, v42
	v_mul_f32_e32 v14, v8, v14
	v_fmac_f32_e32 v19, v19, v14
	v_mov_b32_e32 v14, 0xbab64f3b
	v_fmac_f32_e32 v14, 0x37d75334, v12
	v_fma_f32 v14, v12, v14, v43
	v_fma_f32 v14, v12, v14, v44
	v_fma_f32 v12, v12, v14, 1.0
	v_mov_b32_e32 v14, 0xbab64f3b
	v_fmac_f32_e32 v14, 0x37d75334, v8
	v_fma_f32 v14, v8, v14, v43
	v_xor_b32_e32 v5, v9, v5
	v_mov_b32_e32 v9, 0x7fc00000
	v_lshlrev_b32_e32 v40, 30, v21
	v_and_b32_e32 v21, 1, v21
	v_fma_f32 v14, v8, v14, v44
	v_and_b32_e32 v16, 1, v16
	v_fma_f32 v8, v8, v14, 1.0
	v_cndmask_b32_e32 v5, v9, v5, vcc
	v_cmp_eq_u32_e32 vcc, 0, v21
	v_cndmask_b32_e32 v8, v8, v19, vcc
	v_cmp_eq_u32_e32 vcc, 0, v16
	v_xor_b32_e32 v17, v17, v4
	v_and_b32_e32 v40, 0x80000000, v40
	v_cndmask_b32_e32 v12, v12, v15, vcc
	v_xor_b32_e32 v17, v17, v40
	v_xor_b32_e32 v12, v13, v12
	v_cmp_class_f32_e64 vcc, v11, s8
	v_xor_b32_e32 v8, v17, v8
	v_cndmask_b32_e32 v11, v9, v12, vcc
	v_cmp_class_f32_e64 vcc, v4, s8
	v_cndmask_b32_e32 v4, v9, v8, vcc
	v_cvt_f16_f32_e32 v4, v4
	v_cvt_f16_f32_e32 v8, v11
	v_cmp_class_f32_e64 vcc, v3, s8
	v_lshlrev_b32_e32 v38, 30, v30
	v_cndmask_b32_e32 v3, v9, v6, vcc
	v_lshlrev_b32_e32 v39, 30, v27
	v_cvt_f16_f32_e32 v6, v3
	v_pack_b32_f16 v3, v8, v4
	v_xor_b32_e32 v4, v23, v1
	v_and_b32_e32 v11, 0x80000000, v38
	v_mul_f32_e32 v10, v26, v26
	v_xor_b32_e32 v8, v20, v18
	v_and_b32_e32 v12, 0x80000000, v39
	v_xor_b32_e32 v4, v4, v11
	v_mov_b32_e32 v11, 0x3c0881c4
	v_mul_f32_e32 v41, v22, v22
	v_xor_b32_e32 v8, v8, v12
	v_fmac_f32_e32 v11, 0xb94c1982, v10
	v_mov_b32_e32 v12, 0x3c0881c4
	v_fmac_f32_e32 v12, 0xb94c1982, v41
	v_fma_f32 v11, v10, v11, v42
	v_fma_f32 v12, v41, v12, v42
	v_mul_f32_e32 v11, v10, v11
	v_mul_f32_e32 v12, v41, v12
	v_fmac_f32_e32 v26, v26, v11
	v_mov_b32_e32 v11, 0xbab64f3b
	v_fmac_f32_e32 v22, v22, v12
	v_fmac_f32_e32 v11, 0x37d75334, v10
	v_mov_b32_e32 v12, 0xbab64f3b
	v_fmac_f32_e32 v12, 0x37d75334, v41
	v_fma_f32 v11, v10, v11, v43
	v_and_b32_e32 v30, 1, v30
	v_fma_f32 v12, v41, v12, v43
	v_fma_f32 v11, v10, v11, v44
	v_and_b32_e32 v27, 1, v27
	v_fma_f32 v12, v41, v12, v44
	v_fma_f32 v10, v10, v11, 1.0
	v_cmp_eq_u32_e32 vcc, 0, v30
	v_fma_f32 v12, v41, v12, 1.0
	v_cndmask_b32_e32 v10, v10, v26, vcc
	v_cmp_eq_u32_e32 vcc, 0, v27
	v_cndmask_b32_e32 v11, v12, v22, vcc
	v_xor_b32_e32 v8, v8, v11
	v_cmp_class_f32_e64 vcc, v18, s8
	v_xor_b32_e32 v4, v4, v10
	v_cndmask_b32_e32 v8, v9, v8, vcc
	v_cmp_class_f32_e64 vcc, v1, s8
	v_mul_f32_e32 v36, v28, v28
	v_mul_f32_e32 v37, v31, v31
	v_mov_b32_e32 v40, 0x3c0881c4
	v_cndmask_b32_e32 v1, v9, v4, vcc
	v_mov_b32_e32 v4, 0x3c0881c4
	v_fmac_f32_e32 v4, 0xb94c1982, v37
	v_fmac_f32_e32 v40, 0xb94c1982, v36
	v_fma_f32 v10, v36, v40, v42
	v_fmac_f32_e32 v42, v37, v4
	v_mul_f32_e32 v4, v37, v42
	v_mov_b32_e32 v14, 0xbab64f3b
	v_fmac_f32_e32 v31, v31, v4
	v_mov_b32_e32 v4, 0xbab64f3b
	v_mul_f32_e32 v10, v36, v10
	v_fmac_f32_e32 v4, 0x37d75334, v37
	v_fmac_f32_e32 v14, 0x37d75334, v36
	;; [unrolled: 1-line block ×3, first 2 shown]
	v_fma_f32 v10, v36, v14, v43
	v_fmac_f32_e32 v43, v37, v4
	v_lshlrev_b32_e32 v34, 30, v33
	v_and_b32_e32 v33, 1, v33
	v_fma_f32 v4, v37, v43, v44
	v_lshlrev_b32_e32 v35, 30, v32
	v_and_b32_e32 v32, 1, v32
	v_fmac_f32_e32 v44, v36, v10
	v_fma_f32 v4, v37, v4, 1.0
	v_cmp_eq_u32_e32 vcc, 0, v33
	v_fma_f32 v10, v36, v44, 1.0
	v_cndmask_b32_e32 v4, v4, v31, vcc
	v_cmp_eq_u32_e32 vcc, 0, v32
	v_and_b32_e32 v12, 0x80000000, v35
	v_xor_b32_e32 v14, v25, v24
	v_cndmask_b32_e32 v10, v10, v28, vcc
	v_and_b32_e32 v11, 0x80000000, v34
	v_xor_b32_e32 v13, v29, v2
	v_xor_b32_e32 v12, v14, v12
	v_xor_b32_e32 v11, v13, v11
	v_xor_b32_e32 v10, v12, v10
	v_cmp_class_f32_e64 vcc, v24, s8
	v_xor_b32_e32 v4, v11, v4
	v_cndmask_b32_e32 v10, v9, v10, vcc
	v_cmp_class_f32_e64 vcc, v2, s8
	v_cvt_f16_f32_e32 v5, v5
	v_cndmask_b32_e32 v2, v9, v4, vcc
	v_cvt_f16_f32_e32 v1, v1
	v_cvt_f16_f32_e32 v4, v2
	;; [unrolled: 1-line block ×4, first 2 shown]
	s_add_u32 s4, s16, s12
	s_addc_u32 s5, s17, s13
	v_pack_b32_f16 v2, v5, v6
	global_store_dwordx2 v7, v[2:3], s[4:5]
	v_pack_b32_f16 v2, v9, v4
	v_pack_b32_f16 v1, v8, v1
	global_store_dwordx2 v7, v[1:2], s[4:5] offset:2048
	s_branch .LBB20_2
.LBB20_36:
	s_getpc_b64 s[4:5]
	s_add_u32 s4, s4, _ZN2at6native25elementwise_kernel_helperILb0EZZZNS0_15sin_kernel_cudaERNS_18TensorIteratorBaseEENKUlvE0_clEvENKUlvE1_clEvEUlN3c104HalfEE_NS0_6memory8policies11unroll_baseILi256ESt5arrayIPcLm2EE23TrivialOffsetCalculatorILi1EjESG_NS9_15LoadWithoutCastENS9_16StoreWithoutCastELi8ELi1EEEEEvT0_T1_@rel32@lo+4
	s_addc_u32 s5, s5, _ZN2at6native25elementwise_kernel_helperILb0EZZZNS0_15sin_kernel_cudaERNS_18TensorIteratorBaseEENKUlvE0_clEvENKUlvE1_clEvEUlN3c104HalfEE_NS0_6memory8policies11unroll_baseILi256ESt5arrayIPcLm2EE23TrivialOffsetCalculatorILi1EjESG_NS9_15LoadWithoutCastENS9_16StoreWithoutCastELi8ELi1EEEEEvT0_T1_@rel32@hi+12
	s_mov_b32 s12, s6
	v_mov_b32_e32 v31, v0
	v_mov_b32_e32 v0, s16
	;; [unrolled: 1-line block ×6, first 2 shown]
	s_swappc_b64 s[30:31], s[4:5]
	s_endpgm
	.section	.rodata,"a",@progbits
	.p2align	6, 0x0
	.amdhsa_kernel _ZN2at6native29vectorized_elementwise_kernelILi4EZZZNS0_15sin_kernel_cudaERNS_18TensorIteratorBaseEENKUlvE0_clEvENKUlvE1_clEvEUlN3c104HalfEE_St5arrayIPcLm2EEEEviT0_T1_
		.amdhsa_group_segment_fixed_size 0
		.amdhsa_private_segment_fixed_size 0
		.amdhsa_kernarg_size 24
		.amdhsa_user_sgpr_count 6
		.amdhsa_user_sgpr_private_segment_buffer 1
		.amdhsa_user_sgpr_dispatch_ptr 0
		.amdhsa_user_sgpr_queue_ptr 0
		.amdhsa_user_sgpr_kernarg_segment_ptr 1
		.amdhsa_user_sgpr_dispatch_id 0
		.amdhsa_user_sgpr_flat_scratch_init 0
		.amdhsa_user_sgpr_private_segment_size 0
		.amdhsa_uses_dynamic_stack 0
		.amdhsa_system_sgpr_private_segment_wavefront_offset 0
		.amdhsa_system_sgpr_workgroup_id_x 1
		.amdhsa_system_sgpr_workgroup_id_y 0
		.amdhsa_system_sgpr_workgroup_id_z 0
		.amdhsa_system_sgpr_workgroup_info 0
		.amdhsa_system_vgpr_workitem_id 0
		.amdhsa_next_free_vgpr 45
		.amdhsa_next_free_sgpr 33
		.amdhsa_reserve_vcc 1
		.amdhsa_reserve_flat_scratch 0
		.amdhsa_float_round_mode_32 0
		.amdhsa_float_round_mode_16_64 0
		.amdhsa_float_denorm_mode_32 3
		.amdhsa_float_denorm_mode_16_64 3
		.amdhsa_dx10_clamp 1
		.amdhsa_ieee_mode 1
		.amdhsa_fp16_overflow 0
		.amdhsa_exception_fp_ieee_invalid_op 0
		.amdhsa_exception_fp_denorm_src 0
		.amdhsa_exception_fp_ieee_div_zero 0
		.amdhsa_exception_fp_ieee_overflow 0
		.amdhsa_exception_fp_ieee_underflow 0
		.amdhsa_exception_fp_ieee_inexact 0
		.amdhsa_exception_int_div_zero 0
	.end_amdhsa_kernel
	.section	.text._ZN2at6native29vectorized_elementwise_kernelILi4EZZZNS0_15sin_kernel_cudaERNS_18TensorIteratorBaseEENKUlvE0_clEvENKUlvE1_clEvEUlN3c104HalfEE_St5arrayIPcLm2EEEEviT0_T1_,"axG",@progbits,_ZN2at6native29vectorized_elementwise_kernelILi4EZZZNS0_15sin_kernel_cudaERNS_18TensorIteratorBaseEENKUlvE0_clEvENKUlvE1_clEvEUlN3c104HalfEE_St5arrayIPcLm2EEEEviT0_T1_,comdat
.Lfunc_end20:
	.size	_ZN2at6native29vectorized_elementwise_kernelILi4EZZZNS0_15sin_kernel_cudaERNS_18TensorIteratorBaseEENKUlvE0_clEvENKUlvE1_clEvEUlN3c104HalfEE_St5arrayIPcLm2EEEEviT0_T1_, .Lfunc_end20-_ZN2at6native29vectorized_elementwise_kernelILi4EZZZNS0_15sin_kernel_cudaERNS_18TensorIteratorBaseEENKUlvE0_clEvENKUlvE1_clEvEUlN3c104HalfEE_St5arrayIPcLm2EEEEviT0_T1_
                                        ; -- End function
	.set _ZN2at6native29vectorized_elementwise_kernelILi4EZZZNS0_15sin_kernel_cudaERNS_18TensorIteratorBaseEENKUlvE0_clEvENKUlvE1_clEvEUlN3c104HalfEE_St5arrayIPcLm2EEEEviT0_T1_.num_vgpr, max(45, .L_ZN2at6native25elementwise_kernel_helperILb0EZZZNS0_15sin_kernel_cudaERNS_18TensorIteratorBaseEENKUlvE0_clEvENKUlvE1_clEvEUlN3c104HalfEE_NS0_6memory8policies11unroll_baseILi256ESt5arrayIPcLm2EE23TrivialOffsetCalculatorILi1EjESG_NS9_15LoadWithoutCastENS9_16StoreWithoutCastELi8ELi1EEEEEvT0_T1_.num_vgpr)
	.set _ZN2at6native29vectorized_elementwise_kernelILi4EZZZNS0_15sin_kernel_cudaERNS_18TensorIteratorBaseEENKUlvE0_clEvENKUlvE1_clEvEUlN3c104HalfEE_St5arrayIPcLm2EEEEviT0_T1_.num_agpr, max(0, .L_ZN2at6native25elementwise_kernel_helperILb0EZZZNS0_15sin_kernel_cudaERNS_18TensorIteratorBaseEENKUlvE0_clEvENKUlvE1_clEvEUlN3c104HalfEE_NS0_6memory8policies11unroll_baseILi256ESt5arrayIPcLm2EE23TrivialOffsetCalculatorILi1EjESG_NS9_15LoadWithoutCastENS9_16StoreWithoutCastELi8ELi1EEEEEvT0_T1_.num_agpr)
	.set _ZN2at6native29vectorized_elementwise_kernelILi4EZZZNS0_15sin_kernel_cudaERNS_18TensorIteratorBaseEENKUlvE0_clEvENKUlvE1_clEvEUlN3c104HalfEE_St5arrayIPcLm2EEEEviT0_T1_.numbered_sgpr, max(33, .L_ZN2at6native25elementwise_kernel_helperILb0EZZZNS0_15sin_kernel_cudaERNS_18TensorIteratorBaseEENKUlvE0_clEvENKUlvE1_clEvEUlN3c104HalfEE_NS0_6memory8policies11unroll_baseILi256ESt5arrayIPcLm2EE23TrivialOffsetCalculatorILi1EjESG_NS9_15LoadWithoutCastENS9_16StoreWithoutCastELi8ELi1EEEEEvT0_T1_.numbered_sgpr)
	.set _ZN2at6native29vectorized_elementwise_kernelILi4EZZZNS0_15sin_kernel_cudaERNS_18TensorIteratorBaseEENKUlvE0_clEvENKUlvE1_clEvEUlN3c104HalfEE_St5arrayIPcLm2EEEEviT0_T1_.num_named_barrier, max(0, .L_ZN2at6native25elementwise_kernel_helperILb0EZZZNS0_15sin_kernel_cudaERNS_18TensorIteratorBaseEENKUlvE0_clEvENKUlvE1_clEvEUlN3c104HalfEE_NS0_6memory8policies11unroll_baseILi256ESt5arrayIPcLm2EE23TrivialOffsetCalculatorILi1EjESG_NS9_15LoadWithoutCastENS9_16StoreWithoutCastELi8ELi1EEEEEvT0_T1_.num_named_barrier)
	.set _ZN2at6native29vectorized_elementwise_kernelILi4EZZZNS0_15sin_kernel_cudaERNS_18TensorIteratorBaseEENKUlvE0_clEvENKUlvE1_clEvEUlN3c104HalfEE_St5arrayIPcLm2EEEEviT0_T1_.private_seg_size, 0+max(.L_ZN2at6native25elementwise_kernel_helperILb0EZZZNS0_15sin_kernel_cudaERNS_18TensorIteratorBaseEENKUlvE0_clEvENKUlvE1_clEvEUlN3c104HalfEE_NS0_6memory8policies11unroll_baseILi256ESt5arrayIPcLm2EE23TrivialOffsetCalculatorILi1EjESG_NS9_15LoadWithoutCastENS9_16StoreWithoutCastELi8ELi1EEEEEvT0_T1_.private_seg_size)
	.set _ZN2at6native29vectorized_elementwise_kernelILi4EZZZNS0_15sin_kernel_cudaERNS_18TensorIteratorBaseEENKUlvE0_clEvENKUlvE1_clEvEUlN3c104HalfEE_St5arrayIPcLm2EEEEviT0_T1_.uses_vcc, or(1, .L_ZN2at6native25elementwise_kernel_helperILb0EZZZNS0_15sin_kernel_cudaERNS_18TensorIteratorBaseEENKUlvE0_clEvENKUlvE1_clEvEUlN3c104HalfEE_NS0_6memory8policies11unroll_baseILi256ESt5arrayIPcLm2EE23TrivialOffsetCalculatorILi1EjESG_NS9_15LoadWithoutCastENS9_16StoreWithoutCastELi8ELi1EEEEEvT0_T1_.uses_vcc)
	.set _ZN2at6native29vectorized_elementwise_kernelILi4EZZZNS0_15sin_kernel_cudaERNS_18TensorIteratorBaseEENKUlvE0_clEvENKUlvE1_clEvEUlN3c104HalfEE_St5arrayIPcLm2EEEEviT0_T1_.uses_flat_scratch, or(0, .L_ZN2at6native25elementwise_kernel_helperILb0EZZZNS0_15sin_kernel_cudaERNS_18TensorIteratorBaseEENKUlvE0_clEvENKUlvE1_clEvEUlN3c104HalfEE_NS0_6memory8policies11unroll_baseILi256ESt5arrayIPcLm2EE23TrivialOffsetCalculatorILi1EjESG_NS9_15LoadWithoutCastENS9_16StoreWithoutCastELi8ELi1EEEEEvT0_T1_.uses_flat_scratch)
	.set _ZN2at6native29vectorized_elementwise_kernelILi4EZZZNS0_15sin_kernel_cudaERNS_18TensorIteratorBaseEENKUlvE0_clEvENKUlvE1_clEvEUlN3c104HalfEE_St5arrayIPcLm2EEEEviT0_T1_.has_dyn_sized_stack, or(0, .L_ZN2at6native25elementwise_kernel_helperILb0EZZZNS0_15sin_kernel_cudaERNS_18TensorIteratorBaseEENKUlvE0_clEvENKUlvE1_clEvEUlN3c104HalfEE_NS0_6memory8policies11unroll_baseILi256ESt5arrayIPcLm2EE23TrivialOffsetCalculatorILi1EjESG_NS9_15LoadWithoutCastENS9_16StoreWithoutCastELi8ELi1EEEEEvT0_T1_.has_dyn_sized_stack)
	.set _ZN2at6native29vectorized_elementwise_kernelILi4EZZZNS0_15sin_kernel_cudaERNS_18TensorIteratorBaseEENKUlvE0_clEvENKUlvE1_clEvEUlN3c104HalfEE_St5arrayIPcLm2EEEEviT0_T1_.has_recursion, or(0, .L_ZN2at6native25elementwise_kernel_helperILb0EZZZNS0_15sin_kernel_cudaERNS_18TensorIteratorBaseEENKUlvE0_clEvENKUlvE1_clEvEUlN3c104HalfEE_NS0_6memory8policies11unroll_baseILi256ESt5arrayIPcLm2EE23TrivialOffsetCalculatorILi1EjESG_NS9_15LoadWithoutCastENS9_16StoreWithoutCastELi8ELi1EEEEEvT0_T1_.has_recursion)
	.set _ZN2at6native29vectorized_elementwise_kernelILi4EZZZNS0_15sin_kernel_cudaERNS_18TensorIteratorBaseEENKUlvE0_clEvENKUlvE1_clEvEUlN3c104HalfEE_St5arrayIPcLm2EEEEviT0_T1_.has_indirect_call, or(0, .L_ZN2at6native25elementwise_kernel_helperILb0EZZZNS0_15sin_kernel_cudaERNS_18TensorIteratorBaseEENKUlvE0_clEvENKUlvE1_clEvEUlN3c104HalfEE_NS0_6memory8policies11unroll_baseILi256ESt5arrayIPcLm2EE23TrivialOffsetCalculatorILi1EjESG_NS9_15LoadWithoutCastENS9_16StoreWithoutCastELi8ELi1EEEEEvT0_T1_.has_indirect_call)
	.section	.AMDGPU.csdata,"",@progbits
; Kernel info:
; codeLenInByte = 6872
; TotalNumSgprs: 37
; NumVgprs: 45
; ScratchSize: 0
; MemoryBound: 0
; FloatMode: 240
; IeeeMode: 1
; LDSByteSize: 0 bytes/workgroup (compile time only)
; SGPRBlocks: 4
; VGPRBlocks: 11
; NumSGPRsForWavesPerEU: 37
; NumVGPRsForWavesPerEU: 45
; Occupancy: 5
; WaveLimiterHint : 1
; COMPUTE_PGM_RSRC2:SCRATCH_EN: 0
; COMPUTE_PGM_RSRC2:USER_SGPR: 6
; COMPUTE_PGM_RSRC2:TRAP_HANDLER: 0
; COMPUTE_PGM_RSRC2:TGID_X_EN: 1
; COMPUTE_PGM_RSRC2:TGID_Y_EN: 0
; COMPUTE_PGM_RSRC2:TGID_Z_EN: 0
; COMPUTE_PGM_RSRC2:TIDIG_COMP_CNT: 0
	.section	.text._ZN2at6native29vectorized_elementwise_kernelILi2EZZZNS0_15sin_kernel_cudaERNS_18TensorIteratorBaseEENKUlvE0_clEvENKUlvE1_clEvEUlN3c104HalfEE_St5arrayIPcLm2EEEEviT0_T1_,"axG",@progbits,_ZN2at6native29vectorized_elementwise_kernelILi2EZZZNS0_15sin_kernel_cudaERNS_18TensorIteratorBaseEENKUlvE0_clEvENKUlvE1_clEvEUlN3c104HalfEE_St5arrayIPcLm2EEEEviT0_T1_,comdat
	.globl	_ZN2at6native29vectorized_elementwise_kernelILi2EZZZNS0_15sin_kernel_cudaERNS_18TensorIteratorBaseEENKUlvE0_clEvENKUlvE1_clEvEUlN3c104HalfEE_St5arrayIPcLm2EEEEviT0_T1_ ; -- Begin function _ZN2at6native29vectorized_elementwise_kernelILi2EZZZNS0_15sin_kernel_cudaERNS_18TensorIteratorBaseEENKUlvE0_clEvENKUlvE1_clEvEUlN3c104HalfEE_St5arrayIPcLm2EEEEviT0_T1_
	.p2align	8
	.type	_ZN2at6native29vectorized_elementwise_kernelILi2EZZZNS0_15sin_kernel_cudaERNS_18TensorIteratorBaseEENKUlvE0_clEvENKUlvE1_clEvEUlN3c104HalfEE_St5arrayIPcLm2EEEEviT0_T1_,@function
_ZN2at6native29vectorized_elementwise_kernelILi2EZZZNS0_15sin_kernel_cudaERNS_18TensorIteratorBaseEENKUlvE0_clEvENKUlvE1_clEvEUlN3c104HalfEE_St5arrayIPcLm2EEEEviT0_T1_: ; @_ZN2at6native29vectorized_elementwise_kernelILi2EZZZNS0_15sin_kernel_cudaERNS_18TensorIteratorBaseEENKUlvE0_clEvENKUlvE1_clEvEUlN3c104HalfEE_St5arrayIPcLm2EEEEviT0_T1_
; %bb.0:
	s_add_u32 s0, s0, s7
	s_load_dword s7, s[4:5], 0x0
	s_load_dwordx4 s[16:19], s[4:5], 0x8
	s_addc_u32 s1, s1, 0
	s_lshl_b32 s4, s6, 11
	s_mov_b64 s[8:9], -1
	s_waitcnt lgkmcnt(0)
	s_sub_i32 s7, s7, s4
	s_cmpk_gt_i32 s7, 0x7ff
	s_mov_b32 s32, 0
	s_cbranch_scc1 .LBB21_3
; %bb.1:
	s_and_b64 vcc, exec, s[8:9]
	s_cbranch_vccnz .LBB21_36
.LBB21_2:
	s_endpgm
.LBB21_3:
	s_ashr_i32 s5, s4, 31
	s_lshl_b64 s[12:13], s[4:5], 1
	s_add_u32 s4, s18, s12
	s_addc_u32 s5, s19, s13
	v_lshlrev_b32_e32 v3, 2, v0
	global_load_dword v7, v3, s[4:5]
	global_load_dword v14, v3, s[4:5] offset:1024
	global_load_dword v19, v3, s[4:5] offset:2048
	;; [unrolled: 1-line block ×3, first 2 shown]
	s_brev_b32 s4, 18
	v_mov_b32_e32 v2, 0
                                        ; implicit-def: $vgpr6
                                        ; implicit-def: $vgpr1
	s_waitcnt vmcnt(3)
	v_cvt_f32_f16_e32 v4, v7
	v_and_b32_e32 v5, 0x7fffffff, v4
	v_cmp_nlt_f32_e64 s[4:5], |v4|, s4
	s_and_saveexec_b64 s[8:9], s[4:5]
	s_xor_b64 s[14:15], exec, s[8:9]
	s_cbranch_execz .LBB21_5
; %bb.4:
	v_and_b32_e32 v1, 0x7fffff, v5
	v_or_b32_e32 v6, 0x800000, v1
	s_mov_b32 s4, 0xfe5163ab
	v_mad_u64_u32 v[9:10], s[4:5], v6, s4, 0
	s_mov_b32 s4, 0x3c439041
	v_lshrrev_b32_e32 v15, 23, v5
	v_mov_b32_e32 v1, v10
	v_mad_u64_u32 v[10:11], s[4:5], v6, s4, v[1:2]
	s_mov_b32 s4, 0xdb629599
	v_add_u32_e32 v18, 0xffffff88, v15
	v_mov_b32_e32 v1, v11
	v_mad_u64_u32 v[11:12], s[4:5], v6, s4, v[1:2]
	s_mov_b32 s4, 0xf534ddc0
	v_not_b32_e32 v17, 63
	v_mov_b32_e32 v1, v12
	v_mad_u64_u32 v[12:13], s[4:5], v6, s4, v[1:2]
	s_mov_b32 s4, 0xfc2757d1
	v_cmp_lt_u32_e32 vcc, 63, v18
	v_mov_b32_e32 v1, v13
	v_mad_u64_u32 v[15:16], s[4:5], v6, s4, v[1:2]
	v_cndmask_b32_e32 v1, 0, v17, vcc
	v_add_u32_e32 v13, v1, v18
	v_mov_b32_e32 v1, v16
	s_mov_b32 s4, 0x4e441529
	v_mad_u64_u32 v[16:17], s[4:5], v6, s4, v[1:2]
	v_not_b32_e32 v18, 31
	v_cmp_lt_u32_e64 s[4:5], 31, v13
	v_cndmask_b32_e64 v1, 0, v18, s[4:5]
	v_add_u32_e32 v13, v1, v13
	v_mov_b32_e32 v1, v17
	s_mov_b32 s8, 0xa2f9836e
	v_mad_u64_u32 v[1:2], s[8:9], v6, s8, v[1:2]
	v_cmp_lt_u32_e64 s[8:9], 31, v13
	v_cndmask_b32_e64 v6, 0, v18, s[8:9]
	v_add_u32_e32 v6, v6, v13
	v_cndmask_b32_e32 v13, v16, v12, vcc
	v_cndmask_b32_e32 v1, v1, v15, vcc
	;; [unrolled: 1-line block ×3, first 2 shown]
	v_cndmask_b32_e64 v17, v1, v13, s[4:5]
	v_cndmask_b32_e64 v1, v2, v1, s[4:5]
	v_cndmask_b32_e32 v2, v15, v11, vcc
	v_cndmask_b32_e64 v13, v13, v2, s[4:5]
	v_cndmask_b32_e64 v1, v1, v17, s[8:9]
	;; [unrolled: 1-line block ×3, first 2 shown]
	v_sub_u32_e32 v16, 32, v6
	v_alignbit_b32 v17, v1, v15, v16
	v_cmp_eq_u32_e64 s[10:11], 0, v6
	v_cndmask_b32_e64 v6, v17, v1, s[10:11]
	v_cndmask_b32_e32 v1, v12, v10, vcc
	v_cndmask_b32_e64 v2, v2, v1, s[4:5]
	v_cndmask_b32_e64 v10, v13, v2, s[8:9]
	v_alignbit_b32 v12, v15, v10, v16
	v_cndmask_b32_e32 v9, v11, v9, vcc
	v_cndmask_b32_e64 v12, v12, v15, s[10:11]
	v_bfe_u32 v17, v6, 29, 1
	v_cndmask_b32_e64 v1, v1, v9, s[4:5]
	v_alignbit_b32 v13, v6, v12, 30
	v_sub_u32_e32 v18, 0, v17
	v_cndmask_b32_e64 v1, v2, v1, s[8:9]
	v_xor_b32_e32 v13, v13, v18
	v_alignbit_b32 v2, v10, v1, v16
	v_cndmask_b32_e64 v2, v2, v10, s[10:11]
	v_ffbh_u32_e32 v10, v13
	v_alignbit_b32 v9, v12, v2, 30
	v_min_u32_e32 v10, 32, v10
	v_alignbit_b32 v1, v2, v1, 30
	v_xor_b32_e32 v9, v9, v18
	v_sub_u32_e32 v11, 31, v10
	v_xor_b32_e32 v1, v1, v18
	v_alignbit_b32 v12, v13, v9, v11
	v_alignbit_b32 v1, v9, v1, v11
	;; [unrolled: 1-line block ×3, first 2 shown]
	v_ffbh_u32_e32 v9, v2
	v_min_u32_e32 v9, 32, v9
	v_lshrrev_b32_e32 v15, 29, v6
	v_not_b32_e32 v11, v9
	v_alignbit_b32 v1, v2, v1, v11
	v_lshlrev_b32_e32 v2, 31, v15
	v_or_b32_e32 v11, 0x33000000, v2
	v_add_lshl_u32 v9, v9, v10, 23
	v_lshrrev_b32_e32 v1, 9, v1
	v_sub_u32_e32 v9, v11, v9
	v_or_b32_e32 v2, 0.5, v2
	v_lshlrev_b32_e32 v10, 23, v10
	v_or_b32_e32 v1, v9, v1
	v_lshrrev_b32_e32 v9, 9, v12
	v_sub_u32_e32 v2, v2, v10
	v_or_b32_e32 v2, v9, v2
	s_mov_b32 s4, 0x3fc90fda
	v_mul_f32_e32 v9, 0x3fc90fda, v2
	v_fma_f32 v10, v2, s4, -v9
	v_fmac_f32_e32 v10, 0x33a22168, v2
	v_fmac_f32_e32 v10, 0x3fc90fda, v1
	v_lshrrev_b32_e32 v2, 30, v6
	v_add_f32_e32 v1, v9, v10
	v_add_u32_e32 v6, v17, v2
.LBB21_5:
	s_andn2_saveexec_b64 s[4:5], s[14:15]
	s_cbranch_execz .LBB21_7
; %bb.6:
	s_mov_b32 s8, 0x3f22f983
	v_mul_f32_e64 v1, |v4|, s8
	v_rndne_f32_e32 v2, v1
	s_mov_b32 s8, 0xbfc90fda
	v_cvt_i32_f32_e32 v6, v2
	v_fma_f32 v1, v2, s8, |v4|
	v_fmac_f32_e32 v1, 0xb3a22168, v2
	v_fmac_f32_e32 v1, 0xa7c234c4, v2
.LBB21_7:
	s_or_b64 exec, exec, s[4:5]
	v_cvt_f32_f16_sdwa v2, v7 dst_sel:DWORD dst_unused:UNUSED_PAD src0_sel:WORD_1
	s_brev_b32 s4, 18
                                        ; implicit-def: $vgpr12
                                        ; implicit-def: $vgpr10
	v_and_b32_e32 v7, 0x7fffffff, v2
	v_cmp_nlt_f32_e64 s[4:5], |v2|, s4
	s_and_saveexec_b64 s[8:9], s[4:5]
	s_xor_b64 s[14:15], exec, s[8:9]
	s_cbranch_execz .LBB21_9
; %bb.8:
	v_and_b32_e32 v9, 0x7fffff, v7
	v_or_b32_e32 v22, 0x800000, v9
	s_mov_b32 s4, 0xfe5163ab
	v_mad_u64_u32 v[9:10], s[4:5], v22, s4, 0
	v_mov_b32_e32 v11, 0
	s_mov_b32 s4, 0x3c439041
	v_mad_u64_u32 v[12:13], s[4:5], v22, s4, v[10:11]
	s_mov_b32 s4, 0xdb629599
	v_not_b32_e32 v23, 31
	v_mov_b32_e32 v10, v13
	v_mad_u64_u32 v[15:16], s[4:5], v22, s4, v[10:11]
	s_mov_b32 s4, 0xf534ddc0
	v_not_b32_e32 v13, 63
	v_mov_b32_e32 v10, v16
	v_mad_u64_u32 v[16:17], s[4:5], v22, s4, v[10:11]
	v_lshrrev_b32_e32 v10, 23, v7
	v_add_u32_e32 v20, 0xffffff88, v10
	v_mov_b32_e32 v10, v17
	s_mov_b32 s4, 0xfc2757d1
	v_mad_u64_u32 v[17:18], s[4:5], v22, s4, v[10:11]
	v_cmp_lt_u32_e32 vcc, 63, v20
	v_cndmask_b32_e32 v10, 0, v13, vcc
	v_add_u32_e32 v13, v10, v20
	v_mov_b32_e32 v10, v18
	s_mov_b32 s4, 0x4e441529
	v_mad_u64_u32 v[20:21], s[4:5], v22, s4, v[10:11]
	v_cmp_lt_u32_e64 s[4:5], 31, v13
	v_cndmask_b32_e64 v10, 0, v23, s[4:5]
	v_add_u32_e32 v13, v10, v13
	v_mov_b32_e32 v10, v21
	s_mov_b32 s8, 0xa2f9836e
	v_mad_u64_u32 v[10:11], s[8:9], v22, s8, v[10:11]
	v_cmp_lt_u32_e64 s[8:9], 31, v13
	v_cndmask_b32_e64 v18, 0, v23, s[8:9]
	v_add_u32_e32 v13, v18, v13
	v_cndmask_b32_e32 v18, v20, v16, vcc
	v_cndmask_b32_e32 v10, v10, v17, vcc
	;; [unrolled: 1-line block ×3, first 2 shown]
	v_cndmask_b32_e64 v21, v10, v18, s[4:5]
	v_cndmask_b32_e64 v10, v11, v10, s[4:5]
	v_cndmask_b32_e32 v11, v17, v15, vcc
	v_cndmask_b32_e64 v17, v18, v11, s[4:5]
	v_cndmask_b32_e64 v10, v10, v21, s[8:9]
	;; [unrolled: 1-line block ×3, first 2 shown]
	v_sub_u32_e32 v20, 32, v13
	v_alignbit_b32 v21, v10, v18, v20
	v_cmp_eq_u32_e64 s[10:11], 0, v13
	v_cndmask_b32_e64 v13, v21, v10, s[10:11]
	v_cndmask_b32_e32 v10, v16, v12, vcc
	v_cndmask_b32_e64 v11, v11, v10, s[4:5]
	v_cndmask_b32_e64 v12, v17, v11, s[8:9]
	v_alignbit_b32 v16, v18, v12, v20
	v_cndmask_b32_e32 v9, v15, v9, vcc
	v_cndmask_b32_e64 v16, v16, v18, s[10:11]
	v_bfe_u32 v21, v13, 29, 1
	v_cndmask_b32_e64 v9, v10, v9, s[4:5]
	v_alignbit_b32 v17, v13, v16, 30
	v_sub_u32_e32 v22, 0, v21
	v_cndmask_b32_e64 v9, v11, v9, s[8:9]
	v_xor_b32_e32 v17, v17, v22
	v_alignbit_b32 v10, v12, v9, v20
	v_cndmask_b32_e64 v10, v10, v12, s[10:11]
	v_ffbh_u32_e32 v12, v17
	v_alignbit_b32 v11, v16, v10, 30
	v_min_u32_e32 v12, 32, v12
	v_alignbit_b32 v9, v10, v9, 30
	v_xor_b32_e32 v11, v11, v22
	v_sub_u32_e32 v15, 31, v12
	v_xor_b32_e32 v9, v9, v22
	v_alignbit_b32 v16, v17, v11, v15
	v_alignbit_b32 v9, v11, v9, v15
	;; [unrolled: 1-line block ×3, first 2 shown]
	v_ffbh_u32_e32 v11, v10
	v_min_u32_e32 v11, 32, v11
	v_lshrrev_b32_e32 v18, 29, v13
	v_not_b32_e32 v15, v11
	v_alignbit_b32 v9, v10, v9, v15
	v_lshlrev_b32_e32 v10, 31, v18
	v_or_b32_e32 v15, 0x33000000, v10
	v_add_lshl_u32 v11, v11, v12, 23
	v_lshrrev_b32_e32 v9, 9, v9
	v_sub_u32_e32 v11, v15, v11
	v_or_b32_e32 v10, 0.5, v10
	v_lshlrev_b32_e32 v12, 23, v12
	v_or_b32_e32 v9, v11, v9
	v_lshrrev_b32_e32 v11, 9, v16
	v_sub_u32_e32 v10, v10, v12
	v_or_b32_e32 v10, v11, v10
	s_mov_b32 s4, 0x3fc90fda
	v_mul_f32_e32 v11, 0x3fc90fda, v10
	v_fma_f32 v12, v10, s4, -v11
	v_fmac_f32_e32 v12, 0x33a22168, v10
	v_fmac_f32_e32 v12, 0x3fc90fda, v9
	v_lshrrev_b32_e32 v9, 30, v13
	v_add_f32_e32 v10, v11, v12
	v_add_u32_e32 v12, v21, v9
.LBB21_9:
	s_andn2_saveexec_b64 s[4:5], s[14:15]
	s_cbranch_execz .LBB21_11
; %bb.10:
	s_mov_b32 s8, 0x3f22f983
	v_mul_f32_e64 v9, |v2|, s8
	v_rndne_f32_e32 v9, v9
	s_mov_b32 s8, 0xbfc90fda
	v_cvt_i32_f32_e32 v12, v9
	v_fma_f32 v10, v9, s8, |v2|
	v_fmac_f32_e32 v10, 0xb3a22168, v9
	v_fmac_f32_e32 v10, 0xa7c234c4, v9
.LBB21_11:
	s_or_b64 exec, exec, s[4:5]
	s_waitcnt vmcnt(2)
	v_cvt_f32_f16_e32 v9, v14
	s_brev_b32 s4, 18
                                        ; implicit-def: $vgpr15
                                        ; implicit-def: $vgpr13
	v_and_b32_e32 v11, 0x7fffffff, v9
	v_cmp_nlt_f32_e64 s[4:5], |v9|, s4
	s_and_saveexec_b64 s[8:9], s[4:5]
	s_xor_b64 s[14:15], exec, s[8:9]
	s_cbranch_execz .LBB21_13
; %bb.12:
	v_and_b32_e32 v13, 0x7fffff, v11
	v_or_b32_e32 v13, 0x800000, v13
	s_mov_b32 s4, 0xfe5163ab
	v_mad_u64_u32 v[15:16], s[4:5], v13, s4, 0
	v_mov_b32_e32 v17, 0
	s_mov_b32 s4, 0x3c439041
	v_mad_u64_u32 v[20:21], s[4:5], v13, s4, v[16:17]
	s_mov_b32 s4, 0xdb629599
	v_not_b32_e32 v18, 63
	v_mov_b32_e32 v16, v21
	v_mad_u64_u32 v[21:22], s[4:5], v13, s4, v[16:17]
	s_mov_b32 s4, 0xf534ddc0
	v_not_b32_e32 v26, 31
	v_mov_b32_e32 v16, v22
	v_mad_u64_u32 v[22:23], s[4:5], v13, s4, v[16:17]
	v_lshrrev_b32_e32 v16, 23, v11
	v_add_u32_e32 v25, 0xffffff88, v16
	v_mov_b32_e32 v16, v23
	s_mov_b32 s4, 0xfc2757d1
	v_mad_u64_u32 v[23:24], s[4:5], v13, s4, v[16:17]
	v_cmp_lt_u32_e32 vcc, 63, v25
	v_cndmask_b32_e32 v16, 0, v18, vcc
	v_add_u32_e32 v18, v16, v25
	v_mov_b32_e32 v16, v24
	s_mov_b32 s4, 0x4e441529
	v_mad_u64_u32 v[24:25], s[4:5], v13, s4, v[16:17]
	v_cmp_lt_u32_e64 s[4:5], 31, v18
	v_cndmask_b32_e64 v16, 0, v26, s[4:5]
	v_add_u32_e32 v18, v16, v18
	v_mov_b32_e32 v16, v25
	s_mov_b32 s8, 0xa2f9836e
	v_mad_u64_u32 v[16:17], s[8:9], v13, s8, v[16:17]
	v_cmp_lt_u32_e64 s[8:9], 31, v18
	v_cndmask_b32_e64 v13, 0, v26, s[8:9]
	v_add_u32_e32 v13, v13, v18
	v_cndmask_b32_e32 v18, v24, v22, vcc
	v_cndmask_b32_e32 v16, v16, v23, vcc
	v_cndmask_b32_e32 v17, v17, v24, vcc
	v_cndmask_b32_e64 v25, v16, v18, s[4:5]
	v_cndmask_b32_e64 v16, v17, v16, s[4:5]
	v_cndmask_b32_e32 v17, v23, v21, vcc
	v_cndmask_b32_e64 v18, v18, v17, s[4:5]
	v_sub_u32_e32 v24, 32, v13
	v_cmp_eq_u32_e64 s[10:11], 0, v13
	v_cndmask_b32_e32 v13, v22, v20, vcc
	v_cndmask_b32_e64 v16, v16, v25, s[8:9]
	v_cndmask_b32_e64 v23, v25, v18, s[8:9]
	;; [unrolled: 1-line block ×3, first 2 shown]
	v_alignbit_b32 v25, v16, v23, v24
	v_cndmask_b32_e64 v18, v18, v17, s[8:9]
	v_cndmask_b32_e64 v16, v25, v16, s[10:11]
	v_alignbit_b32 v20, v23, v18, v24
	v_cndmask_b32_e32 v15, v21, v15, vcc
	v_cndmask_b32_e64 v20, v20, v23, s[10:11]
	v_bfe_u32 v25, v16, 29, 1
	v_cndmask_b32_e64 v13, v13, v15, s[4:5]
	v_alignbit_b32 v22, v16, v20, 30
	v_sub_u32_e32 v26, 0, v25
	v_cndmask_b32_e64 v13, v17, v13, s[8:9]
	v_xor_b32_e32 v22, v22, v26
	v_alignbit_b32 v15, v18, v13, v24
	v_cndmask_b32_e64 v15, v15, v18, s[10:11]
	v_ffbh_u32_e32 v18, v22
	v_alignbit_b32 v17, v20, v15, 30
	v_min_u32_e32 v18, 32, v18
	v_alignbit_b32 v13, v15, v13, 30
	v_xor_b32_e32 v17, v17, v26
	v_sub_u32_e32 v20, 31, v18
	v_xor_b32_e32 v13, v13, v26
	v_alignbit_b32 v21, v22, v17, v20
	v_alignbit_b32 v13, v17, v13, v20
	;; [unrolled: 1-line block ×3, first 2 shown]
	v_ffbh_u32_e32 v17, v15
	v_min_u32_e32 v17, 32, v17
	v_lshrrev_b32_e32 v23, 29, v16
	v_not_b32_e32 v20, v17
	v_alignbit_b32 v13, v15, v13, v20
	v_lshlrev_b32_e32 v15, 31, v23
	v_or_b32_e32 v20, 0x33000000, v15
	v_add_lshl_u32 v17, v17, v18, 23
	v_lshrrev_b32_e32 v13, 9, v13
	v_sub_u32_e32 v17, v20, v17
	v_or_b32_e32 v15, 0.5, v15
	v_lshlrev_b32_e32 v18, 23, v18
	v_or_b32_e32 v13, v17, v13
	v_lshrrev_b32_e32 v17, 9, v21
	v_sub_u32_e32 v15, v15, v18
	v_or_b32_e32 v15, v17, v15
	s_mov_b32 s4, 0x3fc90fda
	v_mul_f32_e32 v17, 0x3fc90fda, v15
	v_fma_f32 v18, v15, s4, -v17
	v_fmac_f32_e32 v18, 0x33a22168, v15
	v_fmac_f32_e32 v18, 0x3fc90fda, v13
	v_lshrrev_b32_e32 v15, 30, v16
	v_add_f32_e32 v13, v17, v18
	v_add_u32_e32 v15, v25, v15
.LBB21_13:
	s_andn2_saveexec_b64 s[4:5], s[14:15]
	s_cbranch_execz .LBB21_15
; %bb.14:
	s_mov_b32 s8, 0x3f22f983
	v_mul_f32_e64 v13, |v9|, s8
	v_rndne_f32_e32 v16, v13
	s_mov_b32 s8, 0xbfc90fda
	v_cvt_i32_f32_e32 v15, v16
	v_fma_f32 v13, v16, s8, |v9|
	v_fmac_f32_e32 v13, 0xb3a22168, v16
	v_fmac_f32_e32 v13, 0xa7c234c4, v16
.LBB21_15:
	s_or_b64 exec, exec, s[4:5]
	v_cvt_f32_f16_sdwa v14, v14 dst_sel:DWORD dst_unused:UNUSED_PAD src0_sel:WORD_1
	s_brev_b32 s4, 18
                                        ; implicit-def: $vgpr21
                                        ; implicit-def: $vgpr18
	v_and_b32_e32 v16, 0x7fffffff, v14
	v_cmp_nlt_f32_e64 s[4:5], |v14|, s4
	s_and_saveexec_b64 s[8:9], s[4:5]
	s_xor_b64 s[14:15], exec, s[8:9]
	s_cbranch_execz .LBB21_17
; %bb.16:
	v_and_b32_e32 v17, 0x7fffff, v16
	v_or_b32_e32 v28, 0x800000, v17
	s_mov_b32 s4, 0xfe5163ab
	v_mad_u64_u32 v[17:18], s[4:5], v28, s4, 0
	v_mov_b32_e32 v21, 0
	s_mov_b32 s4, 0x3c439041
	v_mov_b32_e32 v20, v18
	v_mad_u64_u32 v[22:23], s[4:5], v28, s4, v[20:21]
	s_mov_b32 s4, 0xdb629599
	v_lshrrev_b32_e32 v18, 23, v16
	v_mov_b32_e32 v20, v23
	v_mad_u64_u32 v[23:24], s[4:5], v28, s4, v[20:21]
	s_mov_b32 s4, 0xf534ddc0
	v_add_u32_e32 v18, 0xffffff88, v18
	v_mov_b32_e32 v20, v24
	v_mad_u64_u32 v[24:25], s[4:5], v28, s4, v[20:21]
	s_mov_b32 s4, 0xfc2757d1
	v_not_b32_e32 v27, 63
	v_mov_b32_e32 v20, v25
	v_mad_u64_u32 v[25:26], s[4:5], v28, s4, v[20:21]
	v_cmp_lt_u32_e32 vcc, 63, v18
	v_cndmask_b32_e32 v20, 0, v27, vcc
	v_add_u32_e32 v18, v20, v18
	v_mov_b32_e32 v20, v26
	s_mov_b32 s4, 0x4e441529
	v_mad_u64_u32 v[26:27], s[4:5], v28, s4, v[20:21]
	v_not_b32_e32 v29, 31
	v_cmp_lt_u32_e64 s[4:5], 31, v18
	v_cndmask_b32_e64 v20, 0, v29, s[4:5]
	v_add_u32_e32 v18, v20, v18
	v_mov_b32_e32 v20, v27
	s_mov_b32 s8, 0xa2f9836e
	v_mad_u64_u32 v[20:21], s[8:9], v28, s8, v[20:21]
	v_cmp_lt_u32_e64 s[8:9], 31, v18
	v_cndmask_b32_e64 v27, 0, v29, s[8:9]
	v_add_u32_e32 v18, v27, v18
	v_cndmask_b32_e32 v27, v26, v24, vcc
	v_cndmask_b32_e32 v20, v20, v25, vcc
	;; [unrolled: 1-line block ×3, first 2 shown]
	v_cndmask_b32_e64 v28, v20, v27, s[4:5]
	v_cndmask_b32_e64 v20, v21, v20, s[4:5]
	v_cndmask_b32_e32 v21, v25, v23, vcc
	v_cndmask_b32_e64 v25, v27, v21, s[4:5]
	v_sub_u32_e32 v27, 32, v18
	v_cmp_eq_u32_e64 s[10:11], 0, v18
	v_cndmask_b32_e32 v18, v24, v22, vcc
	v_cndmask_b32_e64 v20, v20, v28, s[8:9]
	v_cndmask_b32_e64 v26, v28, v25, s[8:9]
	;; [unrolled: 1-line block ×3, first 2 shown]
	v_alignbit_b32 v28, v20, v26, v27
	v_cndmask_b32_e64 v22, v25, v21, s[8:9]
	v_cndmask_b32_e64 v20, v28, v20, s[10:11]
	v_alignbit_b32 v24, v26, v22, v27
	v_cndmask_b32_e32 v17, v23, v17, vcc
	v_cndmask_b32_e64 v24, v24, v26, s[10:11]
	v_bfe_u32 v28, v20, 29, 1
	v_cndmask_b32_e64 v17, v18, v17, s[4:5]
	v_alignbit_b32 v25, v20, v24, 30
	v_sub_u32_e32 v29, 0, v28
	v_cndmask_b32_e64 v17, v21, v17, s[8:9]
	v_xor_b32_e32 v25, v25, v29
	v_alignbit_b32 v18, v22, v17, v27
	v_cndmask_b32_e64 v18, v18, v22, s[10:11]
	v_ffbh_u32_e32 v22, v25
	v_alignbit_b32 v21, v24, v18, 30
	v_min_u32_e32 v22, 32, v22
	v_alignbit_b32 v17, v18, v17, 30
	v_xor_b32_e32 v21, v21, v29
	v_sub_u32_e32 v23, 31, v22
	v_xor_b32_e32 v17, v17, v29
	v_alignbit_b32 v24, v25, v21, v23
	v_alignbit_b32 v17, v21, v17, v23
	v_alignbit_b32 v18, v24, v17, 9
	v_ffbh_u32_e32 v21, v18
	v_min_u32_e32 v21, 32, v21
	v_lshrrev_b32_e32 v26, 29, v20
	v_not_b32_e32 v23, v21
	v_alignbit_b32 v17, v18, v17, v23
	v_lshlrev_b32_e32 v18, 31, v26
	v_or_b32_e32 v23, 0x33000000, v18
	v_add_lshl_u32 v21, v21, v22, 23
	v_lshrrev_b32_e32 v17, 9, v17
	v_sub_u32_e32 v21, v23, v21
	v_or_b32_e32 v18, 0.5, v18
	v_lshlrev_b32_e32 v22, 23, v22
	v_or_b32_e32 v17, v21, v17
	v_lshrrev_b32_e32 v21, 9, v24
	v_sub_u32_e32 v18, v18, v22
	v_or_b32_e32 v18, v21, v18
	s_mov_b32 s4, 0x3fc90fda
	v_mul_f32_e32 v21, 0x3fc90fda, v18
	v_fma_f32 v22, v18, s4, -v21
	v_fmac_f32_e32 v22, 0x33a22168, v18
	v_fmac_f32_e32 v22, 0x3fc90fda, v17
	v_lshrrev_b32_e32 v17, 30, v20
	v_add_f32_e32 v18, v21, v22
	v_add_u32_e32 v21, v28, v17
.LBB21_17:
	s_andn2_saveexec_b64 s[4:5], s[14:15]
	s_cbranch_execz .LBB21_19
; %bb.18:
	s_mov_b32 s8, 0x3f22f983
	v_mul_f32_e64 v17, |v14|, s8
	v_rndne_f32_e32 v17, v17
	s_mov_b32 s8, 0xbfc90fda
	v_cvt_i32_f32_e32 v21, v17
	v_fma_f32 v18, v17, s8, |v14|
	v_fmac_f32_e32 v18, 0xb3a22168, v17
	v_fmac_f32_e32 v18, 0xa7c234c4, v17
.LBB21_19:
	s_or_b64 exec, exec, s[4:5]
	s_waitcnt vmcnt(1)
	v_cvt_f32_f16_e32 v17, v19
	s_brev_b32 s4, 18
                                        ; implicit-def: $vgpr27
                                        ; implicit-def: $vgpr22
	v_and_b32_e32 v20, 0x7fffffff, v17
	v_cmp_nlt_f32_e64 s[4:5], |v17|, s4
	s_and_saveexec_b64 s[8:9], s[4:5]
	s_xor_b64 s[14:15], exec, s[8:9]
	s_cbranch_execz .LBB21_21
; %bb.20:
	v_and_b32_e32 v22, 0x7fffff, v20
	v_or_b32_e32 v31, 0x800000, v22
	s_mov_b32 s4, 0xfe5163ab
	v_mad_u64_u32 v[22:23], s[4:5], v31, s4, 0
	v_mov_b32_e32 v24, 0
	s_mov_b32 s4, 0x3c439041
	v_mad_u64_u32 v[25:26], s[4:5], v31, s4, v[23:24]
	s_mov_b32 s4, 0xdb629599
	v_not_b32_e32 v30, 63
	v_mov_b32_e32 v23, v26
	v_mad_u64_u32 v[26:27], s[4:5], v31, s4, v[23:24]
	s_mov_b32 s4, 0xf534ddc0
	v_not_b32_e32 v33, 31
	v_mov_b32_e32 v23, v27
	v_mad_u64_u32 v[27:28], s[4:5], v31, s4, v[23:24]
	v_lshrrev_b32_e32 v23, 23, v20
	v_add_u32_e32 v32, 0xffffff88, v23
	v_mov_b32_e32 v23, v28
	s_mov_b32 s4, 0xfc2757d1
	v_mad_u64_u32 v[28:29], s[4:5], v31, s4, v[23:24]
	v_cmp_lt_u32_e32 vcc, 63, v32
	v_cndmask_b32_e32 v23, 0, v30, vcc
	v_add_u32_e32 v32, v23, v32
	v_mov_b32_e32 v23, v29
	s_mov_b32 s4, 0x4e441529
	v_mad_u64_u32 v[29:30], s[4:5], v31, s4, v[23:24]
	v_cmp_lt_u32_e64 s[4:5], 31, v32
	v_cndmask_b32_e64 v23, 0, v33, s[4:5]
	v_add_u32_e32 v32, v23, v32
	v_mov_b32_e32 v23, v30
	s_mov_b32 s8, 0xa2f9836e
	v_mad_u64_u32 v[23:24], s[8:9], v31, s8, v[23:24]
	v_cmp_lt_u32_e64 s[8:9], 31, v32
	v_cndmask_b32_e64 v30, 0, v33, s[8:9]
	v_cndmask_b32_e32 v31, v29, v27, vcc
	v_cndmask_b32_e32 v23, v23, v28, vcc
	;; [unrolled: 1-line block ×3, first 2 shown]
	v_add_u32_e32 v30, v30, v32
	v_cndmask_b32_e64 v32, v23, v31, s[4:5]
	v_cndmask_b32_e64 v23, v24, v23, s[4:5]
	v_cndmask_b32_e32 v24, v28, v26, vcc
	v_cndmask_b32_e64 v28, v31, v24, s[4:5]
	v_cndmask_b32_e32 v25, v27, v25, vcc
	v_cndmask_b32_e64 v23, v23, v32, s[8:9]
	v_cndmask_b32_e64 v29, v32, v28, s[8:9]
	v_sub_u32_e32 v31, 32, v30
	v_cndmask_b32_e64 v24, v24, v25, s[4:5]
	v_alignbit_b32 v32, v23, v29, v31
	v_cmp_eq_u32_e64 s[10:11], 0, v30
	v_cndmask_b32_e64 v27, v28, v24, s[8:9]
	v_cndmask_b32_e64 v23, v32, v23, s[10:11]
	v_alignbit_b32 v28, v29, v27, v31
	v_cndmask_b32_e32 v22, v26, v22, vcc
	v_cndmask_b32_e64 v28, v28, v29, s[10:11]
	v_bfe_u32 v32, v23, 29, 1
	v_cndmask_b32_e64 v22, v25, v22, s[4:5]
	v_alignbit_b32 v29, v23, v28, 30
	v_sub_u32_e32 v33, 0, v32
	v_cndmask_b32_e64 v22, v24, v22, s[8:9]
	v_xor_b32_e32 v29, v29, v33
	v_alignbit_b32 v24, v27, v22, v31
	v_cndmask_b32_e64 v24, v24, v27, s[10:11]
	v_ffbh_u32_e32 v26, v29
	v_alignbit_b32 v25, v28, v24, 30
	v_min_u32_e32 v26, 32, v26
	v_alignbit_b32 v22, v24, v22, 30
	v_xor_b32_e32 v25, v25, v33
	v_sub_u32_e32 v27, 31, v26
	v_xor_b32_e32 v22, v22, v33
	v_alignbit_b32 v28, v29, v25, v27
	v_alignbit_b32 v22, v25, v22, v27
	;; [unrolled: 1-line block ×3, first 2 shown]
	v_ffbh_u32_e32 v25, v24
	v_min_u32_e32 v25, 32, v25
	v_lshrrev_b32_e32 v30, 29, v23
	v_not_b32_e32 v27, v25
	v_alignbit_b32 v22, v24, v22, v27
	v_lshlrev_b32_e32 v24, 31, v30
	v_or_b32_e32 v27, 0x33000000, v24
	v_add_lshl_u32 v25, v25, v26, 23
	v_lshrrev_b32_e32 v22, 9, v22
	v_sub_u32_e32 v25, v27, v25
	v_or_b32_e32 v24, 0.5, v24
	v_lshlrev_b32_e32 v26, 23, v26
	v_or_b32_e32 v22, v25, v22
	v_lshrrev_b32_e32 v25, 9, v28
	v_sub_u32_e32 v24, v24, v26
	v_or_b32_e32 v24, v25, v24
	s_mov_b32 s4, 0x3fc90fda
	v_mul_f32_e32 v25, 0x3fc90fda, v24
	v_fma_f32 v26, v24, s4, -v25
	v_fmac_f32_e32 v26, 0x33a22168, v24
	v_fmac_f32_e32 v26, 0x3fc90fda, v22
	v_lshrrev_b32_e32 v23, 30, v23
	v_add_f32_e32 v22, v25, v26
	v_add_u32_e32 v27, v32, v23
.LBB21_21:
	s_andn2_saveexec_b64 s[4:5], s[14:15]
	s_cbranch_execz .LBB21_23
; %bb.22:
	s_mov_b32 s8, 0x3f22f983
	v_mul_f32_e64 v22, |v17|, s8
	v_rndne_f32_e32 v23, v22
	s_mov_b32 s8, 0xbfc90fda
	v_cvt_i32_f32_e32 v27, v23
	v_fma_f32 v22, v23, s8, |v17|
	v_fmac_f32_e32 v22, 0xb3a22168, v23
	v_fmac_f32_e32 v22, 0xa7c234c4, v23
.LBB21_23:
	s_or_b64 exec, exec, s[4:5]
	v_cvt_f32_f16_sdwa v19, v19 dst_sel:DWORD dst_unused:UNUSED_PAD src0_sel:WORD_1
	s_brev_b32 s4, 18
                                        ; implicit-def: $vgpr30
                                        ; implicit-def: $vgpr26
	v_and_b32_e32 v23, 0x7fffffff, v19
	v_cmp_nlt_f32_e64 s[4:5], |v19|, s4
	s_and_saveexec_b64 s[8:9], s[4:5]
	s_xor_b64 s[14:15], exec, s[8:9]
	s_cbranch_execz .LBB21_25
; %bb.24:
	v_and_b32_e32 v24, 0x7fffff, v23
	v_or_b32_e32 v34, 0x800000, v24
	s_mov_b32 s4, 0xfe5163ab
	v_mad_u64_u32 v[24:25], s[4:5], v34, s4, 0
	v_mov_b32_e32 v26, 0
	s_mov_b32 s4, 0x3c439041
	v_mad_u64_u32 v[28:29], s[4:5], v34, s4, v[25:26]
	s_mov_b32 s4, 0xdb629599
	v_not_b32_e32 v33, 63
	v_mov_b32_e32 v25, v29
	v_mad_u64_u32 v[29:30], s[4:5], v34, s4, v[25:26]
	s_mov_b32 s4, 0xf534ddc0
	v_not_b32_e32 v36, 31
	v_mov_b32_e32 v25, v30
	v_mad_u64_u32 v[30:31], s[4:5], v34, s4, v[25:26]
	v_lshrrev_b32_e32 v25, 23, v23
	v_add_u32_e32 v35, 0xffffff88, v25
	v_mov_b32_e32 v25, v31
	s_mov_b32 s4, 0xfc2757d1
	v_mad_u64_u32 v[31:32], s[4:5], v34, s4, v[25:26]
	v_cmp_lt_u32_e32 vcc, 63, v35
	v_cndmask_b32_e32 v25, 0, v33, vcc
	v_add_u32_e32 v35, v25, v35
	v_mov_b32_e32 v25, v32
	s_mov_b32 s4, 0x4e441529
	v_mad_u64_u32 v[32:33], s[4:5], v34, s4, v[25:26]
	v_cmp_lt_u32_e64 s[4:5], 31, v35
	v_cndmask_b32_e64 v25, 0, v36, s[4:5]
	v_add_u32_e32 v35, v25, v35
	v_mov_b32_e32 v25, v33
	s_mov_b32 s8, 0xa2f9836e
	v_mad_u64_u32 v[25:26], s[8:9], v34, s8, v[25:26]
	v_cmp_lt_u32_e64 s[8:9], 31, v35
	v_cndmask_b32_e64 v33, 0, v36, s[8:9]
	v_cndmask_b32_e32 v34, v32, v30, vcc
	v_cndmask_b32_e32 v25, v25, v31, vcc
	;; [unrolled: 1-line block ×3, first 2 shown]
	v_add_u32_e32 v33, v33, v35
	v_cndmask_b32_e64 v35, v25, v34, s[4:5]
	v_cndmask_b32_e64 v25, v26, v25, s[4:5]
	v_cndmask_b32_e32 v26, v31, v29, vcc
	v_cndmask_b32_e64 v31, v34, v26, s[4:5]
	v_cndmask_b32_e32 v28, v30, v28, vcc
	v_cndmask_b32_e64 v25, v25, v35, s[8:9]
	v_cndmask_b32_e64 v32, v35, v31, s[8:9]
	v_sub_u32_e32 v34, 32, v33
	v_cndmask_b32_e64 v26, v26, v28, s[4:5]
	v_alignbit_b32 v35, v25, v32, v34
	v_cmp_eq_u32_e64 s[10:11], 0, v33
	v_cndmask_b32_e64 v30, v31, v26, s[8:9]
	v_cndmask_b32_e64 v25, v35, v25, s[10:11]
	v_alignbit_b32 v31, v32, v30, v34
	v_cndmask_b32_e32 v24, v29, v24, vcc
	v_cndmask_b32_e64 v31, v31, v32, s[10:11]
	v_bfe_u32 v35, v25, 29, 1
	v_cndmask_b32_e64 v24, v28, v24, s[4:5]
	v_alignbit_b32 v32, v25, v31, 30
	v_sub_u32_e32 v36, 0, v35
	v_cndmask_b32_e64 v24, v26, v24, s[8:9]
	v_xor_b32_e32 v32, v32, v36
	v_alignbit_b32 v26, v30, v24, v34
	v_cndmask_b32_e64 v26, v26, v30, s[10:11]
	v_ffbh_u32_e32 v29, v32
	v_alignbit_b32 v28, v31, v26, 30
	v_min_u32_e32 v29, 32, v29
	v_alignbit_b32 v24, v26, v24, 30
	v_xor_b32_e32 v28, v28, v36
	v_sub_u32_e32 v30, 31, v29
	v_xor_b32_e32 v24, v24, v36
	v_alignbit_b32 v31, v32, v28, v30
	v_alignbit_b32 v24, v28, v24, v30
	;; [unrolled: 1-line block ×3, first 2 shown]
	v_ffbh_u32_e32 v28, v26
	v_min_u32_e32 v28, 32, v28
	v_lshrrev_b32_e32 v33, 29, v25
	v_not_b32_e32 v30, v28
	v_alignbit_b32 v24, v26, v24, v30
	v_lshlrev_b32_e32 v26, 31, v33
	v_or_b32_e32 v30, 0x33000000, v26
	v_add_lshl_u32 v28, v28, v29, 23
	v_lshrrev_b32_e32 v24, 9, v24
	v_sub_u32_e32 v28, v30, v28
	v_or_b32_e32 v26, 0.5, v26
	v_lshlrev_b32_e32 v29, 23, v29
	v_or_b32_e32 v24, v28, v24
	v_lshrrev_b32_e32 v28, 9, v31
	v_sub_u32_e32 v26, v26, v29
	v_or_b32_e32 v26, v28, v26
	s_mov_b32 s4, 0x3fc90fda
	v_mul_f32_e32 v28, 0x3fc90fda, v26
	v_fma_f32 v29, v26, s4, -v28
	v_fmac_f32_e32 v29, 0x33a22168, v26
	v_fmac_f32_e32 v29, 0x3fc90fda, v24
	v_lshrrev_b32_e32 v24, 30, v25
	v_add_f32_e32 v26, v28, v29
	v_add_u32_e32 v30, v35, v24
.LBB21_25:
	s_andn2_saveexec_b64 s[4:5], s[14:15]
	s_cbranch_execz .LBB21_27
; %bb.26:
	s_mov_b32 s8, 0x3f22f983
	v_mul_f32_e64 v24, |v19|, s8
	v_rndne_f32_e32 v24, v24
	s_mov_b32 s8, 0xbfc90fda
	v_cvt_i32_f32_e32 v30, v24
	v_fma_f32 v26, v24, s8, |v19|
	v_fmac_f32_e32 v26, 0xb3a22168, v24
	v_fmac_f32_e32 v26, 0xa7c234c4, v24
.LBB21_27:
	s_or_b64 exec, exec, s[4:5]
	s_waitcnt vmcnt(0)
	v_cvt_f32_f16_e32 v24, v8
	s_brev_b32 s4, 18
                                        ; implicit-def: $vgpr32
                                        ; implicit-def: $vgpr28
	v_and_b32_e32 v25, 0x7fffffff, v24
	v_cmp_nlt_f32_e64 s[4:5], |v24|, s4
	s_and_saveexec_b64 s[8:9], s[4:5]
	s_xor_b64 s[14:15], exec, s[8:9]
	s_cbranch_execz .LBB21_29
; %bb.28:
	v_and_b32_e32 v28, 0x7fffff, v25
	v_or_b32_e32 v39, 0x800000, v28
	s_mov_b32 s4, 0xfe5163ab
	v_mad_u64_u32 v[28:29], s[4:5], v39, s4, 0
	v_mov_b32_e32 v32, 0
	s_mov_b32 s4, 0x3c439041
	v_mov_b32_e32 v31, v29
	v_mad_u64_u32 v[33:34], s[4:5], v39, s4, v[31:32]
	s_mov_b32 s4, 0xdb629599
	v_lshrrev_b32_e32 v29, 23, v25
	v_mov_b32_e32 v31, v34
	v_mad_u64_u32 v[34:35], s[4:5], v39, s4, v[31:32]
	s_mov_b32 s4, 0xf534ddc0
	v_add_u32_e32 v29, 0xffffff88, v29
	v_mov_b32_e32 v31, v35
	v_mad_u64_u32 v[35:36], s[4:5], v39, s4, v[31:32]
	s_mov_b32 s4, 0xfc2757d1
	v_not_b32_e32 v38, 63
	v_mov_b32_e32 v31, v36
	v_mad_u64_u32 v[36:37], s[4:5], v39, s4, v[31:32]
	v_cmp_lt_u32_e32 vcc, 63, v29
	v_cndmask_b32_e32 v31, 0, v38, vcc
	v_add_u32_e32 v29, v31, v29
	v_mov_b32_e32 v31, v37
	s_mov_b32 s4, 0x4e441529
	v_mad_u64_u32 v[37:38], s[4:5], v39, s4, v[31:32]
	v_not_b32_e32 v40, 31
	v_cmp_lt_u32_e64 s[4:5], 31, v29
	v_cndmask_b32_e64 v31, 0, v40, s[4:5]
	v_add_u32_e32 v29, v31, v29
	v_mov_b32_e32 v31, v38
	s_mov_b32 s8, 0xa2f9836e
	v_mad_u64_u32 v[31:32], s[8:9], v39, s8, v[31:32]
	v_cmp_lt_u32_e64 s[8:9], 31, v29
	v_cndmask_b32_e64 v38, 0, v40, s[8:9]
	v_add_u32_e32 v29, v38, v29
	v_cndmask_b32_e32 v38, v37, v35, vcc
	v_cndmask_b32_e32 v31, v31, v36, vcc
	;; [unrolled: 1-line block ×3, first 2 shown]
	v_cndmask_b32_e64 v39, v31, v38, s[4:5]
	v_cndmask_b32_e64 v31, v32, v31, s[4:5]
	v_cndmask_b32_e32 v32, v36, v34, vcc
	v_cndmask_b32_e64 v36, v38, v32, s[4:5]
	v_cndmask_b32_e64 v31, v31, v39, s[8:9]
	;; [unrolled: 1-line block ×3, first 2 shown]
	v_sub_u32_e32 v38, 32, v29
	v_alignbit_b32 v39, v31, v37, v38
	v_cmp_eq_u32_e64 s[10:11], 0, v29
	v_cndmask_b32_e64 v29, v39, v31, s[10:11]
	v_cndmask_b32_e32 v31, v35, v33, vcc
	v_cndmask_b32_e64 v32, v32, v31, s[4:5]
	v_cndmask_b32_e64 v33, v36, v32, s[8:9]
	v_alignbit_b32 v35, v37, v33, v38
	v_cndmask_b32_e32 v28, v34, v28, vcc
	v_cndmask_b32_e64 v35, v35, v37, s[10:11]
	v_bfe_u32 v39, v29, 29, 1
	v_cndmask_b32_e64 v28, v31, v28, s[4:5]
	v_alignbit_b32 v36, v29, v35, 30
	v_sub_u32_e32 v40, 0, v39
	v_cndmask_b32_e64 v28, v32, v28, s[8:9]
	v_xor_b32_e32 v36, v36, v40
	v_alignbit_b32 v31, v33, v28, v38
	v_cndmask_b32_e64 v31, v31, v33, s[10:11]
	v_ffbh_u32_e32 v33, v36
	v_alignbit_b32 v32, v35, v31, 30
	v_min_u32_e32 v33, 32, v33
	v_alignbit_b32 v28, v31, v28, 30
	v_xor_b32_e32 v32, v32, v40
	v_sub_u32_e32 v34, 31, v33
	v_xor_b32_e32 v28, v28, v40
	v_alignbit_b32 v35, v36, v32, v34
	v_alignbit_b32 v28, v32, v28, v34
	;; [unrolled: 1-line block ×3, first 2 shown]
	v_ffbh_u32_e32 v32, v31
	v_min_u32_e32 v32, 32, v32
	v_lshrrev_b32_e32 v37, 29, v29
	v_not_b32_e32 v34, v32
	v_alignbit_b32 v28, v31, v28, v34
	v_lshlrev_b32_e32 v31, 31, v37
	v_or_b32_e32 v34, 0x33000000, v31
	v_add_lshl_u32 v32, v32, v33, 23
	v_lshrrev_b32_e32 v28, 9, v28
	v_sub_u32_e32 v32, v34, v32
	v_or_b32_e32 v31, 0.5, v31
	v_lshlrev_b32_e32 v33, 23, v33
	v_or_b32_e32 v28, v32, v28
	v_lshrrev_b32_e32 v32, 9, v35
	v_sub_u32_e32 v31, v31, v33
	v_or_b32_e32 v31, v32, v31
	s_mov_b32 s4, 0x3fc90fda
	v_mul_f32_e32 v32, 0x3fc90fda, v31
	v_fma_f32 v33, v31, s4, -v32
	v_fmac_f32_e32 v33, 0x33a22168, v31
	v_fmac_f32_e32 v33, 0x3fc90fda, v28
	v_lshrrev_b32_e32 v29, 30, v29
	v_add_f32_e32 v28, v32, v33
	v_add_u32_e32 v32, v39, v29
.LBB21_29:
	s_andn2_saveexec_b64 s[4:5], s[14:15]
	s_cbranch_execz .LBB21_31
; %bb.30:
	s_mov_b32 s8, 0x3f22f983
	v_mul_f32_e64 v28, |v24|, s8
	v_rndne_f32_e32 v29, v28
	s_mov_b32 s8, 0xbfc90fda
	v_cvt_i32_f32_e32 v32, v29
	v_fma_f32 v28, v29, s8, |v24|
	v_fmac_f32_e32 v28, 0xb3a22168, v29
	v_fmac_f32_e32 v28, 0xa7c234c4, v29
.LBB21_31:
	s_or_b64 exec, exec, s[4:5]
	v_cvt_f32_f16_sdwa v8, v8 dst_sel:DWORD dst_unused:UNUSED_PAD src0_sel:WORD_1
	s_brev_b32 s4, 18
                                        ; implicit-def: $vgpr33
                                        ; implicit-def: $vgpr31
	v_and_b32_e32 v29, 0x7fffffff, v8
	v_cmp_nlt_f32_e64 s[4:5], |v8|, s4
	s_and_saveexec_b64 s[8:9], s[4:5]
	s_xor_b64 s[14:15], exec, s[8:9]
	s_cbranch_execz .LBB21_33
; %bb.32:
	v_and_b32_e32 v31, 0x7fffff, v29
	v_or_b32_e32 v31, 0x800000, v31
	s_mov_b32 s4, 0xfe5163ab
	v_mad_u64_u32 v[33:34], s[4:5], v31, s4, 0
	v_mov_b32_e32 v35, 0
	s_mov_b32 s4, 0x3c439041
	v_mad_u64_u32 v[36:37], s[4:5], v31, s4, v[34:35]
	s_mov_b32 s4, 0xdb629599
	v_not_b32_e32 v41, 63
	v_mov_b32_e32 v34, v37
	v_mad_u64_u32 v[37:38], s[4:5], v31, s4, v[34:35]
	s_mov_b32 s4, 0xf534ddc0
	v_not_b32_e32 v43, 31
	v_mov_b32_e32 v34, v38
	v_mad_u64_u32 v[38:39], s[4:5], v31, s4, v[34:35]
	v_lshrrev_b32_e32 v34, 23, v29
	v_add_u32_e32 v42, 0xffffff88, v34
	v_mov_b32_e32 v34, v39
	s_mov_b32 s4, 0xfc2757d1
	v_mad_u64_u32 v[39:40], s[4:5], v31, s4, v[34:35]
	v_cmp_lt_u32_e32 vcc, 63, v42
	v_cndmask_b32_e32 v34, 0, v41, vcc
	v_add_u32_e32 v42, v34, v42
	v_mov_b32_e32 v34, v40
	s_mov_b32 s4, 0x4e441529
	v_mad_u64_u32 v[40:41], s[4:5], v31, s4, v[34:35]
	v_cmp_lt_u32_e64 s[4:5], 31, v42
	v_cndmask_b32_e64 v34, 0, v43, s[4:5]
	v_add_u32_e32 v42, v34, v42
	v_mov_b32_e32 v34, v41
	s_mov_b32 s8, 0xa2f9836e
	v_mad_u64_u32 v[34:35], s[8:9], v31, s8, v[34:35]
	v_cmp_lt_u32_e64 s[8:9], 31, v42
	v_cndmask_b32_e64 v31, 0, v43, s[8:9]
	v_cndmask_b32_e32 v41, v40, v38, vcc
	v_cndmask_b32_e32 v34, v34, v39, vcc
	;; [unrolled: 1-line block ×3, first 2 shown]
	v_add_u32_e32 v31, v31, v42
	v_cndmask_b32_e64 v42, v34, v41, s[4:5]
	v_cndmask_b32_e64 v34, v35, v34, s[4:5]
	v_cndmask_b32_e32 v35, v39, v37, vcc
	v_cndmask_b32_e64 v39, v41, v35, s[4:5]
	v_sub_u32_e32 v41, 32, v31
	v_cmp_eq_u32_e64 s[10:11], 0, v31
	v_cndmask_b32_e32 v31, v38, v36, vcc
	v_cndmask_b32_e64 v34, v34, v42, s[8:9]
	v_cndmask_b32_e64 v40, v42, v39, s[8:9]
	;; [unrolled: 1-line block ×3, first 2 shown]
	v_alignbit_b32 v42, v34, v40, v41
	v_cndmask_b32_e64 v36, v39, v35, s[8:9]
	v_cndmask_b32_e64 v34, v42, v34, s[10:11]
	v_alignbit_b32 v38, v40, v36, v41
	v_cndmask_b32_e32 v33, v37, v33, vcc
	v_cndmask_b32_e64 v38, v38, v40, s[10:11]
	v_bfe_u32 v42, v34, 29, 1
	v_cndmask_b32_e64 v31, v31, v33, s[4:5]
	v_alignbit_b32 v39, v34, v38, 30
	v_sub_u32_e32 v43, 0, v42
	v_cndmask_b32_e64 v31, v35, v31, s[8:9]
	v_xor_b32_e32 v39, v39, v43
	v_alignbit_b32 v33, v36, v31, v41
	v_cndmask_b32_e64 v33, v33, v36, s[10:11]
	v_ffbh_u32_e32 v36, v39
	v_alignbit_b32 v35, v38, v33, 30
	v_min_u32_e32 v36, 32, v36
	v_alignbit_b32 v31, v33, v31, 30
	v_xor_b32_e32 v35, v35, v43
	v_sub_u32_e32 v37, 31, v36
	v_xor_b32_e32 v31, v31, v43
	v_alignbit_b32 v38, v39, v35, v37
	v_alignbit_b32 v31, v35, v31, v37
	;; [unrolled: 1-line block ×3, first 2 shown]
	v_ffbh_u32_e32 v35, v33
	v_min_u32_e32 v35, 32, v35
	v_lshrrev_b32_e32 v40, 29, v34
	v_not_b32_e32 v37, v35
	v_alignbit_b32 v31, v33, v31, v37
	v_lshlrev_b32_e32 v33, 31, v40
	v_or_b32_e32 v37, 0x33000000, v33
	v_add_lshl_u32 v35, v35, v36, 23
	v_lshrrev_b32_e32 v31, 9, v31
	v_sub_u32_e32 v35, v37, v35
	v_or_b32_e32 v33, 0.5, v33
	v_lshlrev_b32_e32 v36, 23, v36
	v_or_b32_e32 v31, v35, v31
	v_lshrrev_b32_e32 v35, 9, v38
	v_sub_u32_e32 v33, v33, v36
	v_or_b32_e32 v33, v35, v33
	s_mov_b32 s4, 0x3fc90fda
	v_mul_f32_e32 v35, 0x3fc90fda, v33
	v_fma_f32 v36, v33, s4, -v35
	v_fmac_f32_e32 v36, 0x33a22168, v33
	v_fmac_f32_e32 v36, 0x3fc90fda, v31
	v_lshrrev_b32_e32 v33, 30, v34
	v_add_f32_e32 v31, v35, v36
	v_add_u32_e32 v33, v42, v33
.LBB21_33:
	s_andn2_saveexec_b64 s[4:5], s[14:15]
	s_cbranch_execz .LBB21_35
; %bb.34:
	s_mov_b32 s8, 0x3f22f983
	v_mul_f32_e64 v31, |v8|, s8
	v_rndne_f32_e32 v34, v31
	s_mov_b32 s8, 0xbfc90fda
	v_cvt_i32_f32_e32 v33, v34
	v_fma_f32 v31, v34, s8, |v8|
	v_fmac_f32_e32 v31, 0xb3a22168, v34
	v_fmac_f32_e32 v31, 0xa7c234c4, v34
.LBB21_35:
	s_or_b64 exec, exec, s[4:5]
	v_lshlrev_b32_e32 v40, 30, v12
	v_xor_b32_e32 v7, v7, v2
	v_and_b32_e32 v40, 0x80000000, v40
	v_mul_f32_e32 v41, v10, v10
	v_xor_b32_e32 v7, v7, v40
	v_mov_b32_e32 v40, 0x3c0881c4
	v_fmac_f32_e32 v40, 0xb94c1982, v41
	v_mov_b32_e32 v42, 0xbe2aaa9d
	v_fma_f32 v40, v41, v40, v42
	v_mul_f32_e32 v40, v41, v40
	v_fmac_f32_e32 v10, v10, v40
	v_mov_b32_e32 v40, 0xbab64f3b
	v_fmac_f32_e32 v40, 0x37d75334, v41
	v_mov_b32_e32 v43, 0x3d2aabf7
	v_fma_f32 v40, v41, v40, v43
	v_mov_b32_e32 v44, 0xbf000004
	v_fma_f32 v40, v41, v40, v44
	v_and_b32_e32 v12, 1, v12
	s_movk_i32 s10, 0x1f8
	v_fma_f32 v40, v41, v40, 1.0
	v_cmp_eq_u32_e32 vcc, 0, v12
	v_cndmask_b32_e32 v10, v40, v10, vcc
	v_cmp_class_f32_e64 vcc, v2, s10
	v_lshlrev_b32_e32 v2, 30, v6
	v_xor_b32_e32 v5, v5, v4
	v_and_b32_e32 v2, 0x80000000, v2
	v_mul_f32_e32 v40, v1, v1
	v_xor_b32_e32 v2, v5, v2
	v_mov_b32_e32 v5, 0x3c0881c4
	v_fmac_f32_e32 v5, 0xb94c1982, v40
	v_fma_f32 v5, v40, v5, v42
	v_mul_f32_e32 v5, v40, v5
	v_fmac_f32_e32 v1, v1, v5
	v_mov_b32_e32 v5, 0xbab64f3b
	v_fmac_f32_e32 v5, 0x37d75334, v40
	v_fma_f32 v5, v40, v5, v43
	v_fma_f32 v5, v40, v5, v44
	v_and_b32_e32 v6, 1, v6
	v_fma_f32 v5, v40, v5, 1.0
	v_cmp_eq_u32_e64 s[4:5], 0, v6
	v_lshlrev_b32_e32 v6, 30, v15
	v_lshlrev_b32_e32 v40, 30, v21
	v_cndmask_b32_e64 v1, v5, v1, s[4:5]
	v_xor_b32_e32 v11, v11, v9
	v_and_b32_e32 v6, 0x80000000, v6
	v_xor_b32_e32 v1, v2, v1
	v_mul_f32_e32 v2, v18, v18
	v_xor_b32_e32 v16, v16, v14
	v_and_b32_e32 v40, 0x80000000, v40
	v_xor_b32_e32 v6, v11, v6
	v_mov_b32_e32 v11, 0x3c0881c4
	v_mul_f32_e32 v5, v13, v13
	v_xor_b32_e32 v16, v16, v40
	v_fmac_f32_e32 v11, 0xb94c1982, v2
	v_mov_b32_e32 v40, 0x3c0881c4
	v_fmac_f32_e32 v40, 0xb94c1982, v5
	v_fma_f32 v11, v2, v11, v42
	v_fma_f32 v40, v5, v40, v42
	v_mul_f32_e32 v11, v2, v11
	v_mul_f32_e32 v40, v5, v40
	v_fmac_f32_e32 v18, v18, v11
	v_mov_b32_e32 v11, 0xbab64f3b
	v_fmac_f32_e32 v13, v13, v40
	v_fmac_f32_e32 v11, 0x37d75334, v2
	v_mov_b32_e32 v40, 0xbab64f3b
	v_fmac_f32_e32 v40, 0x37d75334, v5
	v_fma_f32 v11, v2, v11, v43
	v_xor_b32_e32 v7, v7, v10
	v_mov_b32_e32 v10, 0x7fc00000
	v_and_b32_e32 v21, 1, v21
	v_fma_f32 v40, v5, v40, v43
	v_fma_f32 v11, v2, v11, v44
	v_and_b32_e32 v15, 1, v15
	v_cndmask_b32_e32 v7, v10, v7, vcc
	v_fma_f32 v40, v5, v40, v44
	v_fma_f32 v2, v2, v11, 1.0
	v_cmp_eq_u32_e32 vcc, 0, v21
	v_fma_f32 v5, v5, v40, 1.0
	v_cndmask_b32_e32 v2, v2, v18, vcc
	v_cmp_eq_u32_e32 vcc, 0, v15
	v_cndmask_b32_e32 v5, v5, v13, vcc
	v_cmp_class_f32_e64 s[4:5], v4, s10
	v_xor_b32_e32 v5, v6, v5
	v_cmp_class_f32_e64 vcc, v9, s10
	v_cndmask_b32_e64 v1, v10, v1, s[4:5]
	v_xor_b32_e32 v2, v16, v2
	v_cndmask_b32_e32 v5, v10, v5, vcc
	v_cmp_class_f32_e64 vcc, v14, s10
	v_cvt_f16_f32_e32 v7, v7
	v_cvt_f16_f32_e32 v1, v1
	v_cndmask_b32_e32 v2, v10, v2, vcc
	v_cvt_f16_f32_e32 v2, v2
	v_cvt_f16_f32_e32 v5, v5
	s_add_u32 s8, s16, s12
	v_lshlrev_b32_e32 v38, 30, v30
	s_addc_u32 s9, s17, s13
	v_pack_b32_f16 v1, v1, v7
	global_store_dword v3, v1, s[8:9]
	v_pack_b32_f16 v1, v5, v2
	v_xor_b32_e32 v2, v23, v19
	v_and_b32_e32 v7, 0x80000000, v38
	v_lshlrev_b32_e32 v39, 30, v27
	v_mul_f32_e32 v12, v26, v26
	v_xor_b32_e32 v2, v2, v7
	v_mov_b32_e32 v7, 0x3c0881c4
	v_xor_b32_e32 v5, v20, v17
	v_and_b32_e32 v9, 0x80000000, v39
	v_fmac_f32_e32 v7, 0xb94c1982, v12
	v_mul_f32_e32 v41, v22, v22
	v_xor_b32_e32 v5, v5, v9
	v_mov_b32_e32 v9, 0x3c0881c4
	v_fma_f32 v7, v12, v7, v42
	v_fmac_f32_e32 v9, 0xb94c1982, v41
	v_mul_f32_e32 v7, v12, v7
	v_fma_f32 v9, v41, v9, v42
	v_fmac_f32_e32 v26, v26, v7
	v_mov_b32_e32 v7, 0xbab64f3b
	v_mul_f32_e32 v9, v41, v9
	v_fmac_f32_e32 v7, 0x37d75334, v12
	v_mul_f32_e32 v36, v28, v28
	v_mov_b32_e32 v4, 0x3c0881c4
	v_fmac_f32_e32 v22, v22, v9
	v_mov_b32_e32 v9, 0xbab64f3b
	v_fma_f32 v7, v12, v7, v43
	v_and_b32_e32 v30, 1, v30
	v_fmac_f32_e32 v9, 0x37d75334, v41
	v_fma_f32 v7, v12, v7, v44
	v_fmac_f32_e32 v4, 0xb94c1982, v36
	v_fma_f32 v9, v41, v9, v43
	v_fma_f32 v7, v12, v7, 1.0
	v_cmp_eq_u32_e32 vcc, 0, v30
	v_fma_f32 v4, v36, v4, v42
	v_and_b32_e32 v27, 1, v27
	v_fma_f32 v9, v41, v9, v44
	v_cndmask_b32_e32 v7, v7, v26, vcc
	v_mul_f32_e32 v4, v36, v4
	v_mul_f32_e32 v37, v31, v31
	v_mov_b32_e32 v6, 0xbab64f3b
	v_fma_f32 v9, v41, v9, 1.0
	v_cmp_eq_u32_e32 vcc, 0, v27
	v_xor_b32_e32 v2, v2, v7
	v_mov_b32_e32 v7, 0x3c0881c4
	v_fmac_f32_e32 v28, v28, v4
	v_mov_b32_e32 v4, 0xbab64f3b
	v_cndmask_b32_e32 v9, v9, v22, vcc
	v_fmac_f32_e32 v7, 0xb94c1982, v37
	v_fmac_f32_e32 v4, 0x37d75334, v37
	;; [unrolled: 1-line block ×3, first 2 shown]
	v_xor_b32_e32 v5, v5, v9
	v_cmp_class_f32_e64 vcc, v17, s10
	v_fmac_f32_e32 v42, v37, v7
	v_fma_f32 v6, v36, v6, v43
	v_fmac_f32_e32 v43, v37, v4
	v_lshlrev_b32_e32 v34, 30, v33
	v_and_b32_e32 v33, 1, v33
	v_cndmask_b32_e32 v5, v10, v5, vcc
	v_cmp_class_f32_e64 vcc, v19, s10
	v_mul_f32_e32 v7, v37, v42
	v_fma_f32 v4, v37, v43, v44
	v_lshlrev_b32_e32 v35, 30, v32
	v_and_b32_e32 v32, 1, v32
	v_cndmask_b32_e32 v2, v10, v2, vcc
	v_fmac_f32_e32 v31, v31, v7
	v_fmac_f32_e32 v44, v36, v6
	v_fma_f32 v4, v37, v4, 1.0
	v_cmp_eq_u32_e32 vcc, 0, v33
	v_fma_f32 v6, v36, v44, 1.0
	v_cndmask_b32_e32 v4, v4, v31, vcc
	v_cmp_eq_u32_e32 vcc, 0, v32
	v_and_b32_e32 v9, 0x80000000, v35
	v_xor_b32_e32 v12, v25, v24
	v_cndmask_b32_e32 v6, v6, v28, vcc
	v_and_b32_e32 v7, 0x80000000, v34
	v_xor_b32_e32 v11, v29, v8
	v_xor_b32_e32 v9, v12, v9
	;; [unrolled: 1-line block ×4, first 2 shown]
	v_cmp_class_f32_e64 vcc, v24, s10
	v_xor_b32_e32 v4, v7, v4
	v_cndmask_b32_e32 v6, v10, v6, vcc
	v_cmp_class_f32_e64 vcc, v8, s10
	v_cvt_f16_f32_e32 v2, v2
	v_cvt_f16_f32_e32 v5, v5
	v_cndmask_b32_e32 v4, v10, v4, vcc
	v_cvt_f16_f32_e32 v4, v4
	v_cvt_f16_f32_e32 v6, v6
	global_store_dword v3, v1, s[8:9] offset:1024
	v_pack_b32_f16 v1, v5, v2
	global_store_dword v3, v1, s[8:9] offset:2048
	v_pack_b32_f16 v1, v6, v4
	global_store_dword v3, v1, s[8:9] offset:3072
	s_branch .LBB21_2
.LBB21_36:
	s_getpc_b64 s[4:5]
	s_add_u32 s4, s4, _ZN2at6native25elementwise_kernel_helperILb0EZZZNS0_15sin_kernel_cudaERNS_18TensorIteratorBaseEENKUlvE0_clEvENKUlvE1_clEvEUlN3c104HalfEE_NS0_6memory8policies11unroll_baseILi256ESt5arrayIPcLm2EE23TrivialOffsetCalculatorILi1EjESG_NS9_15LoadWithoutCastENS9_16StoreWithoutCastELi8ELi1EEEEEvT0_T1_@rel32@lo+4
	s_addc_u32 s5, s5, _ZN2at6native25elementwise_kernel_helperILb0EZZZNS0_15sin_kernel_cudaERNS_18TensorIteratorBaseEENKUlvE0_clEvENKUlvE1_clEvEUlN3c104HalfEE_NS0_6memory8policies11unroll_baseILi256ESt5arrayIPcLm2EE23TrivialOffsetCalculatorILi1EjESG_NS9_15LoadWithoutCastENS9_16StoreWithoutCastELi8ELi1EEEEEvT0_T1_@rel32@hi+12
	s_mov_b32 s12, s6
	v_mov_b32_e32 v31, v0
	v_mov_b32_e32 v0, s16
	;; [unrolled: 1-line block ×6, first 2 shown]
	s_swappc_b64 s[30:31], s[4:5]
	s_endpgm
	.section	.rodata,"a",@progbits
	.p2align	6, 0x0
	.amdhsa_kernel _ZN2at6native29vectorized_elementwise_kernelILi2EZZZNS0_15sin_kernel_cudaERNS_18TensorIteratorBaseEENKUlvE0_clEvENKUlvE1_clEvEUlN3c104HalfEE_St5arrayIPcLm2EEEEviT0_T1_
		.amdhsa_group_segment_fixed_size 0
		.amdhsa_private_segment_fixed_size 0
		.amdhsa_kernarg_size 24
		.amdhsa_user_sgpr_count 6
		.amdhsa_user_sgpr_private_segment_buffer 1
		.amdhsa_user_sgpr_dispatch_ptr 0
		.amdhsa_user_sgpr_queue_ptr 0
		.amdhsa_user_sgpr_kernarg_segment_ptr 1
		.amdhsa_user_sgpr_dispatch_id 0
		.amdhsa_user_sgpr_flat_scratch_init 0
		.amdhsa_user_sgpr_private_segment_size 0
		.amdhsa_uses_dynamic_stack 0
		.amdhsa_system_sgpr_private_segment_wavefront_offset 0
		.amdhsa_system_sgpr_workgroup_id_x 1
		.amdhsa_system_sgpr_workgroup_id_y 0
		.amdhsa_system_sgpr_workgroup_id_z 0
		.amdhsa_system_sgpr_workgroup_info 0
		.amdhsa_system_vgpr_workitem_id 0
		.amdhsa_next_free_vgpr 45
		.amdhsa_next_free_sgpr 33
		.amdhsa_reserve_vcc 1
		.amdhsa_reserve_flat_scratch 0
		.amdhsa_float_round_mode_32 0
		.amdhsa_float_round_mode_16_64 0
		.amdhsa_float_denorm_mode_32 3
		.amdhsa_float_denorm_mode_16_64 3
		.amdhsa_dx10_clamp 1
		.amdhsa_ieee_mode 1
		.amdhsa_fp16_overflow 0
		.amdhsa_exception_fp_ieee_invalid_op 0
		.amdhsa_exception_fp_denorm_src 0
		.amdhsa_exception_fp_ieee_div_zero 0
		.amdhsa_exception_fp_ieee_overflow 0
		.amdhsa_exception_fp_ieee_underflow 0
		.amdhsa_exception_fp_ieee_inexact 0
		.amdhsa_exception_int_div_zero 0
	.end_amdhsa_kernel
	.section	.text._ZN2at6native29vectorized_elementwise_kernelILi2EZZZNS0_15sin_kernel_cudaERNS_18TensorIteratorBaseEENKUlvE0_clEvENKUlvE1_clEvEUlN3c104HalfEE_St5arrayIPcLm2EEEEviT0_T1_,"axG",@progbits,_ZN2at6native29vectorized_elementwise_kernelILi2EZZZNS0_15sin_kernel_cudaERNS_18TensorIteratorBaseEENKUlvE0_clEvENKUlvE1_clEvEUlN3c104HalfEE_St5arrayIPcLm2EEEEviT0_T1_,comdat
.Lfunc_end21:
	.size	_ZN2at6native29vectorized_elementwise_kernelILi2EZZZNS0_15sin_kernel_cudaERNS_18TensorIteratorBaseEENKUlvE0_clEvENKUlvE1_clEvEUlN3c104HalfEE_St5arrayIPcLm2EEEEviT0_T1_, .Lfunc_end21-_ZN2at6native29vectorized_elementwise_kernelILi2EZZZNS0_15sin_kernel_cudaERNS_18TensorIteratorBaseEENKUlvE0_clEvENKUlvE1_clEvEUlN3c104HalfEE_St5arrayIPcLm2EEEEviT0_T1_
                                        ; -- End function
	.set _ZN2at6native29vectorized_elementwise_kernelILi2EZZZNS0_15sin_kernel_cudaERNS_18TensorIteratorBaseEENKUlvE0_clEvENKUlvE1_clEvEUlN3c104HalfEE_St5arrayIPcLm2EEEEviT0_T1_.num_vgpr, max(45, .L_ZN2at6native25elementwise_kernel_helperILb0EZZZNS0_15sin_kernel_cudaERNS_18TensorIteratorBaseEENKUlvE0_clEvENKUlvE1_clEvEUlN3c104HalfEE_NS0_6memory8policies11unroll_baseILi256ESt5arrayIPcLm2EE23TrivialOffsetCalculatorILi1EjESG_NS9_15LoadWithoutCastENS9_16StoreWithoutCastELi8ELi1EEEEEvT0_T1_.num_vgpr)
	.set _ZN2at6native29vectorized_elementwise_kernelILi2EZZZNS0_15sin_kernel_cudaERNS_18TensorIteratorBaseEENKUlvE0_clEvENKUlvE1_clEvEUlN3c104HalfEE_St5arrayIPcLm2EEEEviT0_T1_.num_agpr, max(0, .L_ZN2at6native25elementwise_kernel_helperILb0EZZZNS0_15sin_kernel_cudaERNS_18TensorIteratorBaseEENKUlvE0_clEvENKUlvE1_clEvEUlN3c104HalfEE_NS0_6memory8policies11unroll_baseILi256ESt5arrayIPcLm2EE23TrivialOffsetCalculatorILi1EjESG_NS9_15LoadWithoutCastENS9_16StoreWithoutCastELi8ELi1EEEEEvT0_T1_.num_agpr)
	.set _ZN2at6native29vectorized_elementwise_kernelILi2EZZZNS0_15sin_kernel_cudaERNS_18TensorIteratorBaseEENKUlvE0_clEvENKUlvE1_clEvEUlN3c104HalfEE_St5arrayIPcLm2EEEEviT0_T1_.numbered_sgpr, max(33, .L_ZN2at6native25elementwise_kernel_helperILb0EZZZNS0_15sin_kernel_cudaERNS_18TensorIteratorBaseEENKUlvE0_clEvENKUlvE1_clEvEUlN3c104HalfEE_NS0_6memory8policies11unroll_baseILi256ESt5arrayIPcLm2EE23TrivialOffsetCalculatorILi1EjESG_NS9_15LoadWithoutCastENS9_16StoreWithoutCastELi8ELi1EEEEEvT0_T1_.numbered_sgpr)
	.set _ZN2at6native29vectorized_elementwise_kernelILi2EZZZNS0_15sin_kernel_cudaERNS_18TensorIteratorBaseEENKUlvE0_clEvENKUlvE1_clEvEUlN3c104HalfEE_St5arrayIPcLm2EEEEviT0_T1_.num_named_barrier, max(0, .L_ZN2at6native25elementwise_kernel_helperILb0EZZZNS0_15sin_kernel_cudaERNS_18TensorIteratorBaseEENKUlvE0_clEvENKUlvE1_clEvEUlN3c104HalfEE_NS0_6memory8policies11unroll_baseILi256ESt5arrayIPcLm2EE23TrivialOffsetCalculatorILi1EjESG_NS9_15LoadWithoutCastENS9_16StoreWithoutCastELi8ELi1EEEEEvT0_T1_.num_named_barrier)
	.set _ZN2at6native29vectorized_elementwise_kernelILi2EZZZNS0_15sin_kernel_cudaERNS_18TensorIteratorBaseEENKUlvE0_clEvENKUlvE1_clEvEUlN3c104HalfEE_St5arrayIPcLm2EEEEviT0_T1_.private_seg_size, 0+max(.L_ZN2at6native25elementwise_kernel_helperILb0EZZZNS0_15sin_kernel_cudaERNS_18TensorIteratorBaseEENKUlvE0_clEvENKUlvE1_clEvEUlN3c104HalfEE_NS0_6memory8policies11unroll_baseILi256ESt5arrayIPcLm2EE23TrivialOffsetCalculatorILi1EjESG_NS9_15LoadWithoutCastENS9_16StoreWithoutCastELi8ELi1EEEEEvT0_T1_.private_seg_size)
	.set _ZN2at6native29vectorized_elementwise_kernelILi2EZZZNS0_15sin_kernel_cudaERNS_18TensorIteratorBaseEENKUlvE0_clEvENKUlvE1_clEvEUlN3c104HalfEE_St5arrayIPcLm2EEEEviT0_T1_.uses_vcc, or(1, .L_ZN2at6native25elementwise_kernel_helperILb0EZZZNS0_15sin_kernel_cudaERNS_18TensorIteratorBaseEENKUlvE0_clEvENKUlvE1_clEvEUlN3c104HalfEE_NS0_6memory8policies11unroll_baseILi256ESt5arrayIPcLm2EE23TrivialOffsetCalculatorILi1EjESG_NS9_15LoadWithoutCastENS9_16StoreWithoutCastELi8ELi1EEEEEvT0_T1_.uses_vcc)
	.set _ZN2at6native29vectorized_elementwise_kernelILi2EZZZNS0_15sin_kernel_cudaERNS_18TensorIteratorBaseEENKUlvE0_clEvENKUlvE1_clEvEUlN3c104HalfEE_St5arrayIPcLm2EEEEviT0_T1_.uses_flat_scratch, or(0, .L_ZN2at6native25elementwise_kernel_helperILb0EZZZNS0_15sin_kernel_cudaERNS_18TensorIteratorBaseEENKUlvE0_clEvENKUlvE1_clEvEUlN3c104HalfEE_NS0_6memory8policies11unroll_baseILi256ESt5arrayIPcLm2EE23TrivialOffsetCalculatorILi1EjESG_NS9_15LoadWithoutCastENS9_16StoreWithoutCastELi8ELi1EEEEEvT0_T1_.uses_flat_scratch)
	.set _ZN2at6native29vectorized_elementwise_kernelILi2EZZZNS0_15sin_kernel_cudaERNS_18TensorIteratorBaseEENKUlvE0_clEvENKUlvE1_clEvEUlN3c104HalfEE_St5arrayIPcLm2EEEEviT0_T1_.has_dyn_sized_stack, or(0, .L_ZN2at6native25elementwise_kernel_helperILb0EZZZNS0_15sin_kernel_cudaERNS_18TensorIteratorBaseEENKUlvE0_clEvENKUlvE1_clEvEUlN3c104HalfEE_NS0_6memory8policies11unroll_baseILi256ESt5arrayIPcLm2EE23TrivialOffsetCalculatorILi1EjESG_NS9_15LoadWithoutCastENS9_16StoreWithoutCastELi8ELi1EEEEEvT0_T1_.has_dyn_sized_stack)
	.set _ZN2at6native29vectorized_elementwise_kernelILi2EZZZNS0_15sin_kernel_cudaERNS_18TensorIteratorBaseEENKUlvE0_clEvENKUlvE1_clEvEUlN3c104HalfEE_St5arrayIPcLm2EEEEviT0_T1_.has_recursion, or(0, .L_ZN2at6native25elementwise_kernel_helperILb0EZZZNS0_15sin_kernel_cudaERNS_18TensorIteratorBaseEENKUlvE0_clEvENKUlvE1_clEvEUlN3c104HalfEE_NS0_6memory8policies11unroll_baseILi256ESt5arrayIPcLm2EE23TrivialOffsetCalculatorILi1EjESG_NS9_15LoadWithoutCastENS9_16StoreWithoutCastELi8ELi1EEEEEvT0_T1_.has_recursion)
	.set _ZN2at6native29vectorized_elementwise_kernelILi2EZZZNS0_15sin_kernel_cudaERNS_18TensorIteratorBaseEENKUlvE0_clEvENKUlvE1_clEvEUlN3c104HalfEE_St5arrayIPcLm2EEEEviT0_T1_.has_indirect_call, or(0, .L_ZN2at6native25elementwise_kernel_helperILb0EZZZNS0_15sin_kernel_cudaERNS_18TensorIteratorBaseEENKUlvE0_clEvENKUlvE1_clEvEUlN3c104HalfEE_NS0_6memory8policies11unroll_baseILi256ESt5arrayIPcLm2EE23TrivialOffsetCalculatorILi1EjESG_NS9_15LoadWithoutCastENS9_16StoreWithoutCastELi8ELi1EEEEEvT0_T1_.has_indirect_call)
	.section	.AMDGPU.csdata,"",@progbits
; Kernel info:
; codeLenInByte = 6920
; TotalNumSgprs: 37
; NumVgprs: 45
; ScratchSize: 0
; MemoryBound: 0
; FloatMode: 240
; IeeeMode: 1
; LDSByteSize: 0 bytes/workgroup (compile time only)
; SGPRBlocks: 4
; VGPRBlocks: 11
; NumSGPRsForWavesPerEU: 37
; NumVGPRsForWavesPerEU: 45
; Occupancy: 5
; WaveLimiterHint : 1
; COMPUTE_PGM_RSRC2:SCRATCH_EN: 0
; COMPUTE_PGM_RSRC2:USER_SGPR: 6
; COMPUTE_PGM_RSRC2:TRAP_HANDLER: 0
; COMPUTE_PGM_RSRC2:TGID_X_EN: 1
; COMPUTE_PGM_RSRC2:TGID_Y_EN: 0
; COMPUTE_PGM_RSRC2:TGID_Z_EN: 0
; COMPUTE_PGM_RSRC2:TIDIG_COMP_CNT: 0
	.section	.text._ZN2at6native27unrolled_elementwise_kernelIZZZNS0_15sin_kernel_cudaERNS_18TensorIteratorBaseEENKUlvE0_clEvENKUlvE1_clEvEUlN3c104HalfEE_St5arrayIPcLm2EELi4E23TrivialOffsetCalculatorILi1EjESD_NS0_6memory15LoadWithoutCastENSE_16StoreWithoutCastEEEviT_T0_T2_T3_T4_T5_,"axG",@progbits,_ZN2at6native27unrolled_elementwise_kernelIZZZNS0_15sin_kernel_cudaERNS_18TensorIteratorBaseEENKUlvE0_clEvENKUlvE1_clEvEUlN3c104HalfEE_St5arrayIPcLm2EELi4E23TrivialOffsetCalculatorILi1EjESD_NS0_6memory15LoadWithoutCastENSE_16StoreWithoutCastEEEviT_T0_T2_T3_T4_T5_,comdat
	.globl	_ZN2at6native27unrolled_elementwise_kernelIZZZNS0_15sin_kernel_cudaERNS_18TensorIteratorBaseEENKUlvE0_clEvENKUlvE1_clEvEUlN3c104HalfEE_St5arrayIPcLm2EELi4E23TrivialOffsetCalculatorILi1EjESD_NS0_6memory15LoadWithoutCastENSE_16StoreWithoutCastEEEviT_T0_T2_T3_T4_T5_ ; -- Begin function _ZN2at6native27unrolled_elementwise_kernelIZZZNS0_15sin_kernel_cudaERNS_18TensorIteratorBaseEENKUlvE0_clEvENKUlvE1_clEvEUlN3c104HalfEE_St5arrayIPcLm2EELi4E23TrivialOffsetCalculatorILi1EjESD_NS0_6memory15LoadWithoutCastENSE_16StoreWithoutCastEEEviT_T0_T2_T3_T4_T5_
	.p2align	8
	.type	_ZN2at6native27unrolled_elementwise_kernelIZZZNS0_15sin_kernel_cudaERNS_18TensorIteratorBaseEENKUlvE0_clEvENKUlvE1_clEvEUlN3c104HalfEE_St5arrayIPcLm2EELi4E23TrivialOffsetCalculatorILi1EjESD_NS0_6memory15LoadWithoutCastENSE_16StoreWithoutCastEEEviT_T0_T2_T3_T4_T5_,@function
_ZN2at6native27unrolled_elementwise_kernelIZZZNS0_15sin_kernel_cudaERNS_18TensorIteratorBaseEENKUlvE0_clEvENKUlvE1_clEvEUlN3c104HalfEE_St5arrayIPcLm2EELi4E23TrivialOffsetCalculatorILi1EjESD_NS0_6memory15LoadWithoutCastENSE_16StoreWithoutCastEEEviT_T0_T2_T3_T4_T5_: ; @_ZN2at6native27unrolled_elementwise_kernelIZZZNS0_15sin_kernel_cudaERNS_18TensorIteratorBaseEENKUlvE0_clEvENKUlvE1_clEvEUlN3c104HalfEE_St5arrayIPcLm2EELi4E23TrivialOffsetCalculatorILi1EjESD_NS0_6memory15LoadWithoutCastENSE_16StoreWithoutCastEEEviT_T0_T2_T3_T4_T5_
; %bb.0:
	s_load_dword s0, s[4:5], 0x0
	s_load_dwordx4 s[8:11], s[4:5], 0x8
	s_lshl_b32 s14, s6, 10
	v_mov_b32_e32 v6, 0
	v_or_b32_e32 v1, s14, v0
	s_waitcnt lgkmcnt(0)
	s_sub_i32 s15, s0, s14
	v_cmp_gt_i32_e32 vcc, s15, v0
	v_mov_b32_e32 v5, 0
	v_mov_b32_e32 v3, v0
	s_and_saveexec_b64 s[2:3], vcc
	s_cbranch_execz .LBB22_2
; %bb.1:
	v_mov_b32_e32 v2, 0
	v_lshlrev_b64 v[2:3], 1, v[1:2]
	v_mov_b32_e32 v4, s11
	v_add_co_u32_e64 v2, s[0:1], s10, v2
	v_addc_co_u32_e64 v3, s[0:1], v4, v3, s[0:1]
	global_load_ushort v2, v[2:3], off
	v_or_b32_e32 v3, 0x100, v0
	s_waitcnt vmcnt(0)
	v_cvt_f32_f16_e32 v5, v2
.LBB22_2:
	s_or_b64 exec, exec, s[2:3]
	v_cmp_gt_i32_e64 s[0:1], s15, v3
	s_and_saveexec_b64 s[2:3], s[0:1]
	s_cbranch_execz .LBB22_4
; %bb.3:
	v_add_u32_e32 v6, s14, v3
	v_mov_b32_e32 v7, 0
	v_lshlrev_b64 v[6:7], 1, v[6:7]
	v_mov_b32_e32 v2, s11
	v_add_co_u32_e64 v6, s[0:1], s10, v6
	v_addc_co_u32_e64 v7, s[0:1], v2, v7, s[0:1]
	global_load_ushort v2, v[6:7], off
	v_add_u32_e32 v3, 0x100, v3
	s_waitcnt vmcnt(0)
	v_cvt_f32_f16_e32 v6, v2
.LBB22_4:
	s_or_b64 exec, exec, s[2:3]
	v_cmp_gt_i32_e64 s[0:1], s15, v3
	v_mov_b32_e32 v2, 0
	v_mov_b32_e32 v4, 0
	s_and_saveexec_b64 s[2:3], s[0:1]
	s_cbranch_execnz .LBB22_7
; %bb.5:
	s_or_b64 exec, exec, s[2:3]
	v_cmp_gt_i32_e64 s[0:1], s15, v3
	s_and_saveexec_b64 s[2:3], s[0:1]
	s_cbranch_execnz .LBB22_8
.LBB22_6:
	s_or_b64 exec, exec, s[2:3]
                                        ; implicit-def: $vgpr3
	s_and_saveexec_b64 s[10:11], vcc
	s_cbranch_execnz .LBB22_9
	s_branch .LBB22_14
.LBB22_7:
	v_add_u32_e32 v7, s14, v3
	v_mov_b32_e32 v8, 0
	v_lshlrev_b64 v[7:8], 1, v[7:8]
	v_mov_b32_e32 v4, s11
	v_add_co_u32_e64 v7, s[0:1], s10, v7
	v_addc_co_u32_e64 v8, s[0:1], v4, v8, s[0:1]
	global_load_ushort v4, v[7:8], off
	v_add_u32_e32 v3, 0x100, v3
	s_waitcnt vmcnt(0)
	v_cvt_f32_f16_e32 v4, v4
	s_or_b64 exec, exec, s[2:3]
	v_cmp_gt_i32_e64 s[0:1], s15, v3
	s_and_saveexec_b64 s[2:3], s[0:1]
	s_cbranch_execz .LBB22_6
.LBB22_8:
	v_add_u32_e32 v2, s14, v3
	v_mov_b32_e32 v3, 0
	v_lshlrev_b64 v[2:3], 1, v[2:3]
	v_mov_b32_e32 v7, s11
	v_add_co_u32_e64 v2, s[0:1], s10, v2
	v_addc_co_u32_e64 v3, s[0:1], v7, v3, s[0:1]
	global_load_ushort v2, v[2:3], off
	s_waitcnt vmcnt(0)
	v_cvt_f32_f16_e32 v2, v2
	s_or_b64 exec, exec, s[2:3]
                                        ; implicit-def: $vgpr3
	s_and_saveexec_b64 s[10:11], vcc
	s_cbranch_execz .LBB22_14
.LBB22_9:
	s_brev_b32 s0, 18
	v_and_b32_e32 v3, 0x7fffffff, v5
	v_cmp_nlt_f32_e64 s[0:1], |v5|, s0
                                        ; implicit-def: $vgpr7
                                        ; implicit-def: $vgpr8
	s_and_saveexec_b64 s[2:3], s[0:1]
	s_xor_b64 s[12:13], exec, s[2:3]
	s_cbranch_execz .LBB22_11
; %bb.10:
	v_and_b32_e32 v7, 0x7fffff, v3
	v_or_b32_e32 v16, 0x800000, v7
	s_mov_b32 s0, 0xfe5163ab
	v_mad_u64_u32 v[7:8], s[0:1], v16, s0, 0
	v_mov_b32_e32 v9, 0
	s_mov_b32 s0, 0x3c439041
	v_mad_u64_u32 v[10:11], s[0:1], v16, s0, v[8:9]
	s_mov_b32 s0, 0xdb629599
	v_not_b32_e32 v15, 63
	v_mov_b32_e32 v8, v11
	v_mad_u64_u32 v[11:12], s[0:1], v16, s0, v[8:9]
	s_mov_b32 s0, 0xf534ddc0
	s_mov_b32 s2, 0x4e441529
	v_mov_b32_e32 v8, v12
	v_mad_u64_u32 v[12:13], s[0:1], v16, s0, v[8:9]
	v_lshrrev_b32_e32 v8, 23, v3
	v_add_u32_e32 v17, 0xffffff88, v8
	v_mov_b32_e32 v8, v13
	s_mov_b32 s0, 0xfc2757d1
	v_mad_u64_u32 v[13:14], s[0:1], v16, s0, v[8:9]
	v_cmp_lt_u32_e64 s[0:1], 63, v17
	v_cndmask_b32_e64 v8, 0, v15, s[0:1]
	v_add_u32_e32 v17, v8, v17
	v_mov_b32_e32 v8, v14
	v_mad_u64_u32 v[14:15], s[2:3], v16, s2, v[8:9]
	v_not_b32_e32 v18, 31
	v_cmp_lt_u32_e64 s[2:3], 31, v17
	v_cndmask_b32_e64 v8, 0, v18, s[2:3]
	v_add_u32_e32 v17, v8, v17
	v_mov_b32_e32 v8, v15
	s_mov_b32 s4, 0xa2f9836e
	v_mad_u64_u32 v[8:9], s[4:5], v16, s4, v[8:9]
	v_cmp_lt_u32_e64 s[4:5], 31, v17
	v_cndmask_b32_e64 v15, 0, v18, s[4:5]
	v_cndmask_b32_e64 v16, v14, v12, s[0:1]
	;; [unrolled: 1-line block ×4, first 2 shown]
	v_add_u32_e32 v15, v15, v17
	v_cndmask_b32_e64 v17, v8, v16, s[2:3]
	v_cndmask_b32_e64 v8, v9, v8, s[2:3]
	;; [unrolled: 1-line block ×6, first 2 shown]
	v_sub_u32_e32 v16, 32, v15
	v_alignbit_b32 v17, v8, v14, v16
	v_cmp_eq_u32_e64 s[6:7], 0, v15
	v_cndmask_b32_e64 v15, v17, v8, s[6:7]
	v_cndmask_b32_e64 v8, v12, v10, s[0:1]
	;; [unrolled: 1-line block ×4, first 2 shown]
	v_alignbit_b32 v12, v14, v10, v16
	v_cndmask_b32_e64 v7, v11, v7, s[0:1]
	v_cndmask_b32_e64 v12, v12, v14, s[6:7]
	v_bfe_u32 v17, v15, 29, 1
	v_cndmask_b32_e64 v7, v8, v7, s[2:3]
	v_alignbit_b32 v13, v15, v12, 30
	v_sub_u32_e32 v18, 0, v17
	v_cndmask_b32_e64 v7, v9, v7, s[4:5]
	v_xor_b32_e32 v13, v13, v18
	v_alignbit_b32 v8, v10, v7, v16
	v_cndmask_b32_e64 v8, v8, v10, s[6:7]
	v_ffbh_u32_e32 v10, v13
	v_alignbit_b32 v9, v12, v8, 30
	v_min_u32_e32 v10, 32, v10
	v_alignbit_b32 v7, v8, v7, 30
	v_xor_b32_e32 v9, v9, v18
	v_sub_u32_e32 v11, 31, v10
	v_xor_b32_e32 v7, v7, v18
	v_alignbit_b32 v12, v13, v9, v11
	v_alignbit_b32 v7, v9, v7, v11
	;; [unrolled: 1-line block ×3, first 2 shown]
	v_ffbh_u32_e32 v9, v8
	v_min_u32_e32 v9, 32, v9
	v_lshrrev_b32_e32 v14, 29, v15
	v_not_b32_e32 v11, v9
	v_alignbit_b32 v7, v8, v7, v11
	v_lshlrev_b32_e32 v8, 31, v14
	v_or_b32_e32 v11, 0x33000000, v8
	v_add_lshl_u32 v9, v9, v10, 23
	v_lshrrev_b32_e32 v7, 9, v7
	v_sub_u32_e32 v9, v11, v9
	v_or_b32_e32 v8, 0.5, v8
	v_lshlrev_b32_e32 v10, 23, v10
	v_or_b32_e32 v7, v9, v7
	v_lshrrev_b32_e32 v9, 9, v12
	v_sub_u32_e32 v8, v8, v10
	v_or_b32_e32 v8, v9, v8
	s_mov_b32 s0, 0x3fc90fda
	v_mul_f32_e32 v9, 0x3fc90fda, v8
	v_fma_f32 v10, v8, s0, -v9
	v_fmac_f32_e32 v10, 0x33a22168, v8
	v_fmac_f32_e32 v10, 0x3fc90fda, v7
	v_lshrrev_b32_e32 v7, 30, v15
	v_add_f32_e32 v8, v9, v10
	v_add_u32_e32 v7, v17, v7
.LBB22_11:
	s_andn2_saveexec_b64 s[0:1], s[12:13]
	s_cbranch_execz .LBB22_13
; %bb.12:
	s_mov_b32 s2, 0x3f22f983
	v_mul_f32_e64 v7, |v5|, s2
	v_rndne_f32_e32 v9, v7
	s_mov_b32 s2, 0xbfc90fda
	v_cvt_i32_f32_e32 v7, v9
	v_fma_f32 v8, v9, s2, |v5|
	v_fmac_f32_e32 v8, 0xb3a22168, v9
	v_fmac_f32_e32 v8, 0xa7c234c4, v9
.LBB22_13:
	s_or_b64 exec, exec, s[0:1]
	v_mul_f32_e32 v9, v8, v8
	v_mov_b32_e32 v10, 0x3c0881c4
	v_fmac_f32_e32 v10, 0xb94c1982, v9
	v_mov_b32_e32 v11, 0xbe2aaa9d
	v_fmac_f32_e32 v11, v9, v10
	v_mul_f32_e32 v10, v9, v11
	v_fmac_f32_e32 v8, v8, v10
	v_mov_b32_e32 v10, 0xbab64f3b
	v_fmac_f32_e32 v10, 0x37d75334, v9
	v_mov_b32_e32 v11, 0x3d2aabf7
	v_fmac_f32_e32 v11, v9, v10
	v_mov_b32_e32 v10, 0xbf000004
	v_fmac_f32_e32 v10, v9, v11
	v_fma_f32 v9, v9, v10, 1.0
	v_and_b32_e32 v10, 1, v7
	v_lshlrev_b32_e32 v7, 30, v7
	v_cmp_eq_u32_e64 s[0:1], 0, v10
	v_and_b32_e32 v7, 0x80000000, v7
	v_xor_b32_e32 v3, v3, v5
	v_cndmask_b32_e64 v8, v9, v8, s[0:1]
	v_xor_b32_e32 v3, v3, v7
	s_movk_i32 s0, 0x1f8
	v_xor_b32_e32 v3, v3, v8
	v_mov_b32_e32 v7, 0x7fc00000
	v_cmp_class_f32_e64 s[0:1], v5, s0
	v_cndmask_b32_e64 v3, v7, v3, s[0:1]
	v_cvt_f16_f32_e32 v3, v3
.LBB22_14:
	s_or_b64 exec, exec, s[10:11]
	v_or_b32_e32 v5, 0x100, v0
	v_cmp_gt_i32_e64 s[0:1], s15, v5
                                        ; implicit-def: $vgpr7
	s_and_saveexec_b64 s[10:11], s[0:1]
	s_cbranch_execz .LBB22_20
; %bb.15:
	s_brev_b32 s0, 18
	v_and_b32_e32 v7, 0x7fffffff, v6
	v_cmp_nlt_f32_e64 s[0:1], |v6|, s0
                                        ; implicit-def: $vgpr8
                                        ; implicit-def: $vgpr9
	s_and_saveexec_b64 s[2:3], s[0:1]
	s_xor_b64 s[12:13], exec, s[2:3]
	s_cbranch_execz .LBB22_17
; %bb.16:
	v_and_b32_e32 v8, 0x7fffff, v7
	v_or_b32_e32 v17, 0x800000, v8
	s_mov_b32 s0, 0xfe5163ab
	v_mad_u64_u32 v[8:9], s[0:1], v17, s0, 0
	v_mov_b32_e32 v10, 0
	s_mov_b32 s0, 0x3c439041
	v_mad_u64_u32 v[11:12], s[0:1], v17, s0, v[9:10]
	s_mov_b32 s0, 0xdb629599
	v_not_b32_e32 v16, 63
	v_mov_b32_e32 v9, v12
	v_mad_u64_u32 v[12:13], s[0:1], v17, s0, v[9:10]
	s_mov_b32 s0, 0xf534ddc0
	s_mov_b32 s2, 0x4e441529
	v_mov_b32_e32 v9, v13
	v_mad_u64_u32 v[13:14], s[0:1], v17, s0, v[9:10]
	v_lshrrev_b32_e32 v9, 23, v7
	v_add_u32_e32 v18, 0xffffff88, v9
	v_mov_b32_e32 v9, v14
	s_mov_b32 s0, 0xfc2757d1
	v_mad_u64_u32 v[14:15], s[0:1], v17, s0, v[9:10]
	v_cmp_lt_u32_e64 s[0:1], 63, v18
	v_cndmask_b32_e64 v9, 0, v16, s[0:1]
	v_add_u32_e32 v18, v9, v18
	v_mov_b32_e32 v9, v15
	v_mad_u64_u32 v[15:16], s[2:3], v17, s2, v[9:10]
	v_not_b32_e32 v19, 31
	v_cmp_lt_u32_e64 s[2:3], 31, v18
	v_cndmask_b32_e64 v9, 0, v19, s[2:3]
	v_add_u32_e32 v18, v9, v18
	v_mov_b32_e32 v9, v16
	s_mov_b32 s4, 0xa2f9836e
	v_mad_u64_u32 v[9:10], s[4:5], v17, s4, v[9:10]
	v_cmp_lt_u32_e64 s[4:5], 31, v18
	v_cndmask_b32_e64 v16, 0, v19, s[4:5]
	v_cndmask_b32_e64 v17, v15, v13, s[0:1]
	;; [unrolled: 1-line block ×4, first 2 shown]
	v_add_u32_e32 v16, v16, v18
	v_cndmask_b32_e64 v18, v9, v17, s[2:3]
	v_cndmask_b32_e64 v9, v10, v9, s[2:3]
	;; [unrolled: 1-line block ×6, first 2 shown]
	v_sub_u32_e32 v17, 32, v16
	v_alignbit_b32 v18, v9, v15, v17
	v_cmp_eq_u32_e64 s[6:7], 0, v16
	v_cndmask_b32_e64 v16, v18, v9, s[6:7]
	v_cndmask_b32_e64 v9, v13, v11, s[0:1]
	;; [unrolled: 1-line block ×4, first 2 shown]
	v_alignbit_b32 v13, v15, v11, v17
	v_cndmask_b32_e64 v8, v12, v8, s[0:1]
	v_cndmask_b32_e64 v13, v13, v15, s[6:7]
	v_bfe_u32 v18, v16, 29, 1
	v_cndmask_b32_e64 v8, v9, v8, s[2:3]
	v_alignbit_b32 v14, v16, v13, 30
	v_sub_u32_e32 v19, 0, v18
	v_cndmask_b32_e64 v8, v10, v8, s[4:5]
	v_xor_b32_e32 v14, v14, v19
	v_alignbit_b32 v9, v11, v8, v17
	v_cndmask_b32_e64 v9, v9, v11, s[6:7]
	v_ffbh_u32_e32 v11, v14
	v_alignbit_b32 v10, v13, v9, 30
	v_min_u32_e32 v11, 32, v11
	v_alignbit_b32 v8, v9, v8, 30
	v_xor_b32_e32 v10, v10, v19
	v_sub_u32_e32 v12, 31, v11
	v_xor_b32_e32 v8, v8, v19
	v_alignbit_b32 v13, v14, v10, v12
	v_alignbit_b32 v8, v10, v8, v12
	;; [unrolled: 1-line block ×3, first 2 shown]
	v_ffbh_u32_e32 v10, v9
	v_min_u32_e32 v10, 32, v10
	v_lshrrev_b32_e32 v15, 29, v16
	v_not_b32_e32 v12, v10
	v_alignbit_b32 v8, v9, v8, v12
	v_lshlrev_b32_e32 v9, 31, v15
	v_or_b32_e32 v12, 0x33000000, v9
	v_add_lshl_u32 v10, v10, v11, 23
	v_lshrrev_b32_e32 v8, 9, v8
	v_sub_u32_e32 v10, v12, v10
	v_or_b32_e32 v9, 0.5, v9
	v_lshlrev_b32_e32 v11, 23, v11
	v_or_b32_e32 v8, v10, v8
	v_lshrrev_b32_e32 v10, 9, v13
	v_sub_u32_e32 v9, v9, v11
	v_or_b32_e32 v9, v10, v9
	s_mov_b32 s0, 0x3fc90fda
	v_mul_f32_e32 v10, 0x3fc90fda, v9
	v_fma_f32 v11, v9, s0, -v10
	v_fmac_f32_e32 v11, 0x33a22168, v9
	v_fmac_f32_e32 v11, 0x3fc90fda, v8
	v_lshrrev_b32_e32 v8, 30, v16
	v_add_f32_e32 v9, v10, v11
	v_add_u32_e32 v8, v18, v8
.LBB22_17:
	s_andn2_saveexec_b64 s[0:1], s[12:13]
	s_cbranch_execz .LBB22_19
; %bb.18:
	s_mov_b32 s2, 0x3f22f983
	v_mul_f32_e64 v8, |v6|, s2
	v_rndne_f32_e32 v10, v8
	s_mov_b32 s2, 0xbfc90fda
	v_cvt_i32_f32_e32 v8, v10
	v_fma_f32 v9, v10, s2, |v6|
	v_fmac_f32_e32 v9, 0xb3a22168, v10
	v_fmac_f32_e32 v9, 0xa7c234c4, v10
.LBB22_19:
	s_or_b64 exec, exec, s[0:1]
	v_mul_f32_e32 v10, v9, v9
	v_mov_b32_e32 v11, 0x3c0881c4
	v_fmac_f32_e32 v11, 0xb94c1982, v10
	v_mov_b32_e32 v12, 0xbe2aaa9d
	v_fmac_f32_e32 v12, v10, v11
	v_mul_f32_e32 v11, v10, v12
	v_fmac_f32_e32 v9, v9, v11
	v_mov_b32_e32 v11, 0xbab64f3b
	v_fmac_f32_e32 v11, 0x37d75334, v10
	v_mov_b32_e32 v12, 0x3d2aabf7
	;; [unrolled: 2-line block ×3, first 2 shown]
	v_fmac_f32_e32 v11, v10, v12
	v_fma_f32 v10, v10, v11, 1.0
	v_and_b32_e32 v11, 1, v8
	v_lshlrev_b32_e32 v8, 30, v8
	v_cmp_eq_u32_e64 s[0:1], 0, v11
	v_and_b32_e32 v8, 0x80000000, v8
	v_xor_b32_e32 v7, v7, v6
	v_cndmask_b32_e64 v9, v10, v9, s[0:1]
	v_xor_b32_e32 v7, v7, v8
	s_movk_i32 s0, 0x1f8
	v_xor_b32_e32 v7, v7, v9
	v_mov_b32_e32 v8, 0x7fc00000
	v_cmp_class_f32_e64 s[0:1], v6, s0
	v_cndmask_b32_e64 v6, v8, v7, s[0:1]
	v_cvt_f16_f32_e32 v7, v6
.LBB22_20:
	s_or_b64 exec, exec, s[10:11]
	v_or_b32_e32 v6, 0x200, v0
	v_cmp_gt_i32_e64 s[0:1], s15, v6
                                        ; implicit-def: $vgpr6
	s_and_saveexec_b64 s[10:11], s[0:1]
	s_cbranch_execz .LBB22_26
; %bb.21:
	s_brev_b32 s0, 18
	v_and_b32_e32 v6, 0x7fffffff, v4
	v_cmp_nlt_f32_e64 s[0:1], |v4|, s0
                                        ; implicit-def: $vgpr8
                                        ; implicit-def: $vgpr9
	s_and_saveexec_b64 s[2:3], s[0:1]
	s_xor_b64 s[12:13], exec, s[2:3]
	s_cbranch_execz .LBB22_23
; %bb.22:
	v_and_b32_e32 v8, 0x7fffff, v6
	v_or_b32_e32 v17, 0x800000, v8
	s_mov_b32 s0, 0xfe5163ab
	v_mad_u64_u32 v[8:9], s[0:1], v17, s0, 0
	v_mov_b32_e32 v10, 0
	s_mov_b32 s0, 0x3c439041
	v_mad_u64_u32 v[11:12], s[0:1], v17, s0, v[9:10]
	s_mov_b32 s0, 0xdb629599
	v_not_b32_e32 v16, 63
	v_mov_b32_e32 v9, v12
	v_mad_u64_u32 v[12:13], s[0:1], v17, s0, v[9:10]
	s_mov_b32 s0, 0xf534ddc0
	s_mov_b32 s2, 0x4e441529
	v_mov_b32_e32 v9, v13
	v_mad_u64_u32 v[13:14], s[0:1], v17, s0, v[9:10]
	v_lshrrev_b32_e32 v9, 23, v6
	v_add_u32_e32 v18, 0xffffff88, v9
	v_mov_b32_e32 v9, v14
	s_mov_b32 s0, 0xfc2757d1
	v_mad_u64_u32 v[14:15], s[0:1], v17, s0, v[9:10]
	v_cmp_lt_u32_e64 s[0:1], 63, v18
	v_cndmask_b32_e64 v9, 0, v16, s[0:1]
	v_add_u32_e32 v18, v9, v18
	v_mov_b32_e32 v9, v15
	v_mad_u64_u32 v[15:16], s[2:3], v17, s2, v[9:10]
	v_not_b32_e32 v19, 31
	v_cmp_lt_u32_e64 s[2:3], 31, v18
	v_cndmask_b32_e64 v9, 0, v19, s[2:3]
	v_add_u32_e32 v18, v9, v18
	v_mov_b32_e32 v9, v16
	s_mov_b32 s4, 0xa2f9836e
	v_mad_u64_u32 v[9:10], s[4:5], v17, s4, v[9:10]
	v_cmp_lt_u32_e64 s[4:5], 31, v18
	v_cndmask_b32_e64 v16, 0, v19, s[4:5]
	v_cndmask_b32_e64 v17, v15, v13, s[0:1]
	;; [unrolled: 1-line block ×4, first 2 shown]
	v_add_u32_e32 v16, v16, v18
	v_cndmask_b32_e64 v18, v9, v17, s[2:3]
	v_cndmask_b32_e64 v9, v10, v9, s[2:3]
	v_cndmask_b32_e64 v10, v14, v12, s[0:1]
	v_cndmask_b32_e64 v14, v17, v10, s[2:3]
	v_cndmask_b32_e64 v9, v9, v18, s[4:5]
	v_cndmask_b32_e64 v15, v18, v14, s[4:5]
	v_sub_u32_e32 v17, 32, v16
	v_alignbit_b32 v18, v9, v15, v17
	v_cmp_eq_u32_e64 s[6:7], 0, v16
	v_cndmask_b32_e64 v16, v18, v9, s[6:7]
	v_cndmask_b32_e64 v9, v13, v11, s[0:1]
	;; [unrolled: 1-line block ×4, first 2 shown]
	v_alignbit_b32 v13, v15, v11, v17
	v_cndmask_b32_e64 v8, v12, v8, s[0:1]
	v_cndmask_b32_e64 v13, v13, v15, s[6:7]
	v_bfe_u32 v18, v16, 29, 1
	v_cndmask_b32_e64 v8, v9, v8, s[2:3]
	v_alignbit_b32 v14, v16, v13, 30
	v_sub_u32_e32 v19, 0, v18
	v_cndmask_b32_e64 v8, v10, v8, s[4:5]
	v_xor_b32_e32 v14, v14, v19
	v_alignbit_b32 v9, v11, v8, v17
	v_cndmask_b32_e64 v9, v9, v11, s[6:7]
	v_ffbh_u32_e32 v11, v14
	v_alignbit_b32 v10, v13, v9, 30
	v_min_u32_e32 v11, 32, v11
	v_alignbit_b32 v8, v9, v8, 30
	v_xor_b32_e32 v10, v10, v19
	v_sub_u32_e32 v12, 31, v11
	v_xor_b32_e32 v8, v8, v19
	v_alignbit_b32 v13, v14, v10, v12
	v_alignbit_b32 v8, v10, v8, v12
	;; [unrolled: 1-line block ×3, first 2 shown]
	v_ffbh_u32_e32 v10, v9
	v_min_u32_e32 v10, 32, v10
	v_lshrrev_b32_e32 v15, 29, v16
	v_not_b32_e32 v12, v10
	v_alignbit_b32 v8, v9, v8, v12
	v_lshlrev_b32_e32 v9, 31, v15
	v_or_b32_e32 v12, 0x33000000, v9
	v_add_lshl_u32 v10, v10, v11, 23
	v_lshrrev_b32_e32 v8, 9, v8
	v_sub_u32_e32 v10, v12, v10
	v_or_b32_e32 v9, 0.5, v9
	v_lshlrev_b32_e32 v11, 23, v11
	v_or_b32_e32 v8, v10, v8
	v_lshrrev_b32_e32 v10, 9, v13
	v_sub_u32_e32 v9, v9, v11
	v_or_b32_e32 v9, v10, v9
	s_mov_b32 s0, 0x3fc90fda
	v_mul_f32_e32 v10, 0x3fc90fda, v9
	v_fma_f32 v11, v9, s0, -v10
	v_fmac_f32_e32 v11, 0x33a22168, v9
	v_fmac_f32_e32 v11, 0x3fc90fda, v8
	v_lshrrev_b32_e32 v8, 30, v16
	v_add_f32_e32 v9, v10, v11
	v_add_u32_e32 v8, v18, v8
.LBB22_23:
	s_andn2_saveexec_b64 s[0:1], s[12:13]
	s_cbranch_execz .LBB22_25
; %bb.24:
	s_mov_b32 s2, 0x3f22f983
	v_mul_f32_e64 v8, |v4|, s2
	v_rndne_f32_e32 v10, v8
	s_mov_b32 s2, 0xbfc90fda
	v_cvt_i32_f32_e32 v8, v10
	v_fma_f32 v9, v10, s2, |v4|
	v_fmac_f32_e32 v9, 0xb3a22168, v10
	v_fmac_f32_e32 v9, 0xa7c234c4, v10
.LBB22_25:
	s_or_b64 exec, exec, s[0:1]
	v_mul_f32_e32 v10, v9, v9
	v_mov_b32_e32 v11, 0x3c0881c4
	v_fmac_f32_e32 v11, 0xb94c1982, v10
	v_mov_b32_e32 v12, 0xbe2aaa9d
	v_fmac_f32_e32 v12, v10, v11
	v_mul_f32_e32 v11, v10, v12
	v_fmac_f32_e32 v9, v9, v11
	v_mov_b32_e32 v11, 0xbab64f3b
	v_fmac_f32_e32 v11, 0x37d75334, v10
	v_mov_b32_e32 v12, 0x3d2aabf7
	;; [unrolled: 2-line block ×3, first 2 shown]
	v_fmac_f32_e32 v11, v10, v12
	v_fma_f32 v10, v10, v11, 1.0
	v_and_b32_e32 v11, 1, v8
	v_lshlrev_b32_e32 v8, 30, v8
	v_cmp_eq_u32_e64 s[0:1], 0, v11
	v_and_b32_e32 v8, 0x80000000, v8
	v_xor_b32_e32 v6, v6, v4
	v_cndmask_b32_e64 v9, v10, v9, s[0:1]
	v_xor_b32_e32 v6, v6, v8
	s_movk_i32 s0, 0x1f8
	v_xor_b32_e32 v6, v6, v9
	v_mov_b32_e32 v8, 0x7fc00000
	v_cmp_class_f32_e64 s[0:1], v4, s0
	v_cndmask_b32_e64 v4, v8, v6, s[0:1]
	v_cvt_f16_f32_e32 v6, v4
.LBB22_26:
	s_or_b64 exec, exec, s[10:11]
	v_or_b32_e32 v4, 0x300, v0
	v_cmp_gt_i32_e64 s[0:1], s15, v4
                                        ; implicit-def: $vgpr4
	s_and_saveexec_b64 s[10:11], s[0:1]
	s_cbranch_execnz .LBB22_32
; %bb.27:
	s_or_b64 exec, exec, s[10:11]
	s_and_saveexec_b64 s[0:1], vcc
	s_xor_b64 s[0:1], exec, s[0:1]
	s_cbranch_execnz .LBB22_37
.LBB22_28:
	s_or_b64 exec, exec, s[0:1]
	v_cmp_gt_i32_e32 vcc, s15, v0
	s_and_saveexec_b64 s[0:1], vcc
	s_cbranch_execnz .LBB22_38
.LBB22_29:
	s_or_b64 exec, exec, s[0:1]
	v_cmp_gt_i32_e32 vcc, s15, v0
	s_and_saveexec_b64 s[0:1], vcc
	s_cbranch_execnz .LBB22_39
.LBB22_30:
	s_or_b64 exec, exec, s[0:1]
	v_cmp_gt_i32_e32 vcc, s15, v0
	s_and_saveexec_b64 s[0:1], vcc
	s_cbranch_execnz .LBB22_40
.LBB22_31:
	s_endpgm
.LBB22_32:
	s_brev_b32 s0, 18
	v_and_b32_e32 v4, 0x7fffffff, v2
	v_cmp_nlt_f32_e64 s[0:1], |v2|, s0
                                        ; implicit-def: $vgpr8
                                        ; implicit-def: $vgpr9
	s_and_saveexec_b64 s[2:3], s[0:1]
	s_xor_b64 s[12:13], exec, s[2:3]
	s_cbranch_execz .LBB22_34
; %bb.33:
	v_and_b32_e32 v8, 0x7fffff, v4
	v_or_b32_e32 v17, 0x800000, v8
	s_mov_b32 s0, 0xfe5163ab
	v_mad_u64_u32 v[8:9], s[0:1], v17, s0, 0
	v_mov_b32_e32 v10, 0
	s_mov_b32 s0, 0x3c439041
	v_mad_u64_u32 v[11:12], s[0:1], v17, s0, v[9:10]
	s_mov_b32 s0, 0xdb629599
	v_not_b32_e32 v16, 63
	v_mov_b32_e32 v9, v12
	v_mad_u64_u32 v[12:13], s[0:1], v17, s0, v[9:10]
	s_mov_b32 s0, 0xf534ddc0
	s_mov_b32 s2, 0x4e441529
	v_mov_b32_e32 v9, v13
	v_mad_u64_u32 v[13:14], s[0:1], v17, s0, v[9:10]
	v_lshrrev_b32_e32 v9, 23, v4
	v_add_u32_e32 v18, 0xffffff88, v9
	v_mov_b32_e32 v9, v14
	s_mov_b32 s0, 0xfc2757d1
	v_mad_u64_u32 v[14:15], s[0:1], v17, s0, v[9:10]
	v_cmp_lt_u32_e64 s[0:1], 63, v18
	v_cndmask_b32_e64 v9, 0, v16, s[0:1]
	v_add_u32_e32 v18, v9, v18
	v_mov_b32_e32 v9, v15
	v_mad_u64_u32 v[15:16], s[2:3], v17, s2, v[9:10]
	v_not_b32_e32 v19, 31
	v_cmp_lt_u32_e64 s[2:3], 31, v18
	v_cndmask_b32_e64 v9, 0, v19, s[2:3]
	v_add_u32_e32 v18, v9, v18
	v_mov_b32_e32 v9, v16
	s_mov_b32 s4, 0xa2f9836e
	v_mad_u64_u32 v[9:10], s[4:5], v17, s4, v[9:10]
	v_cmp_lt_u32_e64 s[4:5], 31, v18
	v_cndmask_b32_e64 v16, 0, v19, s[4:5]
	v_cndmask_b32_e64 v17, v15, v13, s[0:1]
	;; [unrolled: 1-line block ×4, first 2 shown]
	v_add_u32_e32 v16, v16, v18
	v_cndmask_b32_e64 v18, v9, v17, s[2:3]
	v_cndmask_b32_e64 v9, v10, v9, s[2:3]
	;; [unrolled: 1-line block ×6, first 2 shown]
	v_sub_u32_e32 v17, 32, v16
	v_alignbit_b32 v18, v9, v15, v17
	v_cmp_eq_u32_e64 s[6:7], 0, v16
	v_cndmask_b32_e64 v16, v18, v9, s[6:7]
	v_cndmask_b32_e64 v9, v13, v11, s[0:1]
	;; [unrolled: 1-line block ×4, first 2 shown]
	v_alignbit_b32 v13, v15, v11, v17
	v_cndmask_b32_e64 v8, v12, v8, s[0:1]
	v_cndmask_b32_e64 v13, v13, v15, s[6:7]
	v_bfe_u32 v18, v16, 29, 1
	v_cndmask_b32_e64 v8, v9, v8, s[2:3]
	v_alignbit_b32 v14, v16, v13, 30
	v_sub_u32_e32 v19, 0, v18
	v_cndmask_b32_e64 v8, v10, v8, s[4:5]
	v_xor_b32_e32 v14, v14, v19
	v_alignbit_b32 v9, v11, v8, v17
	v_cndmask_b32_e64 v9, v9, v11, s[6:7]
	v_ffbh_u32_e32 v11, v14
	v_alignbit_b32 v10, v13, v9, 30
	v_min_u32_e32 v11, 32, v11
	v_alignbit_b32 v8, v9, v8, 30
	v_xor_b32_e32 v10, v10, v19
	v_sub_u32_e32 v12, 31, v11
	v_xor_b32_e32 v8, v8, v19
	v_alignbit_b32 v13, v14, v10, v12
	v_alignbit_b32 v8, v10, v8, v12
	;; [unrolled: 1-line block ×3, first 2 shown]
	v_ffbh_u32_e32 v10, v9
	v_min_u32_e32 v10, 32, v10
	v_lshrrev_b32_e32 v15, 29, v16
	v_not_b32_e32 v12, v10
	v_alignbit_b32 v8, v9, v8, v12
	v_lshlrev_b32_e32 v9, 31, v15
	v_or_b32_e32 v12, 0x33000000, v9
	v_add_lshl_u32 v10, v10, v11, 23
	v_lshrrev_b32_e32 v8, 9, v8
	v_sub_u32_e32 v10, v12, v10
	v_or_b32_e32 v9, 0.5, v9
	v_lshlrev_b32_e32 v11, 23, v11
	v_or_b32_e32 v8, v10, v8
	v_lshrrev_b32_e32 v10, 9, v13
	v_sub_u32_e32 v9, v9, v11
	v_or_b32_e32 v9, v10, v9
	s_mov_b32 s0, 0x3fc90fda
	v_mul_f32_e32 v10, 0x3fc90fda, v9
	v_fma_f32 v11, v9, s0, -v10
	v_fmac_f32_e32 v11, 0x33a22168, v9
	v_fmac_f32_e32 v11, 0x3fc90fda, v8
	v_lshrrev_b32_e32 v8, 30, v16
	v_add_f32_e32 v9, v10, v11
	v_add_u32_e32 v8, v18, v8
.LBB22_34:
	s_andn2_saveexec_b64 s[0:1], s[12:13]
	s_cbranch_execz .LBB22_36
; %bb.35:
	s_mov_b32 s2, 0x3f22f983
	v_mul_f32_e64 v8, |v2|, s2
	v_rndne_f32_e32 v10, v8
	s_mov_b32 s2, 0xbfc90fda
	v_cvt_i32_f32_e32 v8, v10
	v_fma_f32 v9, v10, s2, |v2|
	v_fmac_f32_e32 v9, 0xb3a22168, v10
	v_fmac_f32_e32 v9, 0xa7c234c4, v10
.LBB22_36:
	s_or_b64 exec, exec, s[0:1]
	v_mul_f32_e32 v10, v9, v9
	v_mov_b32_e32 v11, 0x3c0881c4
	v_fmac_f32_e32 v11, 0xb94c1982, v10
	v_mov_b32_e32 v12, 0xbe2aaa9d
	v_fmac_f32_e32 v12, v10, v11
	v_mul_f32_e32 v11, v10, v12
	v_fmac_f32_e32 v9, v9, v11
	v_mov_b32_e32 v11, 0xbab64f3b
	v_fmac_f32_e32 v11, 0x37d75334, v10
	v_mov_b32_e32 v12, 0x3d2aabf7
	;; [unrolled: 2-line block ×3, first 2 shown]
	v_fmac_f32_e32 v11, v10, v12
	v_fma_f32 v10, v10, v11, 1.0
	v_and_b32_e32 v11, 1, v8
	v_lshlrev_b32_e32 v8, 30, v8
	v_cmp_eq_u32_e64 s[0:1], 0, v11
	v_and_b32_e32 v8, 0x80000000, v8
	v_xor_b32_e32 v4, v4, v2
	v_cndmask_b32_e64 v9, v10, v9, s[0:1]
	v_xor_b32_e32 v4, v4, v8
	s_movk_i32 s0, 0x1f8
	v_xor_b32_e32 v4, v4, v9
	v_mov_b32_e32 v8, 0x7fc00000
	v_cmp_class_f32_e64 s[0:1], v2, s0
	v_cndmask_b32_e64 v2, v8, v4, s[0:1]
	v_cvt_f16_f32_e32 v4, v2
	s_or_b64 exec, exec, s[10:11]
	s_and_saveexec_b64 s[0:1], vcc
	s_xor_b64 s[0:1], exec, s[0:1]
	s_cbranch_execz .LBB22_28
.LBB22_37:
	v_mov_b32_e32 v2, 0
	v_lshlrev_b64 v[0:1], 1, v[1:2]
	v_mov_b32_e32 v2, s9
	v_add_co_u32_e32 v0, vcc, s8, v0
	v_addc_co_u32_e32 v1, vcc, v2, v1, vcc
	global_store_short v[0:1], v3, off
	v_mov_b32_e32 v0, v5
	s_or_b64 exec, exec, s[0:1]
	v_cmp_gt_i32_e32 vcc, s15, v0
	s_and_saveexec_b64 s[0:1], vcc
	s_cbranch_execz .LBB22_29
.LBB22_38:
	v_add_u32_e32 v2, 0x100, v0
	v_add_u32_e32 v0, s14, v0
	v_mov_b32_e32 v1, 0
	v_lshlrev_b64 v[0:1], 1, v[0:1]
	v_mov_b32_e32 v3, s9
	v_add_co_u32_e32 v0, vcc, s8, v0
	v_addc_co_u32_e32 v1, vcc, v3, v1, vcc
	global_store_short v[0:1], v7, off
	v_mov_b32_e32 v0, v2
	s_or_b64 exec, exec, s[0:1]
	v_cmp_gt_i32_e32 vcc, s15, v0
	s_and_saveexec_b64 s[0:1], vcc
	s_cbranch_execz .LBB22_30
.LBB22_39:
	v_add_u32_e32 v2, 0x100, v0
	v_add_u32_e32 v0, s14, v0
	v_mov_b32_e32 v1, 0
	v_lshlrev_b64 v[0:1], 1, v[0:1]
	v_mov_b32_e32 v3, s9
	v_add_co_u32_e32 v0, vcc, s8, v0
	v_addc_co_u32_e32 v1, vcc, v3, v1, vcc
	global_store_short v[0:1], v6, off
	v_mov_b32_e32 v0, v2
	s_or_b64 exec, exec, s[0:1]
	v_cmp_gt_i32_e32 vcc, s15, v0
	s_and_saveexec_b64 s[0:1], vcc
	s_cbranch_execz .LBB22_31
.LBB22_40:
	v_add_u32_e32 v0, s14, v0
	v_mov_b32_e32 v1, 0
	v_lshlrev_b64 v[0:1], 1, v[0:1]
	v_mov_b32_e32 v2, s9
	v_add_co_u32_e32 v0, vcc, s8, v0
	v_addc_co_u32_e32 v1, vcc, v2, v1, vcc
	global_store_short v[0:1], v4, off
	s_endpgm
	.section	.rodata,"a",@progbits
	.p2align	6, 0x0
	.amdhsa_kernel _ZN2at6native27unrolled_elementwise_kernelIZZZNS0_15sin_kernel_cudaERNS_18TensorIteratorBaseEENKUlvE0_clEvENKUlvE1_clEvEUlN3c104HalfEE_St5arrayIPcLm2EELi4E23TrivialOffsetCalculatorILi1EjESD_NS0_6memory15LoadWithoutCastENSE_16StoreWithoutCastEEEviT_T0_T2_T3_T4_T5_
		.amdhsa_group_segment_fixed_size 0
		.amdhsa_private_segment_fixed_size 0
		.amdhsa_kernarg_size 28
		.amdhsa_user_sgpr_count 6
		.amdhsa_user_sgpr_private_segment_buffer 1
		.amdhsa_user_sgpr_dispatch_ptr 0
		.amdhsa_user_sgpr_queue_ptr 0
		.amdhsa_user_sgpr_kernarg_segment_ptr 1
		.amdhsa_user_sgpr_dispatch_id 0
		.amdhsa_user_sgpr_flat_scratch_init 0
		.amdhsa_user_sgpr_private_segment_size 0
		.amdhsa_uses_dynamic_stack 0
		.amdhsa_system_sgpr_private_segment_wavefront_offset 0
		.amdhsa_system_sgpr_workgroup_id_x 1
		.amdhsa_system_sgpr_workgroup_id_y 0
		.amdhsa_system_sgpr_workgroup_id_z 0
		.amdhsa_system_sgpr_workgroup_info 0
		.amdhsa_system_vgpr_workitem_id 0
		.amdhsa_next_free_vgpr 20
		.amdhsa_next_free_sgpr 16
		.amdhsa_reserve_vcc 1
		.amdhsa_reserve_flat_scratch 0
		.amdhsa_float_round_mode_32 0
		.amdhsa_float_round_mode_16_64 0
		.amdhsa_float_denorm_mode_32 3
		.amdhsa_float_denorm_mode_16_64 3
		.amdhsa_dx10_clamp 1
		.amdhsa_ieee_mode 1
		.amdhsa_fp16_overflow 0
		.amdhsa_exception_fp_ieee_invalid_op 0
		.amdhsa_exception_fp_denorm_src 0
		.amdhsa_exception_fp_ieee_div_zero 0
		.amdhsa_exception_fp_ieee_overflow 0
		.amdhsa_exception_fp_ieee_underflow 0
		.amdhsa_exception_fp_ieee_inexact 0
		.amdhsa_exception_int_div_zero 0
	.end_amdhsa_kernel
	.section	.text._ZN2at6native27unrolled_elementwise_kernelIZZZNS0_15sin_kernel_cudaERNS_18TensorIteratorBaseEENKUlvE0_clEvENKUlvE1_clEvEUlN3c104HalfEE_St5arrayIPcLm2EELi4E23TrivialOffsetCalculatorILi1EjESD_NS0_6memory15LoadWithoutCastENSE_16StoreWithoutCastEEEviT_T0_T2_T3_T4_T5_,"axG",@progbits,_ZN2at6native27unrolled_elementwise_kernelIZZZNS0_15sin_kernel_cudaERNS_18TensorIteratorBaseEENKUlvE0_clEvENKUlvE1_clEvEUlN3c104HalfEE_St5arrayIPcLm2EELi4E23TrivialOffsetCalculatorILi1EjESD_NS0_6memory15LoadWithoutCastENSE_16StoreWithoutCastEEEviT_T0_T2_T3_T4_T5_,comdat
.Lfunc_end22:
	.size	_ZN2at6native27unrolled_elementwise_kernelIZZZNS0_15sin_kernel_cudaERNS_18TensorIteratorBaseEENKUlvE0_clEvENKUlvE1_clEvEUlN3c104HalfEE_St5arrayIPcLm2EELi4E23TrivialOffsetCalculatorILi1EjESD_NS0_6memory15LoadWithoutCastENSE_16StoreWithoutCastEEEviT_T0_T2_T3_T4_T5_, .Lfunc_end22-_ZN2at6native27unrolled_elementwise_kernelIZZZNS0_15sin_kernel_cudaERNS_18TensorIteratorBaseEENKUlvE0_clEvENKUlvE1_clEvEUlN3c104HalfEE_St5arrayIPcLm2EELi4E23TrivialOffsetCalculatorILi1EjESD_NS0_6memory15LoadWithoutCastENSE_16StoreWithoutCastEEEviT_T0_T2_T3_T4_T5_
                                        ; -- End function
	.set _ZN2at6native27unrolled_elementwise_kernelIZZZNS0_15sin_kernel_cudaERNS_18TensorIteratorBaseEENKUlvE0_clEvENKUlvE1_clEvEUlN3c104HalfEE_St5arrayIPcLm2EELi4E23TrivialOffsetCalculatorILi1EjESD_NS0_6memory15LoadWithoutCastENSE_16StoreWithoutCastEEEviT_T0_T2_T3_T4_T5_.num_vgpr, 20
	.set _ZN2at6native27unrolled_elementwise_kernelIZZZNS0_15sin_kernel_cudaERNS_18TensorIteratorBaseEENKUlvE0_clEvENKUlvE1_clEvEUlN3c104HalfEE_St5arrayIPcLm2EELi4E23TrivialOffsetCalculatorILi1EjESD_NS0_6memory15LoadWithoutCastENSE_16StoreWithoutCastEEEviT_T0_T2_T3_T4_T5_.num_agpr, 0
	.set _ZN2at6native27unrolled_elementwise_kernelIZZZNS0_15sin_kernel_cudaERNS_18TensorIteratorBaseEENKUlvE0_clEvENKUlvE1_clEvEUlN3c104HalfEE_St5arrayIPcLm2EELi4E23TrivialOffsetCalculatorILi1EjESD_NS0_6memory15LoadWithoutCastENSE_16StoreWithoutCastEEEviT_T0_T2_T3_T4_T5_.numbered_sgpr, 16
	.set _ZN2at6native27unrolled_elementwise_kernelIZZZNS0_15sin_kernel_cudaERNS_18TensorIteratorBaseEENKUlvE0_clEvENKUlvE1_clEvEUlN3c104HalfEE_St5arrayIPcLm2EELi4E23TrivialOffsetCalculatorILi1EjESD_NS0_6memory15LoadWithoutCastENSE_16StoreWithoutCastEEEviT_T0_T2_T3_T4_T5_.num_named_barrier, 0
	.set _ZN2at6native27unrolled_elementwise_kernelIZZZNS0_15sin_kernel_cudaERNS_18TensorIteratorBaseEENKUlvE0_clEvENKUlvE1_clEvEUlN3c104HalfEE_St5arrayIPcLm2EELi4E23TrivialOffsetCalculatorILi1EjESD_NS0_6memory15LoadWithoutCastENSE_16StoreWithoutCastEEEviT_T0_T2_T3_T4_T5_.private_seg_size, 0
	.set _ZN2at6native27unrolled_elementwise_kernelIZZZNS0_15sin_kernel_cudaERNS_18TensorIteratorBaseEENKUlvE0_clEvENKUlvE1_clEvEUlN3c104HalfEE_St5arrayIPcLm2EELi4E23TrivialOffsetCalculatorILi1EjESD_NS0_6memory15LoadWithoutCastENSE_16StoreWithoutCastEEEviT_T0_T2_T3_T4_T5_.uses_vcc, 1
	.set _ZN2at6native27unrolled_elementwise_kernelIZZZNS0_15sin_kernel_cudaERNS_18TensorIteratorBaseEENKUlvE0_clEvENKUlvE1_clEvEUlN3c104HalfEE_St5arrayIPcLm2EELi4E23TrivialOffsetCalculatorILi1EjESD_NS0_6memory15LoadWithoutCastENSE_16StoreWithoutCastEEEviT_T0_T2_T3_T4_T5_.uses_flat_scratch, 0
	.set _ZN2at6native27unrolled_elementwise_kernelIZZZNS0_15sin_kernel_cudaERNS_18TensorIteratorBaseEENKUlvE0_clEvENKUlvE1_clEvEUlN3c104HalfEE_St5arrayIPcLm2EELi4E23TrivialOffsetCalculatorILi1EjESD_NS0_6memory15LoadWithoutCastENSE_16StoreWithoutCastEEEviT_T0_T2_T3_T4_T5_.has_dyn_sized_stack, 0
	.set _ZN2at6native27unrolled_elementwise_kernelIZZZNS0_15sin_kernel_cudaERNS_18TensorIteratorBaseEENKUlvE0_clEvENKUlvE1_clEvEUlN3c104HalfEE_St5arrayIPcLm2EELi4E23TrivialOffsetCalculatorILi1EjESD_NS0_6memory15LoadWithoutCastENSE_16StoreWithoutCastEEEviT_T0_T2_T3_T4_T5_.has_recursion, 0
	.set _ZN2at6native27unrolled_elementwise_kernelIZZZNS0_15sin_kernel_cudaERNS_18TensorIteratorBaseEENKUlvE0_clEvENKUlvE1_clEvEUlN3c104HalfEE_St5arrayIPcLm2EELi4E23TrivialOffsetCalculatorILi1EjESD_NS0_6memory15LoadWithoutCastENSE_16StoreWithoutCastEEEviT_T0_T2_T3_T4_T5_.has_indirect_call, 0
	.section	.AMDGPU.csdata,"",@progbits
; Kernel info:
; codeLenInByte = 4340
; TotalNumSgprs: 20
; NumVgprs: 20
; ScratchSize: 0
; MemoryBound: 0
; FloatMode: 240
; IeeeMode: 1
; LDSByteSize: 0 bytes/workgroup (compile time only)
; SGPRBlocks: 2
; VGPRBlocks: 4
; NumSGPRsForWavesPerEU: 20
; NumVGPRsForWavesPerEU: 20
; Occupancy: 10
; WaveLimiterHint : 0
; COMPUTE_PGM_RSRC2:SCRATCH_EN: 0
; COMPUTE_PGM_RSRC2:USER_SGPR: 6
; COMPUTE_PGM_RSRC2:TRAP_HANDLER: 0
; COMPUTE_PGM_RSRC2:TGID_X_EN: 1
; COMPUTE_PGM_RSRC2:TGID_Y_EN: 0
; COMPUTE_PGM_RSRC2:TGID_Z_EN: 0
; COMPUTE_PGM_RSRC2:TIDIG_COMP_CNT: 0
	.section	.text._ZN2at6native32elementwise_kernel_manual_unrollILi128ELi8EZNS0_22gpu_kernel_impl_nocastIZZZNS0_15sin_kernel_cudaERNS_18TensorIteratorBaseEENKUlvE0_clEvENKUlvE1_clEvEUlN3c104HalfEE_EEvS4_RKT_EUlibE_EEviT1_,"axG",@progbits,_ZN2at6native32elementwise_kernel_manual_unrollILi128ELi8EZNS0_22gpu_kernel_impl_nocastIZZZNS0_15sin_kernel_cudaERNS_18TensorIteratorBaseEENKUlvE0_clEvENKUlvE1_clEvEUlN3c104HalfEE_EEvS4_RKT_EUlibE_EEviT1_,comdat
	.globl	_ZN2at6native32elementwise_kernel_manual_unrollILi128ELi8EZNS0_22gpu_kernel_impl_nocastIZZZNS0_15sin_kernel_cudaERNS_18TensorIteratorBaseEENKUlvE0_clEvENKUlvE1_clEvEUlN3c104HalfEE_EEvS4_RKT_EUlibE_EEviT1_ ; -- Begin function _ZN2at6native32elementwise_kernel_manual_unrollILi128ELi8EZNS0_22gpu_kernel_impl_nocastIZZZNS0_15sin_kernel_cudaERNS_18TensorIteratorBaseEENKUlvE0_clEvENKUlvE1_clEvEUlN3c104HalfEE_EEvS4_RKT_EUlibE_EEviT1_
	.p2align	8
	.type	_ZN2at6native32elementwise_kernel_manual_unrollILi128ELi8EZNS0_22gpu_kernel_impl_nocastIZZZNS0_15sin_kernel_cudaERNS_18TensorIteratorBaseEENKUlvE0_clEvENKUlvE1_clEvEUlN3c104HalfEE_EEvS4_RKT_EUlibE_EEviT1_,@function
_ZN2at6native32elementwise_kernel_manual_unrollILi128ELi8EZNS0_22gpu_kernel_impl_nocastIZZZNS0_15sin_kernel_cudaERNS_18TensorIteratorBaseEENKUlvE0_clEvENKUlvE1_clEvEUlN3c104HalfEE_EEvS4_RKT_EUlibE_EEviT1_: ; @_ZN2at6native32elementwise_kernel_manual_unrollILi128ELi8EZNS0_22gpu_kernel_impl_nocastIZZZNS0_15sin_kernel_cudaERNS_18TensorIteratorBaseEENKUlvE0_clEvENKUlvE1_clEvEUlN3c104HalfEE_EEvS4_RKT_EUlibE_EEviT1_
; %bb.0:
	s_load_dword s55, s[4:5], 0x0
	s_load_dword s33, s[4:5], 0x8
	s_add_u32 s34, s4, 8
	s_addc_u32 s35, s5, 0
	v_lshl_or_b32 v10, s6, 10, v0
	v_or_b32_e32 v20, 0x380, v10
	s_waitcnt lgkmcnt(0)
	s_add_i32 s54, s33, -1
	s_cmp_gt_u32 s54, 1
	v_cmp_le_i32_e32 vcc, s55, v20
	s_cselect_b64 s[36:37], -1, 0
	s_and_saveexec_b64 s[0:1], vcc
	s_xor_b64 s[38:39], exec, s[0:1]
	s_cbranch_execz .LBB23_7
; %bb.1:
	s_load_dwordx4 s[24:27], s[34:35], 0x4
	s_load_dwordx2 s[40:41], s[34:35], 0x14
	s_load_dwordx4 s[20:23], s[34:35], 0xc4
	s_load_dwordx4 s[16:19], s[34:35], 0x148
	s_cmp_lg_u32 s33, 0
	s_cselect_b64 s[46:47], -1, 0
	s_add_u32 s44, s34, 0xc4
	s_addc_u32 s45, s35, 0
	s_min_u32 s56, s54, 15
	s_cmp_gt_u32 s33, 1
	s_cselect_b64 s[42:43], -1, 0
	v_cmp_gt_i32_e32 vcc, s55, v10
	s_and_saveexec_b64 s[48:49], vcc
	s_cbranch_execz .LBB23_14
; %bb.2:
	s_andn2_b64 vcc, exec, s[36:37]
	s_cbranch_vccnz .LBB23_21
; %bb.3:
	s_andn2_b64 vcc, exec, s[46:47]
	s_cbranch_vccnz .LBB23_161
; %bb.4:
	s_add_i32 s58, s56, 1
	s_cmp_eq_u32 s54, 2
	s_cbranch_scc1 .LBB23_163
; %bb.5:
	s_and_b32 s57, s58, 28
	v_mov_b32_e32 v2, 0
	s_mov_b32 s59, 0
	s_mov_b64 s[50:51], s[34:35]
	s_mov_b64 s[52:53], s[44:45]
	v_mov_b32_e32 v0, 0
	v_mov_b32_e32 v1, v10
.LBB23_6:                               ; =>This Inner Loop Header: Depth=1
	s_load_dwordx8 s[8:15], s[50:51], 0x4
	s_load_dwordx4 s[28:31], s[50:51], 0x24
	s_load_dwordx8 s[0:7], s[52:53], 0x0
	s_add_u32 s50, s50, 48
	s_addc_u32 s51, s51, 0
	s_waitcnt lgkmcnt(0)
	v_mul_hi_u32 v3, s9, v1
	s_add_i32 s59, s59, 4
	s_add_u32 s52, s52, 32
	s_addc_u32 s53, s53, 0
	v_add_u32_e32 v3, v1, v3
	v_lshrrev_b32_e32 v3, s10, v3
	v_mul_lo_u32 v4, v3, s8
	v_mul_hi_u32 v5, s12, v3
	s_cmp_lg_u32 s57, s59
	v_sub_u32_e32 v1, v1, v4
	v_add_u32_e32 v4, v3, v5
	v_mul_lo_u32 v5, v1, s0
	v_mul_lo_u32 v6, v1, s1
	v_lshrrev_b32_e32 v1, s13, v4
	v_mul_lo_u32 v4, v1, s11
	v_mul_hi_u32 v7, s15, v1
	v_sub_u32_e32 v3, v3, v4
	v_add_u32_e32 v4, v1, v7
	v_lshrrev_b32_e32 v4, s28, v4
	v_mul_hi_u32 v8, s30, v4
	v_mul_lo_u32 v9, v4, s14
	v_mul_lo_u32 v7, v3, s2
	;; [unrolled: 1-line block ×3, first 2 shown]
	v_sub_u32_e32 v9, v1, v9
	v_add_u32_e32 v1, v4, v8
	v_lshrrev_b32_e32 v1, s31, v1
	v_mul_lo_u32 v8, v1, s29
	v_mul_lo_u32 v11, v9, s4
	v_mul_lo_u32 v9, v9, s5
	v_add3_u32 v0, v5, v0, v7
	v_sub_u32_e32 v4, v4, v8
	v_mul_lo_u32 v8, v4, s6
	v_mul_lo_u32 v4, v4, s7
	v_add3_u32 v2, v6, v2, v3
	v_add3_u32 v0, v11, v0, v8
	;; [unrolled: 1-line block ×3, first 2 shown]
	s_cbranch_scc1 .LBB23_6
	s_branch .LBB23_164
.LBB23_7:
	s_andn2_saveexec_b64 s[0:1], s[38:39]
	s_cbranch_execz .LBB23_277
.LBB23_8:
	v_cndmask_b32_e64 v0, 0, 1, s[36:37]
	v_cmp_ne_u32_e64 s[0:1], 1, v0
	s_andn2_b64 vcc, exec, s[36:37]
	s_cbranch_vccnz .LBB23_20
; %bb.9:
	s_cmp_lg_u32 s33, 0
	s_waitcnt lgkmcnt(0)
	s_mov_b32 s26, 0
	s_cbranch_scc0 .LBB23_23
; %bb.10:
	s_min_u32 s27, s54, 15
	s_add_i32 s27, s27, 1
	s_cmp_eq_u32 s54, 2
	s_cbranch_scc1 .LBB23_24
; %bb.11:
	s_and_b32 s26, s27, 28
	s_add_u32 s2, s34, 0xc4
	s_addc_u32 s3, s35, 0
	v_mov_b32_e32 v7, 0
	s_mov_b32 s28, 0
	s_mov_b64 s[24:25], s[34:35]
	v_mov_b32_e32 v0, 0
	v_mov_b32_e32 v1, v10
.LBB23_12:                              ; =>This Inner Loop Header: Depth=1
	s_load_dwordx8 s[12:19], s[24:25], 0x4
	s_load_dwordx4 s[20:23], s[24:25], 0x24
	s_load_dwordx8 s[4:11], s[2:3], 0x0
	s_add_u32 s24, s24, 48
	s_addc_u32 s25, s25, 0
	s_waitcnt lgkmcnt(0)
	v_mul_hi_u32 v2, s13, v1
	s_add_i32 s28, s28, 4
	s_add_u32 s2, s2, 32
	s_addc_u32 s3, s3, 0
	v_add_u32_e32 v2, v1, v2
	v_lshrrev_b32_e32 v2, s14, v2
	v_mul_lo_u32 v3, v2, s12
	v_mul_hi_u32 v4, s16, v2
	s_cmp_lg_u32 s26, s28
	v_sub_u32_e32 v1, v1, v3
	v_add_u32_e32 v3, v2, v4
	v_mul_lo_u32 v4, v1, s4
	v_mul_lo_u32 v5, v1, s5
	v_lshrrev_b32_e32 v1, s17, v3
	v_mul_lo_u32 v3, v1, s15
	v_mul_hi_u32 v6, s19, v1
	v_sub_u32_e32 v2, v2, v3
	v_add_u32_e32 v3, v1, v6
	v_lshrrev_b32_e32 v3, s20, v3
	v_mul_hi_u32 v8, s22, v3
	v_mul_lo_u32 v9, v3, s18
	v_mul_lo_u32 v6, v2, s6
	;; [unrolled: 1-line block ×3, first 2 shown]
	v_sub_u32_e32 v9, v1, v9
	v_add_u32_e32 v1, v3, v8
	v_lshrrev_b32_e32 v1, s23, v1
	v_mul_lo_u32 v8, v1, s21
	v_mul_lo_u32 v11, v9, s8
	;; [unrolled: 1-line block ×3, first 2 shown]
	v_add3_u32 v0, v4, v0, v6
	v_sub_u32_e32 v3, v3, v8
	v_mul_lo_u32 v8, v3, s10
	v_mul_lo_u32 v3, v3, s11
	v_add3_u32 v2, v5, v7, v2
	v_add3_u32 v0, v11, v0, v8
	v_add3_u32 v7, v9, v2, v3
	s_cbranch_scc1 .LBB23_12
; %bb.13:
	s_and_b32 s6, s27, 3
	s_cmp_eq_u32 s6, 0
	s_cbranch_scc0 .LBB23_25
	s_branch .LBB23_27
.LBB23_14:
	s_or_b64 exec, exec, s[48:49]
	v_cmp_gt_i32_e32 vcc, s55, v10
	s_and_saveexec_b64 s[48:49], vcc
	s_cbranch_execz .LBB23_175
.LBB23_15:
	s_andn2_b64 vcc, exec, s[36:37]
	s_cbranch_vccnz .LBB23_22
; %bb.16:
	s_andn2_b64 vcc, exec, s[46:47]
	s_cbranch_vccnz .LBB23_162
; %bb.17:
	s_add_i32 s58, s56, 1
	s_cmp_eq_u32 s54, 2
	s_cbranch_scc1 .LBB23_183
; %bb.18:
	s_and_b32 s57, s58, 28
	v_mov_b32_e32 v2, 0
	s_mov_b32 s59, 0
	s_mov_b64 s[50:51], s[34:35]
	s_mov_b64 s[52:53], s[44:45]
	v_mov_b32_e32 v0, 0
	v_mov_b32_e32 v1, v10
.LBB23_19:                              ; =>This Inner Loop Header: Depth=1
	s_load_dwordx8 s[8:15], s[50:51], 0x4
	s_load_dwordx4 s[28:31], s[50:51], 0x24
	s_load_dwordx8 s[0:7], s[52:53], 0x0
	s_add_u32 s50, s50, 48
	s_addc_u32 s51, s51, 0
	s_waitcnt lgkmcnt(0)
	v_mul_hi_u32 v3, s9, v1
	s_add_i32 s59, s59, 4
	s_add_u32 s52, s52, 32
	s_addc_u32 s53, s53, 0
	v_add_u32_e32 v3, v1, v3
	v_lshrrev_b32_e32 v3, s10, v3
	v_mul_lo_u32 v4, v3, s8
	v_mul_hi_u32 v5, s12, v3
	s_cmp_eq_u32 s57, s59
	v_sub_u32_e32 v1, v1, v4
	v_add_u32_e32 v4, v3, v5
	v_mul_lo_u32 v5, v1, s0
	v_mul_lo_u32 v6, v1, s1
	v_lshrrev_b32_e32 v1, s13, v4
	v_mul_lo_u32 v4, v1, s11
	v_mul_hi_u32 v7, s15, v1
	v_sub_u32_e32 v3, v3, v4
	v_add_u32_e32 v4, v1, v7
	v_lshrrev_b32_e32 v4, s28, v4
	v_mul_hi_u32 v8, s30, v4
	v_mul_lo_u32 v9, v4, s14
	v_mul_lo_u32 v7, v3, s2
	;; [unrolled: 1-line block ×3, first 2 shown]
	v_sub_u32_e32 v9, v1, v9
	v_add_u32_e32 v1, v4, v8
	v_lshrrev_b32_e32 v1, s31, v1
	v_mul_lo_u32 v8, v1, s29
	v_mul_lo_u32 v11, v9, s4
	;; [unrolled: 1-line block ×3, first 2 shown]
	v_add3_u32 v0, v5, v0, v7
	v_sub_u32_e32 v4, v4, v8
	v_mul_lo_u32 v8, v4, s6
	v_mul_lo_u32 v4, v4, s7
	v_add3_u32 v2, v6, v2, v3
	v_add3_u32 v0, v11, v0, v8
	;; [unrolled: 1-line block ×3, first 2 shown]
	s_cbranch_scc0 .LBB23_19
	s_branch .LBB23_184
.LBB23_20:
                                        ; implicit-def: $vgpr0
                                        ; implicit-def: $vgpr7
	s_branch .LBB23_28
.LBB23_21:
                                        ; implicit-def: $vgpr0
                                        ; implicit-def: $vgpr2
	s_branch .LBB23_168
.LBB23_22:
                                        ; implicit-def: $vgpr0
                                        ; implicit-def: $vgpr2
	s_branch .LBB23_188
.LBB23_23:
	v_mov_b32_e32 v0, 0
	v_mov_b32_e32 v7, 0
	s_branch .LBB23_27
.LBB23_24:
	v_mov_b32_e32 v0, 0
	v_mov_b32_e32 v7, 0
	;; [unrolled: 1-line block ×3, first 2 shown]
	s_and_b32 s6, s27, 3
	s_cmp_eq_u32 s6, 0
	s_cbranch_scc1 .LBB23_27
.LBB23_25:
	s_lshl_b32 s2, s26, 3
	s_add_u32 s2, s34, s2
	s_addc_u32 s3, s35, 0
	s_add_u32 s2, s2, 0xc4
	s_addc_u32 s3, s3, 0
	s_mul_i32 s4, s26, 12
	s_add_u32 s4, s34, s4
	s_addc_u32 s5, s35, 0
.LBB23_26:                              ; =>This Inner Loop Header: Depth=1
	s_load_dwordx2 s[8:9], s[4:5], 0x4
	s_load_dword s7, s[4:5], 0xc
	s_load_dwordx2 s[10:11], s[2:3], 0x0
	s_add_u32 s4, s4, 12
	s_addc_u32 s5, s5, 0
	s_waitcnt lgkmcnt(0)
	v_mul_hi_u32 v2, s9, v1
	s_add_u32 s2, s2, 8
	s_addc_u32 s3, s3, 0
	s_add_i32 s6, s6, -1
	v_add_u32_e32 v2, v1, v2
	v_lshrrev_b32_e32 v2, s7, v2
	v_mul_lo_u32 v3, v2, s8
	s_cmp_lg_u32 s6, 0
	v_sub_u32_e32 v3, v1, v3
	v_mad_u64_u32 v[0:1], s[8:9], v3, s10, v[0:1]
	v_mad_u64_u32 v[7:8], s[8:9], v3, s11, v[7:8]
	v_mov_b32_e32 v1, v2
	s_cbranch_scc1 .LBB23_26
.LBB23_27:
	s_cbranch_execnz .LBB23_30
.LBB23_28:
	s_load_dwordx4 s[4:7], s[34:35], 0x4
	s_load_dwordx2 s[2:3], s[34:35], 0xc4
	s_cmp_lt_u32 s33, 2
	s_waitcnt lgkmcnt(0)
	v_mul_hi_u32 v0, s5, v10
	v_add_u32_e32 v0, v10, v0
	v_lshrrev_b32_e32 v1, s6, v0
	v_mul_lo_u32 v0, v1, s4
	v_sub_u32_e32 v2, v10, v0
	v_mul_lo_u32 v0, v2, s2
	v_mul_lo_u32 v7, v2, s3
	s_cbranch_scc1 .LBB23_30
; %bb.29:
	s_load_dwordx4 s[4:7], s[34:35], 0x10
	s_load_dwordx2 s[2:3], s[34:35], 0xcc
	s_waitcnt lgkmcnt(0)
	v_mul_hi_u32 v2, s5, v1
	v_add_u32_e32 v2, v1, v2
	v_lshrrev_b32_e32 v2, s6, v2
	v_mul_lo_u32 v2, v2, s4
	v_sub_u32_e32 v2, v1, v2
	v_mad_u64_u32 v[0:1], s[4:5], v2, s2, v[0:1]
	v_mad_u64_u32 v[7:8], s[2:3], v2, s3, v[7:8]
.LBB23_30:
	s_and_b64 vcc, exec, s[0:1]
	v_add_u32_e32 v3, 0x80, v10
	s_cbranch_vccnz .LBB23_36
; %bb.31:
	s_cmp_lg_u32 s33, 0
	s_waitcnt lgkmcnt(0)
	s_mov_b32 s26, 0
	s_cbranch_scc0 .LBB23_37
; %bb.32:
	s_min_u32 s27, s54, 15
	s_add_i32 s27, s27, 1
	s_cmp_eq_u32 s54, 2
	s_cbranch_scc1 .LBB23_38
; %bb.33:
	s_and_b32 s26, s27, 28
	s_add_u32 s2, s34, 0xc4
	s_addc_u32 s3, s35, 0
	v_mov_b32_e32 v8, 0
	s_mov_b32 s28, 0
	s_mov_b64 s[24:25], s[34:35]
	v_mov_b32_e32 v1, 0
	v_mov_b32_e32 v2, v3
.LBB23_34:                              ; =>This Inner Loop Header: Depth=1
	s_load_dwordx8 s[12:19], s[24:25], 0x4
	s_load_dwordx4 s[20:23], s[24:25], 0x24
	s_load_dwordx8 s[4:11], s[2:3], 0x0
	s_add_u32 s24, s24, 48
	s_addc_u32 s25, s25, 0
	s_waitcnt lgkmcnt(0)
	v_mul_hi_u32 v4, s13, v2
	s_add_i32 s28, s28, 4
	s_add_u32 s2, s2, 32
	s_addc_u32 s3, s3, 0
	v_add_u32_e32 v4, v2, v4
	v_lshrrev_b32_e32 v4, s14, v4
	v_mul_lo_u32 v5, v4, s12
	v_mul_hi_u32 v6, s16, v4
	s_cmp_lg_u32 s26, s28
	v_sub_u32_e32 v2, v2, v5
	v_add_u32_e32 v5, v4, v6
	v_mul_lo_u32 v6, v2, s4
	v_mul_lo_u32 v9, v2, s5
	v_lshrrev_b32_e32 v2, s17, v5
	v_mul_lo_u32 v5, v2, s15
	v_mul_hi_u32 v11, s19, v2
	v_sub_u32_e32 v4, v4, v5
	v_add_u32_e32 v5, v2, v11
	v_lshrrev_b32_e32 v5, s20, v5
	v_mul_hi_u32 v12, s22, v5
	v_mul_lo_u32 v13, v5, s18
	v_mul_lo_u32 v11, v4, s6
	;; [unrolled: 1-line block ×3, first 2 shown]
	v_sub_u32_e32 v13, v2, v13
	v_add_u32_e32 v2, v5, v12
	v_lshrrev_b32_e32 v2, s23, v2
	v_mul_lo_u32 v12, v2, s21
	v_mul_lo_u32 v14, v13, s8
	;; [unrolled: 1-line block ×3, first 2 shown]
	v_add3_u32 v1, v6, v1, v11
	v_sub_u32_e32 v5, v5, v12
	v_mul_lo_u32 v12, v5, s10
	v_mul_lo_u32 v5, v5, s11
	v_add3_u32 v4, v9, v8, v4
	v_add3_u32 v1, v14, v1, v12
	;; [unrolled: 1-line block ×3, first 2 shown]
	s_cbranch_scc1 .LBB23_34
; %bb.35:
	s_and_b32 s6, s27, 3
	s_cmp_eq_u32 s6, 0
	s_cbranch_scc0 .LBB23_39
	s_branch .LBB23_41
.LBB23_36:
                                        ; implicit-def: $vgpr1
                                        ; implicit-def: $vgpr8
	s_branch .LBB23_42
.LBB23_37:
	v_mov_b32_e32 v1, 0
	v_mov_b32_e32 v8, 0
	s_branch .LBB23_41
.LBB23_38:
	v_mov_b32_e32 v1, 0
	v_mov_b32_e32 v8, 0
	;; [unrolled: 1-line block ×3, first 2 shown]
	s_and_b32 s6, s27, 3
	s_cmp_eq_u32 s6, 0
	s_cbranch_scc1 .LBB23_41
.LBB23_39:
	s_lshl_b32 s2, s26, 3
	s_add_u32 s2, s34, s2
	s_addc_u32 s3, s35, 0
	s_add_u32 s2, s2, 0xc4
	s_addc_u32 s3, s3, 0
	s_mul_i32 s4, s26, 12
	s_add_u32 s4, s34, s4
	s_addc_u32 s5, s35, 0
.LBB23_40:                              ; =>This Inner Loop Header: Depth=1
	s_load_dwordx2 s[8:9], s[4:5], 0x4
	s_load_dword s7, s[4:5], 0xc
	s_load_dwordx2 s[10:11], s[2:3], 0x0
	s_add_u32 s4, s4, 12
	s_addc_u32 s5, s5, 0
	s_waitcnt lgkmcnt(0)
	v_mul_hi_u32 v4, s9, v2
	s_add_u32 s2, s2, 8
	s_addc_u32 s3, s3, 0
	s_add_i32 s6, s6, -1
	v_add_u32_e32 v4, v2, v4
	v_lshrrev_b32_e32 v4, s7, v4
	v_mul_lo_u32 v5, v4, s8
	s_cmp_lg_u32 s6, 0
	v_sub_u32_e32 v5, v2, v5
	v_mad_u64_u32 v[1:2], s[8:9], v5, s10, v[1:2]
	v_mad_u64_u32 v[8:9], s[8:9], v5, s11, v[8:9]
	v_mov_b32_e32 v2, v4
	s_cbranch_scc1 .LBB23_40
.LBB23_41:
	s_cbranch_execnz .LBB23_44
.LBB23_42:
	s_load_dwordx4 s[4:7], s[34:35], 0x4
	s_load_dwordx2 s[2:3], s[34:35], 0xc4
	s_cmp_lt_u32 s33, 2
	s_waitcnt lgkmcnt(0)
	v_mul_hi_u32 v1, s5, v3
	v_add_u32_e32 v1, v3, v1
	v_lshrrev_b32_e32 v2, s6, v1
	v_mul_lo_u32 v1, v2, s4
	v_sub_u32_e32 v3, v3, v1
	v_mul_lo_u32 v1, v3, s2
	v_mul_lo_u32 v8, v3, s3
	s_cbranch_scc1 .LBB23_44
; %bb.43:
	s_load_dwordx4 s[4:7], s[34:35], 0x10
	s_load_dwordx2 s[2:3], s[34:35], 0xcc
	s_waitcnt lgkmcnt(0)
	v_mul_hi_u32 v3, s5, v2
	v_add_u32_e32 v3, v2, v3
	v_lshrrev_b32_e32 v3, s6, v3
	v_mul_lo_u32 v3, v3, s4
	v_sub_u32_e32 v3, v2, v3
	v_mad_u64_u32 v[1:2], s[4:5], v3, s2, v[1:2]
	v_mad_u64_u32 v[8:9], s[2:3], v3, s3, v[8:9]
.LBB23_44:
	s_and_b64 vcc, exec, s[0:1]
	v_add_u32_e32 v4, 0x100, v10
	s_cbranch_vccnz .LBB23_50
; %bb.45:
	s_cmp_lg_u32 s33, 0
	s_waitcnt lgkmcnt(0)
	s_mov_b32 s26, 0
	s_cbranch_scc0 .LBB23_51
; %bb.46:
	s_min_u32 s27, s54, 15
	s_add_i32 s27, s27, 1
	s_cmp_eq_u32 s54, 2
	s_cbranch_scc1 .LBB23_52
; %bb.47:
	s_and_b32 s26, s27, 28
	s_add_u32 s2, s34, 0xc4
	s_addc_u32 s3, s35, 0
	v_mov_b32_e32 v11, 0
	s_mov_b32 s28, 0
	s_mov_b64 s[24:25], s[34:35]
	v_mov_b32_e32 v2, 0
	v_mov_b32_e32 v3, v4
.LBB23_48:                              ; =>This Inner Loop Header: Depth=1
	s_load_dwordx8 s[12:19], s[24:25], 0x4
	s_load_dwordx4 s[20:23], s[24:25], 0x24
	s_load_dwordx8 s[4:11], s[2:3], 0x0
	s_add_u32 s24, s24, 48
	s_addc_u32 s25, s25, 0
	s_waitcnt lgkmcnt(0)
	v_mul_hi_u32 v5, s13, v3
	s_add_i32 s28, s28, 4
	s_add_u32 s2, s2, 32
	s_addc_u32 s3, s3, 0
	v_add_u32_e32 v5, v3, v5
	v_lshrrev_b32_e32 v5, s14, v5
	v_mul_lo_u32 v6, v5, s12
	v_mul_hi_u32 v9, s16, v5
	s_cmp_lg_u32 s26, s28
	v_sub_u32_e32 v3, v3, v6
	v_add_u32_e32 v6, v5, v9
	v_mul_lo_u32 v9, v3, s4
	v_mul_lo_u32 v12, v3, s5
	v_lshrrev_b32_e32 v3, s17, v6
	v_mul_lo_u32 v6, v3, s15
	v_mul_hi_u32 v13, s19, v3
	v_sub_u32_e32 v5, v5, v6
	v_add_u32_e32 v6, v3, v13
	v_lshrrev_b32_e32 v6, s20, v6
	v_mul_hi_u32 v14, s22, v6
	v_mul_lo_u32 v15, v6, s18
	v_mul_lo_u32 v13, v5, s6
	;; [unrolled: 1-line block ×3, first 2 shown]
	v_sub_u32_e32 v15, v3, v15
	v_add_u32_e32 v3, v6, v14
	v_lshrrev_b32_e32 v3, s23, v3
	v_mul_lo_u32 v14, v3, s21
	v_mul_lo_u32 v16, v15, s8
	;; [unrolled: 1-line block ×3, first 2 shown]
	v_add3_u32 v2, v9, v2, v13
	v_sub_u32_e32 v6, v6, v14
	v_mul_lo_u32 v14, v6, s10
	v_mul_lo_u32 v6, v6, s11
	v_add3_u32 v5, v12, v11, v5
	v_add3_u32 v2, v16, v2, v14
	;; [unrolled: 1-line block ×3, first 2 shown]
	s_cbranch_scc1 .LBB23_48
; %bb.49:
	s_and_b32 s6, s27, 3
	s_cmp_eq_u32 s6, 0
	s_cbranch_scc0 .LBB23_53
	s_branch .LBB23_55
.LBB23_50:
                                        ; implicit-def: $vgpr2
                                        ; implicit-def: $vgpr11
	s_branch .LBB23_56
.LBB23_51:
	v_mov_b32_e32 v2, 0
	v_mov_b32_e32 v11, 0
	s_branch .LBB23_55
.LBB23_52:
	v_mov_b32_e32 v2, 0
	v_mov_b32_e32 v11, 0
	;; [unrolled: 1-line block ×3, first 2 shown]
	s_and_b32 s6, s27, 3
	s_cmp_eq_u32 s6, 0
	s_cbranch_scc1 .LBB23_55
.LBB23_53:
	s_lshl_b32 s2, s26, 3
	s_add_u32 s2, s34, s2
	s_addc_u32 s3, s35, 0
	s_add_u32 s2, s2, 0xc4
	s_addc_u32 s3, s3, 0
	s_mul_i32 s4, s26, 12
	s_add_u32 s4, s34, s4
	s_addc_u32 s5, s35, 0
.LBB23_54:                              ; =>This Inner Loop Header: Depth=1
	s_load_dwordx2 s[8:9], s[4:5], 0x4
	s_load_dword s7, s[4:5], 0xc
	s_load_dwordx2 s[10:11], s[2:3], 0x0
	s_add_u32 s4, s4, 12
	s_addc_u32 s5, s5, 0
	s_waitcnt lgkmcnt(0)
	v_mul_hi_u32 v5, s9, v3
	s_add_u32 s2, s2, 8
	s_addc_u32 s3, s3, 0
	s_add_i32 s6, s6, -1
	v_add_u32_e32 v5, v3, v5
	v_lshrrev_b32_e32 v5, s7, v5
	v_mul_lo_u32 v6, v5, s8
	s_cmp_lg_u32 s6, 0
	v_sub_u32_e32 v6, v3, v6
	v_mad_u64_u32 v[2:3], s[8:9], v6, s10, v[2:3]
	v_mad_u64_u32 v[11:12], s[8:9], v6, s11, v[11:12]
	v_mov_b32_e32 v3, v5
	s_cbranch_scc1 .LBB23_54
.LBB23_55:
	s_cbranch_execnz .LBB23_58
.LBB23_56:
	s_load_dwordx4 s[4:7], s[34:35], 0x4
	s_load_dwordx2 s[2:3], s[34:35], 0xc4
	s_cmp_lt_u32 s33, 2
	s_waitcnt lgkmcnt(0)
	v_mul_hi_u32 v2, s5, v4
	v_add_u32_e32 v2, v4, v2
	v_lshrrev_b32_e32 v3, s6, v2
	v_mul_lo_u32 v2, v3, s4
	v_sub_u32_e32 v4, v4, v2
	v_mul_lo_u32 v2, v4, s2
	v_mul_lo_u32 v11, v4, s3
	s_cbranch_scc1 .LBB23_58
; %bb.57:
	s_load_dwordx4 s[4:7], s[34:35], 0x10
	s_load_dwordx2 s[2:3], s[34:35], 0xcc
	s_waitcnt lgkmcnt(0)
	v_mul_hi_u32 v4, s5, v3
	v_add_u32_e32 v4, v3, v4
	v_lshrrev_b32_e32 v4, s6, v4
	v_mul_lo_u32 v4, v4, s4
	v_sub_u32_e32 v4, v3, v4
	v_mad_u64_u32 v[2:3], s[4:5], v4, s2, v[2:3]
	v_mad_u64_u32 v[11:12], s[2:3], v4, s3, v[11:12]
.LBB23_58:
	s_and_b64 vcc, exec, s[0:1]
	v_add_u32_e32 v5, 0x180, v10
	s_cbranch_vccnz .LBB23_64
; %bb.59:
	s_cmp_lg_u32 s33, 0
	s_waitcnt lgkmcnt(0)
	s_mov_b32 s26, 0
	s_cbranch_scc0 .LBB23_65
; %bb.60:
	s_min_u32 s27, s54, 15
	s_add_i32 s27, s27, 1
	s_cmp_eq_u32 s54, 2
	s_cbranch_scc1 .LBB23_66
; %bb.61:
	s_and_b32 s26, s27, 28
	s_add_u32 s2, s34, 0xc4
	s_addc_u32 s3, s35, 0
	v_mov_b32_e32 v12, 0
	s_mov_b32 s28, 0
	s_mov_b64 s[24:25], s[34:35]
	v_mov_b32_e32 v3, 0
	v_mov_b32_e32 v4, v5
.LBB23_62:                              ; =>This Inner Loop Header: Depth=1
	s_load_dwordx8 s[12:19], s[24:25], 0x4
	s_load_dwordx4 s[20:23], s[24:25], 0x24
	s_load_dwordx8 s[4:11], s[2:3], 0x0
	s_add_u32 s24, s24, 48
	s_addc_u32 s25, s25, 0
	s_waitcnt lgkmcnt(0)
	v_mul_hi_u32 v6, s13, v4
	s_add_i32 s28, s28, 4
	s_add_u32 s2, s2, 32
	s_addc_u32 s3, s3, 0
	v_add_u32_e32 v6, v4, v6
	v_lshrrev_b32_e32 v6, s14, v6
	v_mul_lo_u32 v9, v6, s12
	v_mul_hi_u32 v13, s16, v6
	s_cmp_lg_u32 s26, s28
	v_sub_u32_e32 v4, v4, v9
	v_add_u32_e32 v9, v6, v13
	v_mul_lo_u32 v13, v4, s4
	v_mul_lo_u32 v14, v4, s5
	v_lshrrev_b32_e32 v4, s17, v9
	v_mul_lo_u32 v9, v4, s15
	v_mul_hi_u32 v15, s19, v4
	v_sub_u32_e32 v6, v6, v9
	v_add_u32_e32 v9, v4, v15
	v_lshrrev_b32_e32 v9, s20, v9
	v_mul_hi_u32 v16, s22, v9
	v_mul_lo_u32 v17, v9, s18
	v_mul_lo_u32 v15, v6, s6
	;; [unrolled: 1-line block ×3, first 2 shown]
	v_sub_u32_e32 v17, v4, v17
	v_add_u32_e32 v4, v9, v16
	v_lshrrev_b32_e32 v4, s23, v4
	v_mul_lo_u32 v16, v4, s21
	v_mul_lo_u32 v18, v17, s8
	;; [unrolled: 1-line block ×3, first 2 shown]
	v_add3_u32 v3, v13, v3, v15
	v_sub_u32_e32 v9, v9, v16
	v_mul_lo_u32 v16, v9, s10
	v_mul_lo_u32 v9, v9, s11
	v_add3_u32 v6, v14, v12, v6
	v_add3_u32 v3, v18, v3, v16
	;; [unrolled: 1-line block ×3, first 2 shown]
	s_cbranch_scc1 .LBB23_62
; %bb.63:
	s_and_b32 s6, s27, 3
	s_cmp_eq_u32 s6, 0
	s_cbranch_scc0 .LBB23_67
	s_branch .LBB23_69
.LBB23_64:
                                        ; implicit-def: $vgpr3
                                        ; implicit-def: $vgpr12
	s_branch .LBB23_70
.LBB23_65:
	v_mov_b32_e32 v3, 0
	v_mov_b32_e32 v12, 0
	s_branch .LBB23_69
.LBB23_66:
	v_mov_b32_e32 v3, 0
	v_mov_b32_e32 v12, 0
	;; [unrolled: 1-line block ×3, first 2 shown]
	s_and_b32 s6, s27, 3
	s_cmp_eq_u32 s6, 0
	s_cbranch_scc1 .LBB23_69
.LBB23_67:
	s_lshl_b32 s2, s26, 3
	s_add_u32 s2, s34, s2
	s_addc_u32 s3, s35, 0
	s_add_u32 s2, s2, 0xc4
	s_addc_u32 s3, s3, 0
	s_mul_i32 s4, s26, 12
	s_add_u32 s4, s34, s4
	s_addc_u32 s5, s35, 0
.LBB23_68:                              ; =>This Inner Loop Header: Depth=1
	s_load_dwordx2 s[8:9], s[4:5], 0x4
	s_load_dword s7, s[4:5], 0xc
	s_load_dwordx2 s[10:11], s[2:3], 0x0
	s_add_u32 s4, s4, 12
	s_addc_u32 s5, s5, 0
	s_waitcnt lgkmcnt(0)
	v_mul_hi_u32 v6, s9, v4
	s_add_u32 s2, s2, 8
	s_addc_u32 s3, s3, 0
	s_add_i32 s6, s6, -1
	v_add_u32_e32 v6, v4, v6
	v_lshrrev_b32_e32 v6, s7, v6
	v_mul_lo_u32 v9, v6, s8
	s_cmp_lg_u32 s6, 0
	v_sub_u32_e32 v9, v4, v9
	v_mad_u64_u32 v[3:4], s[8:9], v9, s10, v[3:4]
	v_mad_u64_u32 v[12:13], s[8:9], v9, s11, v[12:13]
	v_mov_b32_e32 v4, v6
	s_cbranch_scc1 .LBB23_68
.LBB23_69:
	s_cbranch_execnz .LBB23_72
.LBB23_70:
	s_load_dwordx4 s[4:7], s[34:35], 0x4
	s_load_dwordx2 s[2:3], s[34:35], 0xc4
	s_cmp_lt_u32 s33, 2
	s_waitcnt lgkmcnt(0)
	v_mul_hi_u32 v3, s5, v5
	v_add_u32_e32 v3, v5, v3
	v_lshrrev_b32_e32 v4, s6, v3
	v_mul_lo_u32 v3, v4, s4
	v_sub_u32_e32 v5, v5, v3
	v_mul_lo_u32 v3, v5, s2
	v_mul_lo_u32 v12, v5, s3
	s_cbranch_scc1 .LBB23_72
; %bb.71:
	s_load_dwordx4 s[4:7], s[34:35], 0x10
	s_load_dwordx2 s[2:3], s[34:35], 0xcc
	s_waitcnt lgkmcnt(0)
	v_mul_hi_u32 v5, s5, v4
	v_add_u32_e32 v5, v4, v5
	v_lshrrev_b32_e32 v5, s6, v5
	v_mul_lo_u32 v5, v5, s4
	v_sub_u32_e32 v5, v4, v5
	v_mad_u64_u32 v[3:4], s[4:5], v5, s2, v[3:4]
	v_mad_u64_u32 v[12:13], s[2:3], v5, s3, v[12:13]
.LBB23_72:
	s_and_b64 vcc, exec, s[0:1]
	v_add_u32_e32 v6, 0x200, v10
	s_cbranch_vccnz .LBB23_78
; %bb.73:
	s_cmp_lg_u32 s33, 0
	s_waitcnt lgkmcnt(0)
	s_mov_b32 s26, 0
	s_cbranch_scc0 .LBB23_79
; %bb.74:
	s_min_u32 s27, s54, 15
	s_add_i32 s27, s27, 1
	s_cmp_eq_u32 s54, 2
	s_cbranch_scc1 .LBB23_80
; %bb.75:
	s_and_b32 s26, s27, 28
	s_add_u32 s2, s34, 0xc4
	s_addc_u32 s3, s35, 0
	v_mov_b32_e32 v13, 0
	s_mov_b32 s28, 0
	s_mov_b64 s[24:25], s[34:35]
	v_mov_b32_e32 v4, 0
	v_mov_b32_e32 v5, v6
.LBB23_76:                              ; =>This Inner Loop Header: Depth=1
	s_load_dwordx8 s[12:19], s[24:25], 0x4
	s_load_dwordx4 s[20:23], s[24:25], 0x24
	s_load_dwordx8 s[4:11], s[2:3], 0x0
	s_add_u32 s24, s24, 48
	s_addc_u32 s25, s25, 0
	s_waitcnt lgkmcnt(0)
	v_mul_hi_u32 v9, s13, v5
	s_add_i32 s28, s28, 4
	s_add_u32 s2, s2, 32
	s_addc_u32 s3, s3, 0
	v_add_u32_e32 v9, v5, v9
	v_lshrrev_b32_e32 v9, s14, v9
	v_mul_lo_u32 v14, v9, s12
	v_mul_hi_u32 v15, s16, v9
	s_cmp_lg_u32 s26, s28
	v_sub_u32_e32 v5, v5, v14
	v_add_u32_e32 v14, v9, v15
	v_mul_lo_u32 v15, v5, s4
	v_mul_lo_u32 v16, v5, s5
	v_lshrrev_b32_e32 v5, s17, v14
	v_mul_lo_u32 v14, v5, s15
	v_mul_hi_u32 v17, s19, v5
	v_sub_u32_e32 v9, v9, v14
	v_add_u32_e32 v14, v5, v17
	v_lshrrev_b32_e32 v14, s20, v14
	v_mul_hi_u32 v18, s22, v14
	v_mul_lo_u32 v19, v14, s18
	v_mul_lo_u32 v17, v9, s6
	;; [unrolled: 1-line block ×3, first 2 shown]
	v_sub_u32_e32 v19, v5, v19
	v_add_u32_e32 v5, v14, v18
	v_lshrrev_b32_e32 v5, s23, v5
	v_mul_lo_u32 v18, v5, s21
	v_mul_lo_u32 v21, v19, s8
	;; [unrolled: 1-line block ×3, first 2 shown]
	v_add3_u32 v4, v15, v4, v17
	v_sub_u32_e32 v14, v14, v18
	v_mul_lo_u32 v18, v14, s10
	v_mul_lo_u32 v14, v14, s11
	v_add3_u32 v9, v16, v13, v9
	v_add3_u32 v4, v21, v4, v18
	;; [unrolled: 1-line block ×3, first 2 shown]
	s_cbranch_scc1 .LBB23_76
; %bb.77:
	s_and_b32 s6, s27, 3
	s_cmp_eq_u32 s6, 0
	s_cbranch_scc0 .LBB23_81
	s_branch .LBB23_83
.LBB23_78:
                                        ; implicit-def: $vgpr4
                                        ; implicit-def: $vgpr13
	s_branch .LBB23_84
.LBB23_79:
	v_mov_b32_e32 v4, 0
	v_mov_b32_e32 v13, 0
	s_branch .LBB23_83
.LBB23_80:
	v_mov_b32_e32 v4, 0
	v_mov_b32_e32 v13, 0
	;; [unrolled: 1-line block ×3, first 2 shown]
	s_and_b32 s6, s27, 3
	s_cmp_eq_u32 s6, 0
	s_cbranch_scc1 .LBB23_83
.LBB23_81:
	s_lshl_b32 s2, s26, 3
	s_add_u32 s2, s34, s2
	s_addc_u32 s3, s35, 0
	s_add_u32 s2, s2, 0xc4
	s_addc_u32 s3, s3, 0
	s_mul_i32 s4, s26, 12
	s_add_u32 s4, s34, s4
	s_addc_u32 s5, s35, 0
.LBB23_82:                              ; =>This Inner Loop Header: Depth=1
	s_load_dwordx2 s[8:9], s[4:5], 0x4
	s_load_dword s7, s[4:5], 0xc
	s_load_dwordx2 s[10:11], s[2:3], 0x0
	s_add_u32 s4, s4, 12
	s_addc_u32 s5, s5, 0
	s_waitcnt lgkmcnt(0)
	v_mul_hi_u32 v9, s9, v5
	s_add_u32 s2, s2, 8
	s_addc_u32 s3, s3, 0
	s_add_i32 s6, s6, -1
	v_add_u32_e32 v9, v5, v9
	v_lshrrev_b32_e32 v9, s7, v9
	v_mul_lo_u32 v14, v9, s8
	s_cmp_lg_u32 s6, 0
	v_sub_u32_e32 v14, v5, v14
	v_mad_u64_u32 v[4:5], s[8:9], v14, s10, v[4:5]
	v_mad_u64_u32 v[13:14], s[8:9], v14, s11, v[13:14]
	v_mov_b32_e32 v5, v9
	s_cbranch_scc1 .LBB23_82
.LBB23_83:
	s_cbranch_execnz .LBB23_86
.LBB23_84:
	s_load_dwordx4 s[4:7], s[34:35], 0x4
	s_load_dwordx2 s[2:3], s[34:35], 0xc4
	s_cmp_lt_u32 s33, 2
	s_waitcnt lgkmcnt(0)
	v_mul_hi_u32 v4, s5, v6
	v_add_u32_e32 v4, v6, v4
	v_lshrrev_b32_e32 v5, s6, v4
	v_mul_lo_u32 v4, v5, s4
	v_sub_u32_e32 v6, v6, v4
	v_mul_lo_u32 v4, v6, s2
	v_mul_lo_u32 v13, v6, s3
	s_cbranch_scc1 .LBB23_86
; %bb.85:
	s_load_dwordx4 s[4:7], s[34:35], 0x10
	s_load_dwordx2 s[2:3], s[34:35], 0xcc
	s_waitcnt lgkmcnt(0)
	v_mul_hi_u32 v6, s5, v5
	v_add_u32_e32 v6, v5, v6
	v_lshrrev_b32_e32 v6, s6, v6
	v_mul_lo_u32 v6, v6, s4
	v_sub_u32_e32 v6, v5, v6
	v_mad_u64_u32 v[4:5], s[4:5], v6, s2, v[4:5]
	v_mad_u64_u32 v[13:14], s[2:3], v6, s3, v[13:14]
.LBB23_86:
	s_and_b64 vcc, exec, s[0:1]
	v_add_u32_e32 v9, 0x280, v10
	s_cbranch_vccnz .LBB23_92
; %bb.87:
	s_cmp_lg_u32 s33, 0
	s_waitcnt lgkmcnt(0)
	s_mov_b32 s26, 0
	s_cbranch_scc0 .LBB23_93
; %bb.88:
	s_min_u32 s27, s54, 15
	s_add_i32 s27, s27, 1
	s_cmp_eq_u32 s54, 2
	s_cbranch_scc1 .LBB23_94
; %bb.89:
	s_and_b32 s26, s27, 28
	s_add_u32 s2, s34, 0xc4
	s_addc_u32 s3, s35, 0
	v_mov_b32_e32 v16, 0
	s_mov_b32 s28, 0
	s_mov_b64 s[24:25], s[34:35]
	v_mov_b32_e32 v5, 0
	v_mov_b32_e32 v6, v9
.LBB23_90:                              ; =>This Inner Loop Header: Depth=1
	s_load_dwordx8 s[12:19], s[24:25], 0x4
	s_load_dwordx4 s[20:23], s[24:25], 0x24
	s_load_dwordx8 s[4:11], s[2:3], 0x0
	s_add_u32 s24, s24, 48
	s_addc_u32 s25, s25, 0
	s_waitcnt lgkmcnt(0)
	v_mul_hi_u32 v14, s13, v6
	s_add_i32 s28, s28, 4
	s_add_u32 s2, s2, 32
	s_addc_u32 s3, s3, 0
	v_add_u32_e32 v14, v6, v14
	v_lshrrev_b32_e32 v14, s14, v14
	v_mul_lo_u32 v15, v14, s12
	v_mul_hi_u32 v17, s16, v14
	s_cmp_lg_u32 s26, s28
	v_sub_u32_e32 v6, v6, v15
	v_add_u32_e32 v15, v14, v17
	v_mul_lo_u32 v17, v6, s4
	v_mul_lo_u32 v18, v6, s5
	v_lshrrev_b32_e32 v6, s17, v15
	v_mul_lo_u32 v15, v6, s15
	v_mul_hi_u32 v19, s19, v6
	v_sub_u32_e32 v14, v14, v15
	v_add_u32_e32 v15, v6, v19
	v_lshrrev_b32_e32 v15, s20, v15
	v_mul_hi_u32 v21, s22, v15
	v_mul_lo_u32 v22, v15, s18
	v_mul_lo_u32 v19, v14, s6
	;; [unrolled: 1-line block ×3, first 2 shown]
	v_sub_u32_e32 v22, v6, v22
	v_add_u32_e32 v6, v15, v21
	v_lshrrev_b32_e32 v6, s23, v6
	v_mul_lo_u32 v21, v6, s21
	v_mul_lo_u32 v23, v22, s8
	;; [unrolled: 1-line block ×3, first 2 shown]
	v_add3_u32 v5, v17, v5, v19
	v_sub_u32_e32 v15, v15, v21
	v_mul_lo_u32 v21, v15, s10
	v_mul_lo_u32 v15, v15, s11
	v_add3_u32 v14, v18, v16, v14
	v_add3_u32 v5, v23, v5, v21
	v_add3_u32 v16, v22, v14, v15
	s_cbranch_scc1 .LBB23_90
; %bb.91:
	s_and_b32 s6, s27, 3
	s_cmp_eq_u32 s6, 0
	s_cbranch_scc0 .LBB23_95
	s_branch .LBB23_97
.LBB23_92:
                                        ; implicit-def: $vgpr5
                                        ; implicit-def: $vgpr16
	s_branch .LBB23_98
.LBB23_93:
	v_mov_b32_e32 v5, 0
	v_mov_b32_e32 v16, 0
	s_branch .LBB23_97
.LBB23_94:
	v_mov_b32_e32 v5, 0
	v_mov_b32_e32 v16, 0
	;; [unrolled: 1-line block ×3, first 2 shown]
	s_and_b32 s6, s27, 3
	s_cmp_eq_u32 s6, 0
	s_cbranch_scc1 .LBB23_97
.LBB23_95:
	s_lshl_b32 s2, s26, 3
	s_add_u32 s2, s34, s2
	s_addc_u32 s3, s35, 0
	s_add_u32 s2, s2, 0xc4
	s_addc_u32 s3, s3, 0
	s_mul_i32 s4, s26, 12
	s_add_u32 s4, s34, s4
	s_addc_u32 s5, s35, 0
.LBB23_96:                              ; =>This Inner Loop Header: Depth=1
	s_load_dwordx2 s[8:9], s[4:5], 0x4
	s_load_dword s7, s[4:5], 0xc
	s_load_dwordx2 s[10:11], s[2:3], 0x0
	s_add_u32 s4, s4, 12
	s_addc_u32 s5, s5, 0
	s_waitcnt lgkmcnt(0)
	v_mul_hi_u32 v14, s9, v6
	s_add_u32 s2, s2, 8
	s_addc_u32 s3, s3, 0
	s_add_i32 s6, s6, -1
	v_add_u32_e32 v14, v6, v14
	v_lshrrev_b32_e32 v14, s7, v14
	v_mul_lo_u32 v15, v14, s8
	s_cmp_lg_u32 s6, 0
	v_sub_u32_e32 v15, v6, v15
	v_mad_u64_u32 v[5:6], s[8:9], v15, s10, v[5:6]
	v_mad_u64_u32 v[16:17], s[8:9], v15, s11, v[16:17]
	v_mov_b32_e32 v6, v14
	s_cbranch_scc1 .LBB23_96
.LBB23_97:
	s_cbranch_execnz .LBB23_100
.LBB23_98:
	s_load_dwordx4 s[4:7], s[34:35], 0x4
	s_load_dwordx2 s[2:3], s[34:35], 0xc4
	s_cmp_lt_u32 s33, 2
	s_waitcnt lgkmcnt(0)
	v_mul_hi_u32 v5, s5, v9
	v_add_u32_e32 v5, v9, v5
	v_lshrrev_b32_e32 v6, s6, v5
	v_mul_lo_u32 v5, v6, s4
	v_sub_u32_e32 v9, v9, v5
	v_mul_lo_u32 v5, v9, s2
	v_mul_lo_u32 v16, v9, s3
	s_cbranch_scc1 .LBB23_100
; %bb.99:
	s_load_dwordx4 s[4:7], s[34:35], 0x10
	s_load_dwordx2 s[2:3], s[34:35], 0xcc
	s_waitcnt lgkmcnt(0)
	v_mul_hi_u32 v9, s5, v6
	v_add_u32_e32 v9, v6, v9
	v_lshrrev_b32_e32 v9, s6, v9
	v_mul_lo_u32 v9, v9, s4
	v_sub_u32_e32 v9, v6, v9
	v_mad_u64_u32 v[5:6], s[4:5], v9, s2, v[5:6]
	v_mad_u64_u32 v[16:17], s[2:3], v9, s3, v[16:17]
.LBB23_100:
	s_and_b64 vcc, exec, s[0:1]
	v_add_u32_e32 v6, 0x300, v10
	s_cbranch_vccnz .LBB23_106
; %bb.101:
	s_cmp_lg_u32 s33, 0
	s_waitcnt lgkmcnt(0)
	s_mov_b32 s26, 0
	s_cbranch_scc0 .LBB23_107
; %bb.102:
	s_min_u32 s27, s54, 15
	s_add_i32 s27, s27, 1
	s_cmp_eq_u32 s54, 2
	s_cbranch_scc1 .LBB23_108
; %bb.103:
	s_and_b32 s26, s27, 28
	s_add_u32 s2, s34, 0xc4
	s_addc_u32 s3, s35, 0
	v_mov_b32_e32 v17, 0
	s_mov_b32 s28, 0
	s_mov_b64 s[24:25], s[34:35]
	v_mov_b32_e32 v9, 0
	v_mov_b32_e32 v10, v6
.LBB23_104:                             ; =>This Inner Loop Header: Depth=1
	s_load_dwordx8 s[12:19], s[24:25], 0x4
	s_load_dwordx4 s[20:23], s[24:25], 0x24
	s_load_dwordx8 s[4:11], s[2:3], 0x0
	s_add_u32 s24, s24, 48
	s_addc_u32 s25, s25, 0
	s_waitcnt lgkmcnt(0)
	v_mul_hi_u32 v14, s13, v10
	s_add_i32 s28, s28, 4
	s_add_u32 s2, s2, 32
	s_addc_u32 s3, s3, 0
	v_add_u32_e32 v14, v10, v14
	v_lshrrev_b32_e32 v14, s14, v14
	v_mul_lo_u32 v15, v14, s12
	v_mul_hi_u32 v18, s16, v14
	s_cmp_lg_u32 s26, s28
	v_sub_u32_e32 v10, v10, v15
	v_add_u32_e32 v15, v14, v18
	v_mul_lo_u32 v18, v10, s4
	v_mul_lo_u32 v19, v10, s5
	v_lshrrev_b32_e32 v10, s17, v15
	v_mul_lo_u32 v15, v10, s15
	v_mul_hi_u32 v21, s19, v10
	v_sub_u32_e32 v14, v14, v15
	v_add_u32_e32 v15, v10, v21
	v_lshrrev_b32_e32 v15, s20, v15
	v_mul_hi_u32 v22, s22, v15
	v_mul_lo_u32 v23, v15, s18
	v_mul_lo_u32 v21, v14, s6
	;; [unrolled: 1-line block ×3, first 2 shown]
	v_sub_u32_e32 v23, v10, v23
	v_add_u32_e32 v10, v15, v22
	v_lshrrev_b32_e32 v10, s23, v10
	v_mul_lo_u32 v22, v10, s21
	v_mul_lo_u32 v24, v23, s8
	;; [unrolled: 1-line block ×3, first 2 shown]
	v_add3_u32 v9, v18, v9, v21
	v_sub_u32_e32 v15, v15, v22
	v_mul_lo_u32 v22, v15, s10
	v_mul_lo_u32 v15, v15, s11
	v_add3_u32 v14, v19, v17, v14
	v_add3_u32 v9, v24, v9, v22
	;; [unrolled: 1-line block ×3, first 2 shown]
	s_cbranch_scc1 .LBB23_104
; %bb.105:
	s_and_b32 s6, s27, 3
	s_cmp_eq_u32 s6, 0
	s_cbranch_scc0 .LBB23_109
	s_branch .LBB23_111
.LBB23_106:
                                        ; implicit-def: $vgpr9
                                        ; implicit-def: $vgpr17
	s_branch .LBB23_112
.LBB23_107:
	v_mov_b32_e32 v9, 0
	v_mov_b32_e32 v17, 0
	s_branch .LBB23_111
.LBB23_108:
	v_mov_b32_e32 v9, 0
	v_mov_b32_e32 v17, 0
	;; [unrolled: 1-line block ×3, first 2 shown]
	s_and_b32 s6, s27, 3
	s_cmp_eq_u32 s6, 0
	s_cbranch_scc1 .LBB23_111
.LBB23_109:
	s_lshl_b32 s2, s26, 3
	s_add_u32 s2, s34, s2
	s_addc_u32 s3, s35, 0
	s_add_u32 s2, s2, 0xc4
	s_addc_u32 s3, s3, 0
	s_mul_i32 s4, s26, 12
	s_add_u32 s4, s34, s4
	s_addc_u32 s5, s35, 0
.LBB23_110:                             ; =>This Inner Loop Header: Depth=1
	s_load_dwordx2 s[8:9], s[4:5], 0x4
	s_load_dword s7, s[4:5], 0xc
	s_load_dwordx2 s[10:11], s[2:3], 0x0
	s_add_u32 s4, s4, 12
	s_addc_u32 s5, s5, 0
	s_waitcnt lgkmcnt(0)
	v_mul_hi_u32 v14, s9, v10
	s_add_u32 s2, s2, 8
	s_addc_u32 s3, s3, 0
	s_add_i32 s6, s6, -1
	v_add_u32_e32 v14, v10, v14
	v_lshrrev_b32_e32 v14, s7, v14
	v_mul_lo_u32 v15, v14, s8
	s_cmp_lg_u32 s6, 0
	v_sub_u32_e32 v15, v10, v15
	v_mad_u64_u32 v[9:10], s[8:9], v15, s10, v[9:10]
	v_mad_u64_u32 v[17:18], s[8:9], v15, s11, v[17:18]
	v_mov_b32_e32 v10, v14
	s_cbranch_scc1 .LBB23_110
.LBB23_111:
	s_cbranch_execnz .LBB23_114
.LBB23_112:
	s_load_dwordx4 s[4:7], s[34:35], 0x4
	s_load_dwordx2 s[2:3], s[34:35], 0xc4
	s_cmp_lt_u32 s33, 2
	s_waitcnt lgkmcnt(0)
	v_mul_hi_u32 v9, s5, v6
	v_add_u32_e32 v9, v6, v9
	v_lshrrev_b32_e32 v10, s6, v9
	v_mul_lo_u32 v9, v10, s4
	v_sub_u32_e32 v6, v6, v9
	v_mul_lo_u32 v9, v6, s2
	v_mul_lo_u32 v17, v6, s3
	s_cbranch_scc1 .LBB23_114
; %bb.113:
	s_load_dwordx4 s[4:7], s[34:35], 0x10
	s_load_dwordx2 s[2:3], s[34:35], 0xcc
	s_waitcnt lgkmcnt(0)
	v_mul_hi_u32 v6, s5, v10
	v_add_u32_e32 v6, v10, v6
	v_lshrrev_b32_e32 v6, s6, v6
	v_mul_lo_u32 v6, v6, s4
	v_sub_u32_e32 v6, v10, v6
	v_mad_u64_u32 v[9:10], s[4:5], v6, s2, v[9:10]
	v_mad_u64_u32 v[17:18], s[2:3], v6, s3, v[17:18]
.LBB23_114:
	s_and_b64 vcc, exec, s[0:1]
	s_cbranch_vccnz .LBB23_120
; %bb.115:
	s_cmp_lg_u32 s33, 0
	s_waitcnt lgkmcnt(0)
	s_mov_b32 s24, 0
	s_cbranch_scc0 .LBB23_121
; %bb.116:
	s_min_u32 s25, s54, 15
	s_add_i32 s25, s25, 1
	s_cmp_eq_u32 s54, 2
	s_cbranch_scc1 .LBB23_122
; %bb.117:
	s_and_b32 s24, s25, 28
	s_add_u32 s20, s34, 0xc4
	s_addc_u32 s21, s35, 0
	v_mov_b32_e32 v18, 0
	s_mov_b32 s26, 0
	s_mov_b64 s[22:23], s[34:35]
	v_mov_b32_e32 v14, 0
	v_mov_b32_e32 v6, v20
.LBB23_118:                             ; =>This Inner Loop Header: Depth=1
	s_load_dwordx8 s[8:15], s[22:23], 0x4
	s_load_dwordx4 s[16:19], s[22:23], 0x24
	s_load_dwordx8 s[0:7], s[20:21], 0x0
	s_add_u32 s22, s22, 48
	s_addc_u32 s23, s23, 0
	s_waitcnt lgkmcnt(0)
	v_mul_hi_u32 v10, s9, v6
	s_add_i32 s26, s26, 4
	s_add_u32 s20, s20, 32
	s_addc_u32 s21, s21, 0
	v_add_u32_e32 v10, v6, v10
	v_lshrrev_b32_e32 v10, s10, v10
	v_mul_lo_u32 v15, v10, s8
	v_mul_hi_u32 v19, s12, v10
	s_cmp_lg_u32 s24, s26
	v_sub_u32_e32 v6, v6, v15
	v_add_u32_e32 v15, v10, v19
	v_mul_lo_u32 v19, v6, s0
	v_mul_lo_u32 v21, v6, s1
	v_lshrrev_b32_e32 v6, s13, v15
	v_mul_lo_u32 v15, v6, s11
	v_mul_hi_u32 v22, s15, v6
	v_sub_u32_e32 v10, v10, v15
	v_add_u32_e32 v15, v6, v22
	v_lshrrev_b32_e32 v15, s16, v15
	v_mul_hi_u32 v23, s18, v15
	v_mul_lo_u32 v24, v15, s14
	v_mul_lo_u32 v22, v10, s2
	;; [unrolled: 1-line block ×3, first 2 shown]
	v_sub_u32_e32 v24, v6, v24
	v_add_u32_e32 v6, v15, v23
	v_lshrrev_b32_e32 v6, s19, v6
	v_mul_lo_u32 v23, v6, s17
	v_mul_lo_u32 v25, v24, s4
	;; [unrolled: 1-line block ×3, first 2 shown]
	v_add3_u32 v14, v19, v14, v22
	v_sub_u32_e32 v15, v15, v23
	v_mul_lo_u32 v23, v15, s6
	v_mul_lo_u32 v15, v15, s7
	v_add3_u32 v10, v21, v18, v10
	v_add3_u32 v14, v25, v14, v23
	;; [unrolled: 1-line block ×3, first 2 shown]
	s_cbranch_scc1 .LBB23_118
; %bb.119:
	s_and_b32 s4, s25, 3
	s_cmp_eq_u32 s4, 0
	s_cbranch_scc0 .LBB23_123
	s_branch .LBB23_125
.LBB23_120:
                                        ; implicit-def: $vgpr14
                                        ; implicit-def: $vgpr18
	s_branch .LBB23_126
.LBB23_121:
	v_mov_b32_e32 v14, 0
	v_mov_b32_e32 v18, 0
	s_branch .LBB23_125
.LBB23_122:
	v_mov_b32_e32 v14, 0
	v_mov_b32_e32 v18, 0
	;; [unrolled: 1-line block ×3, first 2 shown]
	s_and_b32 s4, s25, 3
	s_cmp_eq_u32 s4, 0
	s_cbranch_scc1 .LBB23_125
.LBB23_123:
	s_lshl_b32 s0, s24, 3
	s_add_u32 s0, s34, s0
	s_addc_u32 s1, s35, 0
	s_add_u32 s0, s0, 0xc4
	s_addc_u32 s1, s1, 0
	s_mul_i32 s2, s24, 12
	s_add_u32 s2, s34, s2
	s_addc_u32 s3, s35, 0
.LBB23_124:                             ; =>This Inner Loop Header: Depth=1
	s_load_dwordx2 s[6:7], s[2:3], 0x4
	s_load_dword s5, s[2:3], 0xc
	s_load_dwordx2 s[8:9], s[0:1], 0x0
	s_add_u32 s2, s2, 12
	s_addc_u32 s3, s3, 0
	s_waitcnt lgkmcnt(0)
	v_mul_hi_u32 v10, s7, v6
	s_add_u32 s0, s0, 8
	s_addc_u32 s1, s1, 0
	s_add_i32 s4, s4, -1
	v_add_u32_e32 v10, v6, v10
	v_lshrrev_b32_e32 v10, s5, v10
	v_mul_lo_u32 v15, v10, s6
	s_cmp_lg_u32 s4, 0
	v_sub_u32_e32 v6, v6, v15
	v_mad_u64_u32 v[14:15], s[6:7], v6, s8, v[14:15]
	v_mad_u64_u32 v[18:19], s[6:7], v6, s9, v[18:19]
	v_mov_b32_e32 v6, v10
	s_cbranch_scc1 .LBB23_124
.LBB23_125:
	s_cbranch_execnz .LBB23_128
.LBB23_126:
	s_load_dwordx4 s[0:3], s[34:35], 0x4
	s_load_dwordx2 s[4:5], s[34:35], 0xc4
	s_cmp_lt_u32 s33, 2
	s_waitcnt lgkmcnt(0)
	v_mul_hi_u32 v6, s1, v20
	v_add_u32_e32 v6, v20, v6
	v_lshrrev_b32_e32 v6, s2, v6
	v_mul_lo_u32 v10, v6, s0
	v_sub_u32_e32 v10, v20, v10
	v_mul_lo_u32 v14, v10, s4
	v_mul_lo_u32 v18, v10, s5
	s_cbranch_scc1 .LBB23_128
; %bb.127:
	s_load_dwordx4 s[0:3], s[34:35], 0x10
	s_load_dwordx2 s[4:5], s[34:35], 0xcc
	s_waitcnt lgkmcnt(0)
	v_mul_hi_u32 v10, s1, v6
	v_add_u32_e32 v10, v6, v10
	v_lshrrev_b32_e32 v10, s2, v10
	v_mul_lo_u32 v10, v10, s0
	v_sub_u32_e32 v6, v6, v10
	v_mad_u64_u32 v[14:15], s[0:1], v6, s4, v[14:15]
	v_mad_u64_u32 v[18:19], s[0:1], v6, s5, v[18:19]
.LBB23_128:
	s_load_dwordx4 s[8:11], s[34:35], 0x148
	s_brev_b32 s0, 18
                                        ; implicit-def: $vgpr10
                                        ; implicit-def: $vgpr15
	s_waitcnt lgkmcnt(0)
	global_load_ushort v6, v7, s[10:11]
	s_waitcnt vmcnt(0)
	v_cvt_f32_f16_e32 v6, v6
	v_and_b32_e32 v7, 0x7fffffff, v6
	v_cmp_nlt_f32_e64 s[0:1], |v6|, s0
	s_and_saveexec_b64 s[2:3], s[0:1]
	s_xor_b64 s[6:7], exec, s[2:3]
	s_cbranch_execz .LBB23_130
; %bb.129:
	v_and_b32_e32 v10, 0x7fffff, v7
	v_or_b32_e32 v10, 0x800000, v10
	s_mov_b32 s0, 0xfe5163ab
	v_mad_u64_u32 v[19:20], s[0:1], v10, s0, 0
	v_mov_b32_e32 v21, 0
	s_mov_b32 s0, 0x3c439041
	v_mad_u64_u32 v[22:23], s[0:1], v10, s0, v[20:21]
	s_mov_b32 s0, 0xdb629599
	v_lshrrev_b32_e32 v15, 23, v7
	v_mov_b32_e32 v20, v23
	v_mad_u64_u32 v[23:24], s[0:1], v10, s0, v[20:21]
	s_mov_b32 s0, 0xf534ddc0
	v_add_u32_e32 v15, 0xffffff88, v15
	v_mov_b32_e32 v20, v24
	v_mad_u64_u32 v[24:25], s[0:1], v10, s0, v[20:21]
	s_mov_b32 s0, 0xfc2757d1
	v_not_b32_e32 v27, 63
	v_mov_b32_e32 v20, v25
	v_mad_u64_u32 v[25:26], s[0:1], v10, s0, v[20:21]
	v_cmp_lt_u32_e32 vcc, 63, v15
	v_cndmask_b32_e32 v20, 0, v27, vcc
	v_add_u32_e32 v15, v20, v15
	v_mov_b32_e32 v20, v26
	s_mov_b32 s0, 0x4e441529
	v_mad_u64_u32 v[26:27], s[0:1], v10, s0, v[20:21]
	v_not_b32_e32 v28, 31
	v_cmp_lt_u32_e64 s[0:1], 31, v15
	v_cndmask_b32_e64 v20, 0, v28, s[0:1]
	v_add_u32_e32 v15, v20, v15
	v_mov_b32_e32 v20, v27
	s_mov_b32 s2, 0xa2f9836e
	v_mad_u64_u32 v[20:21], s[2:3], v10, s2, v[20:21]
	v_cmp_lt_u32_e64 s[2:3], 31, v15
	v_cndmask_b32_e64 v10, 0, v28, s[2:3]
	v_add_u32_e32 v10, v10, v15
	v_cndmask_b32_e32 v15, v26, v24, vcc
	v_cndmask_b32_e32 v20, v20, v25, vcc
	;; [unrolled: 1-line block ×3, first 2 shown]
	v_cndmask_b32_e64 v27, v20, v15, s[0:1]
	v_cndmask_b32_e64 v20, v21, v20, s[0:1]
	v_cndmask_b32_e32 v21, v25, v23, vcc
	v_cndmask_b32_e64 v15, v15, v21, s[0:1]
	v_cndmask_b32_e64 v20, v20, v27, s[2:3]
	;; [unrolled: 1-line block ×3, first 2 shown]
	v_sub_u32_e32 v26, 32, v10
	v_alignbit_b32 v27, v20, v25, v26
	v_cmp_eq_u32_e64 s[4:5], 0, v10
	v_cndmask_b32_e64 v10, v27, v20, s[4:5]
	v_cndmask_b32_e32 v20, v24, v22, vcc
	v_cndmask_b32_e64 v21, v21, v20, s[0:1]
	v_cndmask_b32_e64 v15, v15, v21, s[2:3]
	v_alignbit_b32 v22, v25, v15, v26
	v_cndmask_b32_e32 v19, v23, v19, vcc
	v_cndmask_b32_e64 v22, v22, v25, s[4:5]
	v_bfe_u32 v27, v10, 29, 1
	v_cndmask_b32_e64 v19, v20, v19, s[0:1]
	v_alignbit_b32 v24, v10, v22, 30
	v_sub_u32_e32 v28, 0, v27
	v_cndmask_b32_e64 v19, v21, v19, s[2:3]
	v_xor_b32_e32 v24, v24, v28
	v_alignbit_b32 v20, v15, v19, v26
	v_cndmask_b32_e64 v15, v20, v15, s[4:5]
	v_ffbh_u32_e32 v21, v24
	v_alignbit_b32 v20, v22, v15, 30
	v_min_u32_e32 v21, 32, v21
	v_alignbit_b32 v15, v15, v19, 30
	v_xor_b32_e32 v20, v20, v28
	v_sub_u32_e32 v22, 31, v21
	v_xor_b32_e32 v15, v15, v28
	v_alignbit_b32 v23, v24, v20, v22
	v_alignbit_b32 v15, v20, v15, v22
	;; [unrolled: 1-line block ×3, first 2 shown]
	v_ffbh_u32_e32 v20, v19
	v_min_u32_e32 v20, 32, v20
	v_lshrrev_b32_e32 v25, 29, v10
	v_not_b32_e32 v22, v20
	v_alignbit_b32 v15, v19, v15, v22
	v_lshlrev_b32_e32 v19, 31, v25
	v_or_b32_e32 v22, 0x33000000, v19
	v_add_lshl_u32 v20, v20, v21, 23
	v_lshrrev_b32_e32 v15, 9, v15
	v_sub_u32_e32 v20, v22, v20
	v_or_b32_e32 v19, 0.5, v19
	v_lshlrev_b32_e32 v21, 23, v21
	v_or_b32_e32 v15, v20, v15
	v_lshrrev_b32_e32 v20, 9, v23
	v_sub_u32_e32 v19, v19, v21
	v_or_b32_e32 v19, v20, v19
	s_mov_b32 s0, 0x3fc90fda
	v_mul_f32_e32 v20, 0x3fc90fda, v19
	v_fma_f32 v21, v19, s0, -v20
	v_fmac_f32_e32 v21, 0x33a22168, v19
	v_fmac_f32_e32 v21, 0x3fc90fda, v15
	v_lshrrev_b32_e32 v10, 30, v10
	v_add_f32_e32 v15, v20, v21
	v_add_u32_e32 v10, v27, v10
.LBB23_130:
	s_andn2_saveexec_b64 s[0:1], s[6:7]
	s_cbranch_execz .LBB23_132
; %bb.131:
	s_mov_b32 s2, 0x3f22f983
	v_mul_f32_e64 v10, |v6|, s2
	v_rndne_f32_e32 v19, v10
	s_mov_b32 s2, 0xbfc90fda
	v_cvt_i32_f32_e32 v10, v19
	v_fma_f32 v15, v19, s2, |v6|
	v_fmac_f32_e32 v15, 0xb3a22168, v19
	v_fmac_f32_e32 v15, 0xa7c234c4, v19
.LBB23_132:
	s_or_b64 exec, exec, s[0:1]
	global_load_ushort v8, v8, s[10:11]
	s_brev_b32 s0, 18
                                        ; implicit-def: $vgpr20
                                        ; implicit-def: $vgpr21
	s_waitcnt vmcnt(0)
	v_cvt_f32_f16_e32 v8, v8
	v_and_b32_e32 v19, 0x7fffffff, v8
	v_cmp_nlt_f32_e64 s[0:1], |v8|, s0
	s_and_saveexec_b64 s[2:3], s[0:1]
	s_xor_b64 s[6:7], exec, s[2:3]
	s_cbranch_execz .LBB23_134
; %bb.133:
	v_and_b32_e32 v20, 0x7fffff, v19
	v_or_b32_e32 v29, 0x800000, v20
	s_mov_b32 s0, 0xfe5163ab
	v_mad_u64_u32 v[20:21], s[0:1], v29, s0, 0
	v_mov_b32_e32 v22, 0
	s_mov_b32 s0, 0x3c439041
	v_mad_u64_u32 v[23:24], s[0:1], v29, s0, v[21:22]
	s_mov_b32 s0, 0xdb629599
	v_not_b32_e32 v28, 63
	v_mov_b32_e32 v21, v24
	v_mad_u64_u32 v[24:25], s[0:1], v29, s0, v[21:22]
	s_mov_b32 s0, 0xf534ddc0
	v_not_b32_e32 v31, 31
	v_mov_b32_e32 v21, v25
	v_mad_u64_u32 v[25:26], s[0:1], v29, s0, v[21:22]
	v_lshrrev_b32_e32 v21, 23, v19
	v_add_u32_e32 v30, 0xffffff88, v21
	v_mov_b32_e32 v21, v26
	s_mov_b32 s0, 0xfc2757d1
	v_mad_u64_u32 v[26:27], s[0:1], v29, s0, v[21:22]
	v_cmp_lt_u32_e32 vcc, 63, v30
	v_cndmask_b32_e32 v21, 0, v28, vcc
	v_add_u32_e32 v30, v21, v30
	v_mov_b32_e32 v21, v27
	s_mov_b32 s0, 0x4e441529
	v_mad_u64_u32 v[27:28], s[0:1], v29, s0, v[21:22]
	v_cmp_lt_u32_e64 s[0:1], 31, v30
	v_cndmask_b32_e64 v21, 0, v31, s[0:1]
	v_add_u32_e32 v30, v21, v30
	v_mov_b32_e32 v21, v28
	s_mov_b32 s2, 0xa2f9836e
	v_mad_u64_u32 v[21:22], s[2:3], v29, s2, v[21:22]
	v_cmp_lt_u32_e64 s[2:3], 31, v30
	v_cndmask_b32_e64 v28, 0, v31, s[2:3]
	v_cndmask_b32_e32 v29, v27, v25, vcc
	v_cndmask_b32_e32 v21, v21, v26, vcc
	;; [unrolled: 1-line block ×3, first 2 shown]
	v_add_u32_e32 v28, v28, v30
	v_cndmask_b32_e64 v30, v21, v29, s[0:1]
	v_cndmask_b32_e64 v21, v22, v21, s[0:1]
	v_cndmask_b32_e32 v22, v26, v24, vcc
	v_cndmask_b32_e64 v26, v29, v22, s[0:1]
	v_cndmask_b32_e64 v21, v21, v30, s[2:3]
	;; [unrolled: 1-line block ×3, first 2 shown]
	v_sub_u32_e32 v29, 32, v28
	v_alignbit_b32 v30, v21, v27, v29
	v_cmp_eq_u32_e64 s[4:5], 0, v28
	v_cndmask_b32_e64 v28, v30, v21, s[4:5]
	v_cndmask_b32_e32 v21, v25, v23, vcc
	v_cndmask_b32_e64 v22, v22, v21, s[0:1]
	v_cndmask_b32_e64 v23, v26, v22, s[2:3]
	v_alignbit_b32 v25, v27, v23, v29
	v_cndmask_b32_e32 v20, v24, v20, vcc
	v_cndmask_b32_e64 v25, v25, v27, s[4:5]
	v_bfe_u32 v30, v28, 29, 1
	v_cndmask_b32_e64 v20, v21, v20, s[0:1]
	v_alignbit_b32 v26, v28, v25, 30
	v_sub_u32_e32 v31, 0, v30
	v_cndmask_b32_e64 v20, v22, v20, s[2:3]
	v_xor_b32_e32 v26, v26, v31
	v_alignbit_b32 v21, v23, v20, v29
	v_cndmask_b32_e64 v21, v21, v23, s[4:5]
	v_ffbh_u32_e32 v23, v26
	v_alignbit_b32 v22, v25, v21, 30
	v_min_u32_e32 v23, 32, v23
	v_alignbit_b32 v20, v21, v20, 30
	v_xor_b32_e32 v22, v22, v31
	v_sub_u32_e32 v24, 31, v23
	v_xor_b32_e32 v20, v20, v31
	v_alignbit_b32 v25, v26, v22, v24
	v_alignbit_b32 v20, v22, v20, v24
	;; [unrolled: 1-line block ×3, first 2 shown]
	v_ffbh_u32_e32 v22, v21
	v_min_u32_e32 v22, 32, v22
	v_lshrrev_b32_e32 v27, 29, v28
	v_not_b32_e32 v24, v22
	v_alignbit_b32 v20, v21, v20, v24
	v_lshlrev_b32_e32 v21, 31, v27
	v_or_b32_e32 v24, 0x33000000, v21
	v_add_lshl_u32 v22, v22, v23, 23
	v_lshrrev_b32_e32 v20, 9, v20
	v_sub_u32_e32 v22, v24, v22
	v_or_b32_e32 v21, 0.5, v21
	v_lshlrev_b32_e32 v23, 23, v23
	v_or_b32_e32 v20, v22, v20
	v_lshrrev_b32_e32 v22, 9, v25
	v_sub_u32_e32 v21, v21, v23
	v_or_b32_e32 v21, v22, v21
	s_mov_b32 s0, 0x3fc90fda
	v_mul_f32_e32 v22, 0x3fc90fda, v21
	v_fma_f32 v23, v21, s0, -v22
	v_fmac_f32_e32 v23, 0x33a22168, v21
	v_fmac_f32_e32 v23, 0x3fc90fda, v20
	v_lshrrev_b32_e32 v20, 30, v28
	v_add_f32_e32 v21, v22, v23
	v_add_u32_e32 v20, v30, v20
.LBB23_134:
	s_andn2_saveexec_b64 s[0:1], s[6:7]
	s_cbranch_execz .LBB23_136
; %bb.135:
	s_mov_b32 s2, 0x3f22f983
	v_mul_f32_e64 v20, |v8|, s2
	v_rndne_f32_e32 v22, v20
	s_mov_b32 s2, 0xbfc90fda
	v_cvt_i32_f32_e32 v20, v22
	v_fma_f32 v21, v22, s2, |v8|
	v_fmac_f32_e32 v21, 0xb3a22168, v22
	v_fmac_f32_e32 v21, 0xa7c234c4, v22
.LBB23_136:
	s_or_b64 exec, exec, s[0:1]
	global_load_ushort v11, v11, s[10:11]
	s_brev_b32 s0, 18
                                        ; implicit-def: $vgpr23
                                        ; implicit-def: $vgpr24
	s_waitcnt vmcnt(0)
	v_cvt_f32_f16_e32 v11, v11
	v_and_b32_e32 v22, 0x7fffffff, v11
	v_cmp_nlt_f32_e64 s[0:1], |v11|, s0
	s_and_saveexec_b64 s[2:3], s[0:1]
	s_xor_b64 s[6:7], exec, s[2:3]
	s_cbranch_execz .LBB23_138
; %bb.137:
	v_and_b32_e32 v23, 0x7fffff, v22
	v_or_b32_e32 v32, 0x800000, v23
	s_mov_b32 s0, 0xfe5163ab
	v_mad_u64_u32 v[23:24], s[0:1], v32, s0, 0
	v_mov_b32_e32 v25, 0
	s_mov_b32 s0, 0x3c439041
	v_mad_u64_u32 v[26:27], s[0:1], v32, s0, v[24:25]
	s_mov_b32 s0, 0xdb629599
	v_not_b32_e32 v31, 63
	v_mov_b32_e32 v24, v27
	v_mad_u64_u32 v[27:28], s[0:1], v32, s0, v[24:25]
	s_mov_b32 s0, 0xf534ddc0
	v_not_b32_e32 v34, 31
	v_mov_b32_e32 v24, v28
	v_mad_u64_u32 v[28:29], s[0:1], v32, s0, v[24:25]
	v_lshrrev_b32_e32 v24, 23, v22
	v_add_u32_e32 v33, 0xffffff88, v24
	v_mov_b32_e32 v24, v29
	s_mov_b32 s0, 0xfc2757d1
	v_mad_u64_u32 v[29:30], s[0:1], v32, s0, v[24:25]
	v_cmp_lt_u32_e32 vcc, 63, v33
	v_cndmask_b32_e32 v24, 0, v31, vcc
	v_add_u32_e32 v33, v24, v33
	v_mov_b32_e32 v24, v30
	s_mov_b32 s0, 0x4e441529
	v_mad_u64_u32 v[30:31], s[0:1], v32, s0, v[24:25]
	v_cmp_lt_u32_e64 s[0:1], 31, v33
	v_cndmask_b32_e64 v24, 0, v34, s[0:1]
	v_add_u32_e32 v33, v24, v33
	v_mov_b32_e32 v24, v31
	s_mov_b32 s2, 0xa2f9836e
	v_mad_u64_u32 v[24:25], s[2:3], v32, s2, v[24:25]
	v_cmp_lt_u32_e64 s[2:3], 31, v33
	v_cndmask_b32_e64 v31, 0, v34, s[2:3]
	v_cndmask_b32_e32 v32, v30, v28, vcc
	v_cndmask_b32_e32 v24, v24, v29, vcc
	;; [unrolled: 1-line block ×3, first 2 shown]
	v_add_u32_e32 v31, v31, v33
	v_cndmask_b32_e64 v33, v24, v32, s[0:1]
	v_cndmask_b32_e64 v24, v25, v24, s[0:1]
	v_cndmask_b32_e32 v25, v29, v27, vcc
	v_cndmask_b32_e64 v29, v32, v25, s[0:1]
	v_cndmask_b32_e64 v24, v24, v33, s[2:3]
	;; [unrolled: 1-line block ×3, first 2 shown]
	v_sub_u32_e32 v32, 32, v31
	v_alignbit_b32 v33, v24, v30, v32
	v_cmp_eq_u32_e64 s[4:5], 0, v31
	v_cndmask_b32_e64 v31, v33, v24, s[4:5]
	v_cndmask_b32_e32 v24, v28, v26, vcc
	v_cndmask_b32_e64 v25, v25, v24, s[0:1]
	v_cndmask_b32_e64 v26, v29, v25, s[2:3]
	v_alignbit_b32 v28, v30, v26, v32
	v_cndmask_b32_e32 v23, v27, v23, vcc
	v_cndmask_b32_e64 v28, v28, v30, s[4:5]
	v_bfe_u32 v33, v31, 29, 1
	v_cndmask_b32_e64 v23, v24, v23, s[0:1]
	v_alignbit_b32 v29, v31, v28, 30
	v_sub_u32_e32 v34, 0, v33
	v_cndmask_b32_e64 v23, v25, v23, s[2:3]
	v_xor_b32_e32 v29, v29, v34
	v_alignbit_b32 v24, v26, v23, v32
	v_cndmask_b32_e64 v24, v24, v26, s[4:5]
	v_ffbh_u32_e32 v26, v29
	v_alignbit_b32 v25, v28, v24, 30
	v_min_u32_e32 v26, 32, v26
	v_alignbit_b32 v23, v24, v23, 30
	v_xor_b32_e32 v25, v25, v34
	v_sub_u32_e32 v27, 31, v26
	v_xor_b32_e32 v23, v23, v34
	v_alignbit_b32 v28, v29, v25, v27
	v_alignbit_b32 v23, v25, v23, v27
	v_alignbit_b32 v24, v28, v23, 9
	v_ffbh_u32_e32 v25, v24
	v_min_u32_e32 v25, 32, v25
	v_lshrrev_b32_e32 v30, 29, v31
	v_not_b32_e32 v27, v25
	v_alignbit_b32 v23, v24, v23, v27
	v_lshlrev_b32_e32 v24, 31, v30
	v_or_b32_e32 v27, 0x33000000, v24
	v_add_lshl_u32 v25, v25, v26, 23
	v_lshrrev_b32_e32 v23, 9, v23
	v_sub_u32_e32 v25, v27, v25
	v_or_b32_e32 v24, 0.5, v24
	v_lshlrev_b32_e32 v26, 23, v26
	v_or_b32_e32 v23, v25, v23
	v_lshrrev_b32_e32 v25, 9, v28
	v_sub_u32_e32 v24, v24, v26
	v_or_b32_e32 v24, v25, v24
	s_mov_b32 s0, 0x3fc90fda
	v_mul_f32_e32 v25, 0x3fc90fda, v24
	v_fma_f32 v26, v24, s0, -v25
	v_fmac_f32_e32 v26, 0x33a22168, v24
	v_fmac_f32_e32 v26, 0x3fc90fda, v23
	v_lshrrev_b32_e32 v23, 30, v31
	v_add_f32_e32 v24, v25, v26
	v_add_u32_e32 v23, v33, v23
.LBB23_138:
	s_andn2_saveexec_b64 s[0:1], s[6:7]
	s_cbranch_execz .LBB23_140
; %bb.139:
	s_mov_b32 s2, 0x3f22f983
	v_mul_f32_e64 v23, |v11|, s2
	v_rndne_f32_e32 v25, v23
	s_mov_b32 s2, 0xbfc90fda
	v_cvt_i32_f32_e32 v23, v25
	v_fma_f32 v24, v25, s2, |v11|
	v_fmac_f32_e32 v24, 0xb3a22168, v25
	v_fmac_f32_e32 v24, 0xa7c234c4, v25
.LBB23_140:
	s_or_b64 exec, exec, s[0:1]
	global_load_ushort v12, v12, s[10:11]
	s_brev_b32 s0, 18
                                        ; implicit-def: $vgpr26
                                        ; implicit-def: $vgpr27
	s_waitcnt vmcnt(0)
	v_cvt_f32_f16_e32 v12, v12
	v_and_b32_e32 v25, 0x7fffffff, v12
	v_cmp_nlt_f32_e64 s[0:1], |v12|, s0
	s_and_saveexec_b64 s[2:3], s[0:1]
	s_xor_b64 s[6:7], exec, s[2:3]
	s_cbranch_execz .LBB23_142
; %bb.141:
	v_and_b32_e32 v26, 0x7fffff, v25
	v_or_b32_e32 v35, 0x800000, v26
	s_mov_b32 s0, 0xfe5163ab
	v_mad_u64_u32 v[26:27], s[0:1], v35, s0, 0
	v_mov_b32_e32 v28, 0
	s_mov_b32 s0, 0x3c439041
	v_mad_u64_u32 v[29:30], s[0:1], v35, s0, v[27:28]
	s_mov_b32 s0, 0xdb629599
	v_not_b32_e32 v34, 63
	v_mov_b32_e32 v27, v30
	v_mad_u64_u32 v[30:31], s[0:1], v35, s0, v[27:28]
	s_mov_b32 s0, 0xf534ddc0
	v_not_b32_e32 v37, 31
	v_mov_b32_e32 v27, v31
	v_mad_u64_u32 v[31:32], s[0:1], v35, s0, v[27:28]
	v_lshrrev_b32_e32 v27, 23, v25
	v_add_u32_e32 v36, 0xffffff88, v27
	v_mov_b32_e32 v27, v32
	s_mov_b32 s0, 0xfc2757d1
	v_mad_u64_u32 v[32:33], s[0:1], v35, s0, v[27:28]
	v_cmp_lt_u32_e32 vcc, 63, v36
	v_cndmask_b32_e32 v27, 0, v34, vcc
	v_add_u32_e32 v36, v27, v36
	v_mov_b32_e32 v27, v33
	s_mov_b32 s0, 0x4e441529
	v_mad_u64_u32 v[33:34], s[0:1], v35, s0, v[27:28]
	v_cmp_lt_u32_e64 s[0:1], 31, v36
	v_cndmask_b32_e64 v27, 0, v37, s[0:1]
	v_add_u32_e32 v36, v27, v36
	v_mov_b32_e32 v27, v34
	s_mov_b32 s2, 0xa2f9836e
	v_mad_u64_u32 v[27:28], s[2:3], v35, s2, v[27:28]
	v_cmp_lt_u32_e64 s[2:3], 31, v36
	v_cndmask_b32_e64 v34, 0, v37, s[2:3]
	v_cndmask_b32_e32 v35, v33, v31, vcc
	v_cndmask_b32_e32 v27, v27, v32, vcc
	;; [unrolled: 1-line block ×3, first 2 shown]
	v_add_u32_e32 v34, v34, v36
	v_cndmask_b32_e64 v36, v27, v35, s[0:1]
	v_cndmask_b32_e64 v27, v28, v27, s[0:1]
	v_cndmask_b32_e32 v28, v32, v30, vcc
	v_cndmask_b32_e64 v32, v35, v28, s[0:1]
	v_cndmask_b32_e64 v27, v27, v36, s[2:3]
	;; [unrolled: 1-line block ×3, first 2 shown]
	v_sub_u32_e32 v35, 32, v34
	v_alignbit_b32 v36, v27, v33, v35
	v_cmp_eq_u32_e64 s[4:5], 0, v34
	v_cndmask_b32_e64 v34, v36, v27, s[4:5]
	v_cndmask_b32_e32 v27, v31, v29, vcc
	v_cndmask_b32_e64 v28, v28, v27, s[0:1]
	v_cndmask_b32_e64 v29, v32, v28, s[2:3]
	v_alignbit_b32 v31, v33, v29, v35
	v_cndmask_b32_e32 v26, v30, v26, vcc
	v_cndmask_b32_e64 v31, v31, v33, s[4:5]
	v_bfe_u32 v36, v34, 29, 1
	v_cndmask_b32_e64 v26, v27, v26, s[0:1]
	v_alignbit_b32 v32, v34, v31, 30
	v_sub_u32_e32 v37, 0, v36
	v_cndmask_b32_e64 v26, v28, v26, s[2:3]
	v_xor_b32_e32 v32, v32, v37
	v_alignbit_b32 v27, v29, v26, v35
	v_cndmask_b32_e64 v27, v27, v29, s[4:5]
	v_ffbh_u32_e32 v29, v32
	v_alignbit_b32 v28, v31, v27, 30
	v_min_u32_e32 v29, 32, v29
	v_alignbit_b32 v26, v27, v26, 30
	v_xor_b32_e32 v28, v28, v37
	v_sub_u32_e32 v30, 31, v29
	v_xor_b32_e32 v26, v26, v37
	v_alignbit_b32 v31, v32, v28, v30
	v_alignbit_b32 v26, v28, v26, v30
	;; [unrolled: 1-line block ×3, first 2 shown]
	v_ffbh_u32_e32 v28, v27
	v_min_u32_e32 v28, 32, v28
	v_lshrrev_b32_e32 v33, 29, v34
	v_not_b32_e32 v30, v28
	v_alignbit_b32 v26, v27, v26, v30
	v_lshlrev_b32_e32 v27, 31, v33
	v_or_b32_e32 v30, 0x33000000, v27
	v_add_lshl_u32 v28, v28, v29, 23
	v_lshrrev_b32_e32 v26, 9, v26
	v_sub_u32_e32 v28, v30, v28
	v_or_b32_e32 v27, 0.5, v27
	v_lshlrev_b32_e32 v29, 23, v29
	v_or_b32_e32 v26, v28, v26
	v_lshrrev_b32_e32 v28, 9, v31
	v_sub_u32_e32 v27, v27, v29
	v_or_b32_e32 v27, v28, v27
	s_mov_b32 s0, 0x3fc90fda
	v_mul_f32_e32 v28, 0x3fc90fda, v27
	v_fma_f32 v29, v27, s0, -v28
	v_fmac_f32_e32 v29, 0x33a22168, v27
	v_fmac_f32_e32 v29, 0x3fc90fda, v26
	v_lshrrev_b32_e32 v26, 30, v34
	v_add_f32_e32 v27, v28, v29
	v_add_u32_e32 v26, v36, v26
.LBB23_142:
	s_andn2_saveexec_b64 s[0:1], s[6:7]
	s_cbranch_execz .LBB23_144
; %bb.143:
	s_mov_b32 s2, 0x3f22f983
	v_mul_f32_e64 v26, |v12|, s2
	v_rndne_f32_e32 v28, v26
	s_mov_b32 s2, 0xbfc90fda
	v_cvt_i32_f32_e32 v26, v28
	v_fma_f32 v27, v28, s2, |v12|
	v_fmac_f32_e32 v27, 0xb3a22168, v28
	v_fmac_f32_e32 v27, 0xa7c234c4, v28
.LBB23_144:
	s_or_b64 exec, exec, s[0:1]
	global_load_ushort v13, v13, s[10:11]
	s_brev_b32 s0, 18
                                        ; implicit-def: $vgpr29
                                        ; implicit-def: $vgpr30
	s_waitcnt vmcnt(0)
	v_cvt_f32_f16_e32 v13, v13
	v_and_b32_e32 v28, 0x7fffffff, v13
	v_cmp_nlt_f32_e64 s[0:1], |v13|, s0
	s_and_saveexec_b64 s[2:3], s[0:1]
	s_xor_b64 s[6:7], exec, s[2:3]
	s_cbranch_execz .LBB23_146
; %bb.145:
	v_and_b32_e32 v29, 0x7fffff, v28
	v_or_b32_e32 v38, 0x800000, v29
	s_mov_b32 s0, 0xfe5163ab
	v_mad_u64_u32 v[29:30], s[0:1], v38, s0, 0
	v_mov_b32_e32 v31, 0
	s_mov_b32 s0, 0x3c439041
	v_mad_u64_u32 v[32:33], s[0:1], v38, s0, v[30:31]
	s_mov_b32 s0, 0xdb629599
	v_not_b32_e32 v37, 63
	v_mov_b32_e32 v30, v33
	v_mad_u64_u32 v[33:34], s[0:1], v38, s0, v[30:31]
	s_mov_b32 s0, 0xf534ddc0
	v_not_b32_e32 v40, 31
	v_mov_b32_e32 v30, v34
	v_mad_u64_u32 v[34:35], s[0:1], v38, s0, v[30:31]
	v_lshrrev_b32_e32 v30, 23, v28
	v_add_u32_e32 v39, 0xffffff88, v30
	v_mov_b32_e32 v30, v35
	s_mov_b32 s0, 0xfc2757d1
	v_mad_u64_u32 v[35:36], s[0:1], v38, s0, v[30:31]
	v_cmp_lt_u32_e32 vcc, 63, v39
	v_cndmask_b32_e32 v30, 0, v37, vcc
	v_add_u32_e32 v39, v30, v39
	v_mov_b32_e32 v30, v36
	s_mov_b32 s0, 0x4e441529
	v_mad_u64_u32 v[36:37], s[0:1], v38, s0, v[30:31]
	v_cmp_lt_u32_e64 s[0:1], 31, v39
	v_cndmask_b32_e64 v30, 0, v40, s[0:1]
	v_add_u32_e32 v39, v30, v39
	v_mov_b32_e32 v30, v37
	s_mov_b32 s2, 0xa2f9836e
	v_mad_u64_u32 v[30:31], s[2:3], v38, s2, v[30:31]
	v_cmp_lt_u32_e64 s[2:3], 31, v39
	v_cndmask_b32_e64 v37, 0, v40, s[2:3]
	v_cndmask_b32_e32 v38, v36, v34, vcc
	v_cndmask_b32_e32 v30, v30, v35, vcc
	;; [unrolled: 1-line block ×3, first 2 shown]
	v_add_u32_e32 v37, v37, v39
	v_cndmask_b32_e64 v39, v30, v38, s[0:1]
	v_cndmask_b32_e64 v30, v31, v30, s[0:1]
	v_cndmask_b32_e32 v31, v35, v33, vcc
	v_cndmask_b32_e64 v35, v38, v31, s[0:1]
	v_cndmask_b32_e64 v30, v30, v39, s[2:3]
	;; [unrolled: 1-line block ×3, first 2 shown]
	v_sub_u32_e32 v38, 32, v37
	v_alignbit_b32 v39, v30, v36, v38
	v_cmp_eq_u32_e64 s[4:5], 0, v37
	v_cndmask_b32_e64 v37, v39, v30, s[4:5]
	v_cndmask_b32_e32 v30, v34, v32, vcc
	v_cndmask_b32_e64 v31, v31, v30, s[0:1]
	v_cndmask_b32_e64 v32, v35, v31, s[2:3]
	v_alignbit_b32 v34, v36, v32, v38
	v_cndmask_b32_e32 v29, v33, v29, vcc
	v_cndmask_b32_e64 v34, v34, v36, s[4:5]
	v_bfe_u32 v39, v37, 29, 1
	v_cndmask_b32_e64 v29, v30, v29, s[0:1]
	v_alignbit_b32 v35, v37, v34, 30
	v_sub_u32_e32 v40, 0, v39
	v_cndmask_b32_e64 v29, v31, v29, s[2:3]
	v_xor_b32_e32 v35, v35, v40
	v_alignbit_b32 v30, v32, v29, v38
	v_cndmask_b32_e64 v30, v30, v32, s[4:5]
	v_ffbh_u32_e32 v32, v35
	v_alignbit_b32 v31, v34, v30, 30
	v_min_u32_e32 v32, 32, v32
	v_alignbit_b32 v29, v30, v29, 30
	v_xor_b32_e32 v31, v31, v40
	v_sub_u32_e32 v33, 31, v32
	v_xor_b32_e32 v29, v29, v40
	v_alignbit_b32 v34, v35, v31, v33
	v_alignbit_b32 v29, v31, v29, v33
	;; [unrolled: 1-line block ×3, first 2 shown]
	v_ffbh_u32_e32 v31, v30
	v_min_u32_e32 v31, 32, v31
	v_lshrrev_b32_e32 v36, 29, v37
	v_not_b32_e32 v33, v31
	v_alignbit_b32 v29, v30, v29, v33
	v_lshlrev_b32_e32 v30, 31, v36
	v_or_b32_e32 v33, 0x33000000, v30
	v_add_lshl_u32 v31, v31, v32, 23
	v_lshrrev_b32_e32 v29, 9, v29
	v_sub_u32_e32 v31, v33, v31
	v_or_b32_e32 v30, 0.5, v30
	v_lshlrev_b32_e32 v32, 23, v32
	v_or_b32_e32 v29, v31, v29
	v_lshrrev_b32_e32 v31, 9, v34
	v_sub_u32_e32 v30, v30, v32
	v_or_b32_e32 v30, v31, v30
	s_mov_b32 s0, 0x3fc90fda
	v_mul_f32_e32 v31, 0x3fc90fda, v30
	v_fma_f32 v32, v30, s0, -v31
	v_fmac_f32_e32 v32, 0x33a22168, v30
	v_fmac_f32_e32 v32, 0x3fc90fda, v29
	v_lshrrev_b32_e32 v29, 30, v37
	v_add_f32_e32 v30, v31, v32
	v_add_u32_e32 v29, v39, v29
.LBB23_146:
	s_andn2_saveexec_b64 s[0:1], s[6:7]
	s_cbranch_execz .LBB23_148
; %bb.147:
	s_mov_b32 s2, 0x3f22f983
	v_mul_f32_e64 v29, |v13|, s2
	v_rndne_f32_e32 v31, v29
	s_mov_b32 s2, 0xbfc90fda
	v_cvt_i32_f32_e32 v29, v31
	v_fma_f32 v30, v31, s2, |v13|
	v_fmac_f32_e32 v30, 0xb3a22168, v31
	v_fmac_f32_e32 v30, 0xa7c234c4, v31
.LBB23_148:
	s_or_b64 exec, exec, s[0:1]
	global_load_ushort v16, v16, s[10:11]
	s_brev_b32 s0, 18
                                        ; implicit-def: $vgpr32
                                        ; implicit-def: $vgpr33
	s_waitcnt vmcnt(0)
	v_cvt_f32_f16_e32 v16, v16
	v_and_b32_e32 v31, 0x7fffffff, v16
	v_cmp_nlt_f32_e64 s[0:1], |v16|, s0
	s_and_saveexec_b64 s[2:3], s[0:1]
	s_xor_b64 s[6:7], exec, s[2:3]
	s_cbranch_execz .LBB23_150
; %bb.149:
	v_and_b32_e32 v32, 0x7fffff, v31
	v_or_b32_e32 v41, 0x800000, v32
	s_mov_b32 s0, 0xfe5163ab
	v_mad_u64_u32 v[32:33], s[0:1], v41, s0, 0
	v_mov_b32_e32 v34, 0
	s_mov_b32 s0, 0x3c439041
	v_mad_u64_u32 v[35:36], s[0:1], v41, s0, v[33:34]
	s_mov_b32 s0, 0xdb629599
	v_not_b32_e32 v40, 63
	v_mov_b32_e32 v33, v36
	v_mad_u64_u32 v[36:37], s[0:1], v41, s0, v[33:34]
	s_mov_b32 s0, 0xf534ddc0
	v_not_b32_e32 v43, 31
	v_mov_b32_e32 v33, v37
	v_mad_u64_u32 v[37:38], s[0:1], v41, s0, v[33:34]
	v_lshrrev_b32_e32 v33, 23, v31
	v_add_u32_e32 v42, 0xffffff88, v33
	v_mov_b32_e32 v33, v38
	s_mov_b32 s0, 0xfc2757d1
	v_mad_u64_u32 v[38:39], s[0:1], v41, s0, v[33:34]
	v_cmp_lt_u32_e32 vcc, 63, v42
	v_cndmask_b32_e32 v33, 0, v40, vcc
	v_add_u32_e32 v42, v33, v42
	v_mov_b32_e32 v33, v39
	s_mov_b32 s0, 0x4e441529
	v_mad_u64_u32 v[39:40], s[0:1], v41, s0, v[33:34]
	v_cmp_lt_u32_e64 s[0:1], 31, v42
	v_cndmask_b32_e64 v33, 0, v43, s[0:1]
	v_add_u32_e32 v42, v33, v42
	v_mov_b32_e32 v33, v40
	s_mov_b32 s2, 0xa2f9836e
	v_mad_u64_u32 v[33:34], s[2:3], v41, s2, v[33:34]
	v_cmp_lt_u32_e64 s[2:3], 31, v42
	v_cndmask_b32_e64 v40, 0, v43, s[2:3]
	v_cndmask_b32_e32 v41, v39, v37, vcc
	v_cndmask_b32_e32 v33, v33, v38, vcc
	;; [unrolled: 1-line block ×3, first 2 shown]
	v_add_u32_e32 v40, v40, v42
	v_cndmask_b32_e64 v42, v33, v41, s[0:1]
	v_cndmask_b32_e64 v33, v34, v33, s[0:1]
	v_cndmask_b32_e32 v34, v38, v36, vcc
	v_cndmask_b32_e64 v38, v41, v34, s[0:1]
	v_cndmask_b32_e64 v33, v33, v42, s[2:3]
	;; [unrolled: 1-line block ×3, first 2 shown]
	v_sub_u32_e32 v41, 32, v40
	v_alignbit_b32 v42, v33, v39, v41
	v_cmp_eq_u32_e64 s[4:5], 0, v40
	v_cndmask_b32_e64 v40, v42, v33, s[4:5]
	v_cndmask_b32_e32 v33, v37, v35, vcc
	v_cndmask_b32_e64 v34, v34, v33, s[0:1]
	v_cndmask_b32_e64 v35, v38, v34, s[2:3]
	v_alignbit_b32 v37, v39, v35, v41
	v_cndmask_b32_e32 v32, v36, v32, vcc
	v_cndmask_b32_e64 v37, v37, v39, s[4:5]
	v_bfe_u32 v42, v40, 29, 1
	v_cndmask_b32_e64 v32, v33, v32, s[0:1]
	v_alignbit_b32 v38, v40, v37, 30
	v_sub_u32_e32 v43, 0, v42
	v_cndmask_b32_e64 v32, v34, v32, s[2:3]
	v_xor_b32_e32 v38, v38, v43
	v_alignbit_b32 v33, v35, v32, v41
	v_cndmask_b32_e64 v33, v33, v35, s[4:5]
	v_ffbh_u32_e32 v35, v38
	v_alignbit_b32 v34, v37, v33, 30
	v_min_u32_e32 v35, 32, v35
	v_alignbit_b32 v32, v33, v32, 30
	v_xor_b32_e32 v34, v34, v43
	v_sub_u32_e32 v36, 31, v35
	v_xor_b32_e32 v32, v32, v43
	v_alignbit_b32 v37, v38, v34, v36
	v_alignbit_b32 v32, v34, v32, v36
	;; [unrolled: 1-line block ×3, first 2 shown]
	v_ffbh_u32_e32 v34, v33
	v_min_u32_e32 v34, 32, v34
	v_lshrrev_b32_e32 v39, 29, v40
	v_not_b32_e32 v36, v34
	v_alignbit_b32 v32, v33, v32, v36
	v_lshlrev_b32_e32 v33, 31, v39
	v_or_b32_e32 v36, 0x33000000, v33
	v_add_lshl_u32 v34, v34, v35, 23
	v_lshrrev_b32_e32 v32, 9, v32
	v_sub_u32_e32 v34, v36, v34
	v_or_b32_e32 v33, 0.5, v33
	v_lshlrev_b32_e32 v35, 23, v35
	v_or_b32_e32 v32, v34, v32
	v_lshrrev_b32_e32 v34, 9, v37
	v_sub_u32_e32 v33, v33, v35
	v_or_b32_e32 v33, v34, v33
	s_mov_b32 s0, 0x3fc90fda
	v_mul_f32_e32 v34, 0x3fc90fda, v33
	v_fma_f32 v35, v33, s0, -v34
	v_fmac_f32_e32 v35, 0x33a22168, v33
	v_fmac_f32_e32 v35, 0x3fc90fda, v32
	v_lshrrev_b32_e32 v32, 30, v40
	v_add_f32_e32 v33, v34, v35
	v_add_u32_e32 v32, v42, v32
.LBB23_150:
	s_andn2_saveexec_b64 s[0:1], s[6:7]
	s_cbranch_execz .LBB23_152
; %bb.151:
	s_mov_b32 s2, 0x3f22f983
	v_mul_f32_e64 v32, |v16|, s2
	v_rndne_f32_e32 v34, v32
	s_mov_b32 s2, 0xbfc90fda
	v_cvt_i32_f32_e32 v32, v34
	v_fma_f32 v33, v34, s2, |v16|
	v_fmac_f32_e32 v33, 0xb3a22168, v34
	v_fmac_f32_e32 v33, 0xa7c234c4, v34
.LBB23_152:
	s_or_b64 exec, exec, s[0:1]
	global_load_ushort v17, v17, s[10:11]
	s_brev_b32 s0, 18
                                        ; implicit-def: $vgpr36
                                        ; implicit-def: $vgpr37
	s_waitcnt vmcnt(0)
	v_cvt_f32_f16_e32 v17, v17
	v_and_b32_e32 v34, 0x7fffffff, v17
	v_cmp_nlt_f32_e64 s[0:1], |v17|, s0
	s_and_saveexec_b64 s[2:3], s[0:1]
	s_xor_b64 s[6:7], exec, s[2:3]
	s_cbranch_execz .LBB23_154
; %bb.153:
	v_and_b32_e32 v35, 0x7fffff, v34
	v_or_b32_e32 v44, 0x800000, v35
	s_mov_b32 s0, 0xfe5163ab
	v_mad_u64_u32 v[35:36], s[0:1], v44, s0, 0
	v_mov_b32_e32 v37, 0
	s_mov_b32 s0, 0x3c439041
	v_mad_u64_u32 v[38:39], s[0:1], v44, s0, v[36:37]
	s_mov_b32 s0, 0xdb629599
	v_not_b32_e32 v43, 63
	v_mov_b32_e32 v36, v39
	v_mad_u64_u32 v[39:40], s[0:1], v44, s0, v[36:37]
	s_mov_b32 s0, 0xf534ddc0
	v_not_b32_e32 v46, 31
	v_mov_b32_e32 v36, v40
	v_mad_u64_u32 v[40:41], s[0:1], v44, s0, v[36:37]
	v_lshrrev_b32_e32 v36, 23, v34
	v_add_u32_e32 v45, 0xffffff88, v36
	v_mov_b32_e32 v36, v41
	s_mov_b32 s0, 0xfc2757d1
	v_mad_u64_u32 v[41:42], s[0:1], v44, s0, v[36:37]
	v_cmp_lt_u32_e32 vcc, 63, v45
	v_cndmask_b32_e32 v36, 0, v43, vcc
	v_add_u32_e32 v45, v36, v45
	v_mov_b32_e32 v36, v42
	s_mov_b32 s0, 0x4e441529
	v_mad_u64_u32 v[42:43], s[0:1], v44, s0, v[36:37]
	v_cmp_lt_u32_e64 s[0:1], 31, v45
	v_cndmask_b32_e64 v36, 0, v46, s[0:1]
	v_add_u32_e32 v45, v36, v45
	v_mov_b32_e32 v36, v43
	s_mov_b32 s2, 0xa2f9836e
	v_mad_u64_u32 v[36:37], s[2:3], v44, s2, v[36:37]
	v_cmp_lt_u32_e64 s[2:3], 31, v45
	v_cndmask_b32_e64 v43, 0, v46, s[2:3]
	v_cndmask_b32_e32 v44, v42, v40, vcc
	v_cndmask_b32_e32 v36, v36, v41, vcc
	;; [unrolled: 1-line block ×3, first 2 shown]
	v_add_u32_e32 v43, v43, v45
	v_cndmask_b32_e64 v45, v36, v44, s[0:1]
	v_cndmask_b32_e64 v36, v37, v36, s[0:1]
	v_cndmask_b32_e32 v37, v41, v39, vcc
	v_cndmask_b32_e64 v41, v44, v37, s[0:1]
	v_cndmask_b32_e32 v38, v40, v38, vcc
	v_cndmask_b32_e64 v36, v36, v45, s[2:3]
	v_cndmask_b32_e64 v42, v45, v41, s[2:3]
	v_sub_u32_e32 v44, 32, v43
	v_cndmask_b32_e64 v37, v37, v38, s[0:1]
	v_alignbit_b32 v45, v36, v42, v44
	v_cmp_eq_u32_e64 s[4:5], 0, v43
	v_cndmask_b32_e64 v40, v41, v37, s[2:3]
	v_cndmask_b32_e64 v36, v45, v36, s[4:5]
	v_alignbit_b32 v41, v42, v40, v44
	v_cndmask_b32_e32 v35, v39, v35, vcc
	v_cndmask_b32_e64 v41, v41, v42, s[4:5]
	v_bfe_u32 v45, v36, 29, 1
	v_cndmask_b32_e64 v35, v38, v35, s[0:1]
	v_alignbit_b32 v42, v36, v41, 30
	v_sub_u32_e32 v46, 0, v45
	v_cndmask_b32_e64 v35, v37, v35, s[2:3]
	v_xor_b32_e32 v42, v42, v46
	v_alignbit_b32 v37, v40, v35, v44
	v_cndmask_b32_e64 v37, v37, v40, s[4:5]
	v_ffbh_u32_e32 v39, v42
	v_alignbit_b32 v38, v41, v37, 30
	v_min_u32_e32 v39, 32, v39
	v_alignbit_b32 v35, v37, v35, 30
	v_xor_b32_e32 v38, v38, v46
	v_sub_u32_e32 v40, 31, v39
	v_xor_b32_e32 v35, v35, v46
	v_alignbit_b32 v41, v42, v38, v40
	v_alignbit_b32 v35, v38, v35, v40
	;; [unrolled: 1-line block ×3, first 2 shown]
	v_ffbh_u32_e32 v38, v37
	v_min_u32_e32 v38, 32, v38
	v_lshrrev_b32_e32 v43, 29, v36
	v_not_b32_e32 v40, v38
	v_alignbit_b32 v35, v37, v35, v40
	v_lshlrev_b32_e32 v37, 31, v43
	v_or_b32_e32 v40, 0x33000000, v37
	v_add_lshl_u32 v38, v38, v39, 23
	v_lshrrev_b32_e32 v35, 9, v35
	v_sub_u32_e32 v38, v40, v38
	v_or_b32_e32 v37, 0.5, v37
	v_lshlrev_b32_e32 v39, 23, v39
	v_or_b32_e32 v35, v38, v35
	v_lshrrev_b32_e32 v38, 9, v41
	v_sub_u32_e32 v37, v37, v39
	v_or_b32_e32 v37, v38, v37
	s_mov_b32 s0, 0x3fc90fda
	v_mul_f32_e32 v38, 0x3fc90fda, v37
	v_fma_f32 v39, v37, s0, -v38
	v_fmac_f32_e32 v39, 0x33a22168, v37
	v_fmac_f32_e32 v39, 0x3fc90fda, v35
	v_lshrrev_b32_e32 v35, 30, v36
	v_add_f32_e32 v37, v38, v39
	v_add_u32_e32 v36, v45, v35
.LBB23_154:
	s_andn2_saveexec_b64 s[0:1], s[6:7]
	s_cbranch_execz .LBB23_156
; %bb.155:
	s_mov_b32 s2, 0x3f22f983
	v_mul_f32_e64 v35, |v17|, s2
	v_rndne_f32_e32 v35, v35
	s_mov_b32 s2, 0xbfc90fda
	v_cvt_i32_f32_e32 v36, v35
	v_fma_f32 v37, v35, s2, |v17|
	v_fmac_f32_e32 v37, 0xb3a22168, v35
	v_fmac_f32_e32 v37, 0xa7c234c4, v35
.LBB23_156:
	s_or_b64 exec, exec, s[0:1]
	global_load_ushort v18, v18, s[10:11]
	s_brev_b32 s0, 18
                                        ; implicit-def: $vgpr38
                                        ; implicit-def: $vgpr39
	s_waitcnt vmcnt(0)
	v_cvt_f32_f16_e32 v18, v18
	v_and_b32_e32 v35, 0x7fffffff, v18
	v_cmp_nlt_f32_e64 s[0:1], |v18|, s0
	s_and_saveexec_b64 s[2:3], s[0:1]
	s_xor_b64 s[6:7], exec, s[2:3]
	s_cbranch_execz .LBB23_158
; %bb.157:
	v_and_b32_e32 v38, 0x7fffff, v35
	v_or_b32_e32 v47, 0x800000, v38
	s_mov_b32 s0, 0xfe5163ab
	v_mad_u64_u32 v[38:39], s[0:1], v47, s0, 0
	v_mov_b32_e32 v40, 0
	s_mov_b32 s0, 0x3c439041
	v_mad_u64_u32 v[41:42], s[0:1], v47, s0, v[39:40]
	s_mov_b32 s0, 0xdb629599
	v_not_b32_e32 v46, 63
	v_mov_b32_e32 v39, v42
	v_mad_u64_u32 v[42:43], s[0:1], v47, s0, v[39:40]
	s_mov_b32 s0, 0xf534ddc0
	v_not_b32_e32 v49, 31
	v_mov_b32_e32 v39, v43
	v_mad_u64_u32 v[43:44], s[0:1], v47, s0, v[39:40]
	v_lshrrev_b32_e32 v39, 23, v35
	v_add_u32_e32 v48, 0xffffff88, v39
	v_mov_b32_e32 v39, v44
	s_mov_b32 s0, 0xfc2757d1
	v_mad_u64_u32 v[44:45], s[0:1], v47, s0, v[39:40]
	v_cmp_lt_u32_e32 vcc, 63, v48
	v_cndmask_b32_e32 v39, 0, v46, vcc
	v_add_u32_e32 v48, v39, v48
	v_mov_b32_e32 v39, v45
	s_mov_b32 s0, 0x4e441529
	v_mad_u64_u32 v[45:46], s[0:1], v47, s0, v[39:40]
	v_cmp_lt_u32_e64 s[0:1], 31, v48
	v_cndmask_b32_e64 v39, 0, v49, s[0:1]
	v_add_u32_e32 v48, v39, v48
	v_mov_b32_e32 v39, v46
	s_mov_b32 s2, 0xa2f9836e
	v_mad_u64_u32 v[39:40], s[2:3], v47, s2, v[39:40]
	v_cmp_lt_u32_e64 s[2:3], 31, v48
	v_cndmask_b32_e64 v46, 0, v49, s[2:3]
	v_cndmask_b32_e32 v47, v45, v43, vcc
	v_cndmask_b32_e32 v39, v39, v44, vcc
	;; [unrolled: 1-line block ×3, first 2 shown]
	v_add_u32_e32 v46, v46, v48
	v_cndmask_b32_e64 v48, v39, v47, s[0:1]
	v_cndmask_b32_e64 v39, v40, v39, s[0:1]
	v_cndmask_b32_e32 v40, v44, v42, vcc
	v_cndmask_b32_e64 v44, v47, v40, s[0:1]
	v_cndmask_b32_e64 v39, v39, v48, s[2:3]
	;; [unrolled: 1-line block ×3, first 2 shown]
	v_sub_u32_e32 v47, 32, v46
	v_alignbit_b32 v48, v39, v45, v47
	v_cmp_eq_u32_e64 s[4:5], 0, v46
	v_cndmask_b32_e64 v46, v48, v39, s[4:5]
	v_cndmask_b32_e32 v39, v43, v41, vcc
	v_cndmask_b32_e64 v40, v40, v39, s[0:1]
	v_cndmask_b32_e64 v41, v44, v40, s[2:3]
	v_alignbit_b32 v43, v45, v41, v47
	v_cndmask_b32_e32 v38, v42, v38, vcc
	v_cndmask_b32_e64 v43, v43, v45, s[4:5]
	v_bfe_u32 v48, v46, 29, 1
	v_cndmask_b32_e64 v38, v39, v38, s[0:1]
	v_alignbit_b32 v44, v46, v43, 30
	v_sub_u32_e32 v49, 0, v48
	v_cndmask_b32_e64 v38, v40, v38, s[2:3]
	v_xor_b32_e32 v44, v44, v49
	v_alignbit_b32 v39, v41, v38, v47
	v_cndmask_b32_e64 v39, v39, v41, s[4:5]
	v_ffbh_u32_e32 v41, v44
	v_alignbit_b32 v40, v43, v39, 30
	v_min_u32_e32 v41, 32, v41
	v_alignbit_b32 v38, v39, v38, 30
	v_xor_b32_e32 v40, v40, v49
	v_sub_u32_e32 v42, 31, v41
	v_xor_b32_e32 v38, v38, v49
	v_alignbit_b32 v43, v44, v40, v42
	v_alignbit_b32 v38, v40, v38, v42
	;; [unrolled: 1-line block ×3, first 2 shown]
	v_ffbh_u32_e32 v40, v39
	v_min_u32_e32 v40, 32, v40
	v_lshrrev_b32_e32 v45, 29, v46
	v_not_b32_e32 v42, v40
	v_alignbit_b32 v38, v39, v38, v42
	v_lshlrev_b32_e32 v39, 31, v45
	v_or_b32_e32 v42, 0x33000000, v39
	v_add_lshl_u32 v40, v40, v41, 23
	v_lshrrev_b32_e32 v38, 9, v38
	v_sub_u32_e32 v40, v42, v40
	v_or_b32_e32 v39, 0.5, v39
	v_lshlrev_b32_e32 v41, 23, v41
	v_or_b32_e32 v38, v40, v38
	v_lshrrev_b32_e32 v40, 9, v43
	v_sub_u32_e32 v39, v39, v41
	v_or_b32_e32 v39, v40, v39
	s_mov_b32 s0, 0x3fc90fda
	v_mul_f32_e32 v40, 0x3fc90fda, v39
	v_fma_f32 v41, v39, s0, -v40
	v_fmac_f32_e32 v41, 0x33a22168, v39
	v_fmac_f32_e32 v41, 0x3fc90fda, v38
	v_lshrrev_b32_e32 v38, 30, v46
	v_add_f32_e32 v39, v40, v41
	v_add_u32_e32 v38, v48, v38
.LBB23_158:
	s_andn2_saveexec_b64 s[0:1], s[6:7]
	s_cbranch_execz .LBB23_160
; %bb.159:
	s_mov_b32 s2, 0x3f22f983
	v_mul_f32_e64 v38, |v18|, s2
	v_rndne_f32_e32 v40, v38
	s_mov_b32 s2, 0xbfc90fda
	v_cvt_i32_f32_e32 v38, v40
	v_fma_f32 v39, v40, s2, |v18|
	v_fmac_f32_e32 v39, 0xb3a22168, v40
	v_fmac_f32_e32 v39, 0xa7c234c4, v40
.LBB23_160:
	s_or_b64 exec, exec, s[0:1]
	v_mul_f32_e32 v45, v37, v37
	v_mov_b32_e32 v44, 0xbab64f3b
	v_mov_b32_e32 v41, 0x3c0881c4
	v_fmac_f32_e32 v44, 0x37d75334, v45
	v_mov_b32_e32 v43, 0x3d2aabf7
	v_fmac_f32_e32 v41, 0xb94c1982, v45
	v_mov_b32_e32 v42, 0xbe2aaa9d
	v_fma_f32 v46, v45, v44, v43
	v_mov_b32_e32 v44, 0xbf000004
	v_fma_f32 v41, v45, v41, v42
	v_fma_f32 v46, v45, v46, v44
	v_mul_f32_e32 v41, v45, v41
	v_fma_f32 v45, v45, v46, 1.0
	v_and_b32_e32 v46, 1, v36
	v_lshlrev_b32_e32 v36, 30, v36
	v_fmac_f32_e32 v37, v37, v41
	v_cmp_eq_u32_e32 vcc, 0, v46
	v_and_b32_e32 v36, 0x80000000, v36
	v_xor_b32_e32 v34, v34, v17
	v_cndmask_b32_e32 v37, v45, v37, vcc
	v_xor_b32_e32 v34, v34, v36
	s_movk_i32 s0, 0x1f8
	v_xor_b32_e32 v36, v34, v37
	v_mov_b32_e32 v34, 0x7fc00000
	v_cmp_class_f32_e64 vcc, v17, s0
	v_cndmask_b32_e32 v17, v34, v36, vcc
	v_mul_f32_e32 v36, v33, v33
	v_mov_b32_e32 v37, 0x3c0881c4
	v_fmac_f32_e32 v37, 0xb94c1982, v36
	v_fma_f32 v37, v36, v37, v42
	v_mul_f32_e32 v37, v36, v37
	v_fmac_f32_e32 v33, v33, v37
	v_mov_b32_e32 v37, 0xbab64f3b
	v_fmac_f32_e32 v37, 0x37d75334, v36
	v_fma_f32 v37, v36, v37, v43
	v_fma_f32 v37, v36, v37, v44
	v_fma_f32 v36, v36, v37, 1.0
	v_and_b32_e32 v37, 1, v32
	v_lshlrev_b32_e32 v32, 30, v32
	v_cmp_eq_u32_e32 vcc, 0, v37
	v_and_b32_e32 v32, 0x80000000, v32
	v_xor_b32_e32 v31, v31, v16
	v_cndmask_b32_e32 v33, v36, v33, vcc
	v_xor_b32_e32 v31, v31, v32
	v_xor_b32_e32 v31, v31, v33
	v_cmp_class_f32_e64 vcc, v16, s0
	v_cndmask_b32_e32 v16, v34, v31, vcc
	v_mul_f32_e32 v31, v30, v30
	v_mov_b32_e32 v32, 0x3c0881c4
	v_fmac_f32_e32 v32, 0xb94c1982, v31
	v_fma_f32 v32, v31, v32, v42
	v_mul_f32_e32 v32, v31, v32
	v_fmac_f32_e32 v30, v30, v32
	v_mov_b32_e32 v32, 0xbab64f3b
	v_fmac_f32_e32 v32, 0x37d75334, v31
	v_fma_f32 v32, v31, v32, v43
	v_fma_f32 v32, v31, v32, v44
	v_fma_f32 v31, v31, v32, 1.0
	v_and_b32_e32 v32, 1, v29
	v_lshlrev_b32_e32 v29, 30, v29
	v_cmp_eq_u32_e32 vcc, 0, v32
	v_and_b32_e32 v29, 0x80000000, v29
	v_xor_b32_e32 v28, v28, v13
	v_cndmask_b32_e32 v30, v31, v30, vcc
	v_xor_b32_e32 v28, v28, v29
	v_xor_b32_e32 v28, v28, v30
	;; [unrolled: 21-line block ×6, first 2 shown]
	v_cmp_class_f32_e64 vcc, v6, s0
	v_mov_b32_e32 v40, 0x3c0881c4
	v_cndmask_b32_e32 v6, v34, v7, vcc
	v_mul_f32_e32 v7, v39, v39
	v_fmac_f32_e32 v40, 0xb94c1982, v7
	v_mov_b32_e32 v41, 0xbab64f3b
	v_fmac_f32_e32 v42, v7, v40
	v_mul_f32_e32 v10, v7, v42
	v_fmac_f32_e32 v41, 0x37d75334, v7
	v_fmac_f32_e32 v39, v39, v10
	;; [unrolled: 1-line block ×3, first 2 shown]
	v_and_b32_e32 v10, 1, v38
	v_fmac_f32_e32 v44, v7, v43
	v_cmp_eq_u32_e32 vcc, 0, v10
	v_lshlrev_b32_e32 v10, 30, v38
	v_cvt_f16_f32_e32 v6, v6
	v_fma_f32 v7, v7, v44, 1.0
	v_and_b32_e32 v10, 0x80000000, v10
	v_xor_b32_e32 v15, v35, v18
	v_cvt_f16_f32_e32 v8, v8
	v_cndmask_b32_e32 v7, v7, v39, vcc
	v_xor_b32_e32 v10, v15, v10
	v_cvt_f16_f32_e32 v11, v11
	v_xor_b32_e32 v7, v10, v7
	v_cmp_class_f32_e64 vcc, v18, s0
	v_cvt_f16_f32_e32 v12, v12
	v_cndmask_b32_e32 v7, v34, v7, vcc
	v_cvt_f16_f32_e32 v17, v17
	v_cvt_f16_f32_e32 v16, v16
	;; [unrolled: 1-line block ×4, first 2 shown]
	global_store_short v0, v6, s[8:9]
	global_store_short v1, v8, s[8:9]
	;; [unrolled: 1-line block ×8, first 2 shown]
	s_endpgm
.LBB23_161:
	v_mov_b32_e32 v0, 0
	v_mov_b32_e32 v2, 0
	s_branch .LBB23_167
.LBB23_162:
	v_mov_b32_e32 v0, 0
	v_mov_b32_e32 v2, 0
	s_branch .LBB23_187
.LBB23_163:
	s_mov_b32 s57, 0
	v_mov_b32_e32 v0, 0
	v_mov_b32_e32 v2, 0
	;; [unrolled: 1-line block ×3, first 2 shown]
.LBB23_164:
	s_and_b32 s4, s58, 3
	s_cmp_eq_u32 s4, 0
	s_cbranch_scc1 .LBB23_167
; %bb.165:
	s_lshl_b32 s0, s57, 3
	s_add_u32 s0, s34, s0
	s_addc_u32 s1, s35, 0
	s_add_u32 s0, s0, 0xc4
	s_addc_u32 s1, s1, 0
	s_mul_i32 s2, s57, 12
	s_add_u32 s2, s34, s2
	s_addc_u32 s3, s35, 0
.LBB23_166:                             ; =>This Inner Loop Header: Depth=1
	s_load_dwordx2 s[6:7], s[2:3], 0x4
	s_load_dword s5, s[2:3], 0xc
	s_load_dwordx2 s[8:9], s[0:1], 0x0
	s_add_u32 s2, s2, 12
	s_addc_u32 s3, s3, 0
	s_waitcnt lgkmcnt(0)
	v_mul_hi_u32 v3, s7, v1
	s_add_u32 s0, s0, 8
	s_addc_u32 s1, s1, 0
	s_add_i32 s4, s4, -1
	v_add_u32_e32 v3, v1, v3
	v_lshrrev_b32_e32 v4, s5, v3
	v_mul_lo_u32 v3, v4, s6
	s_cmp_lg_u32 s4, 0
	v_sub_u32_e32 v3, v1, v3
	v_mad_u64_u32 v[0:1], s[6:7], v3, s8, v[0:1]
	v_mad_u64_u32 v[2:3], s[6:7], v3, s9, v[2:3]
	v_mov_b32_e32 v1, v4
	s_cbranch_scc1 .LBB23_166
.LBB23_167:
	s_cbranch_execnz .LBB23_170
.LBB23_168:
	s_waitcnt lgkmcnt(0)
	v_mul_hi_u32 v0, s25, v10
	s_andn2_b64 vcc, exec, s[42:43]
	v_add_u32_e32 v0, v10, v0
	v_lshrrev_b32_e32 v1, s26, v0
	v_mul_lo_u32 v0, v1, s24
	v_sub_u32_e32 v2, v10, v0
	v_mul_lo_u32 v0, v2, s20
	v_mul_lo_u32 v2, v2, s21
	s_cbranch_vccnz .LBB23_170
; %bb.169:
	v_mul_hi_u32 v3, s40, v1
	v_add_u32_e32 v3, v1, v3
	v_lshrrev_b32_e32 v3, s41, v3
	v_mul_lo_u32 v3, v3, s27
	v_sub_u32_e32 v3, v1, v3
	v_mad_u64_u32 v[0:1], s[0:1], v3, s22, v[0:1]
	v_mad_u64_u32 v[2:3], s[0:1], v3, s23, v[2:3]
.LBB23_170:
	s_waitcnt lgkmcnt(0)
	global_load_ushort v1, v2, s[18:19]
	s_brev_b32 s0, 18
                                        ; implicit-def: $vgpr3
                                        ; implicit-def: $vgpr4
	s_waitcnt vmcnt(0)
	v_cvt_f32_f16_e32 v1, v1
	v_and_b32_e32 v2, 0x7fffffff, v1
	v_cmp_nlt_f32_e64 s[0:1], |v1|, s0
	s_and_saveexec_b64 s[2:3], s[0:1]
	s_xor_b64 s[6:7], exec, s[2:3]
	s_cbranch_execz .LBB23_172
; %bb.171:
	v_and_b32_e32 v3, 0x7fffff, v2
	v_or_b32_e32 v14, 0x800000, v3
	s_mov_b32 s0, 0xfe5163ab
	v_mad_u64_u32 v[3:4], s[0:1], v14, s0, 0
	v_mov_b32_e32 v5, 0
	s_mov_b32 s0, 0x3c439041
	v_mad_u64_u32 v[6:7], s[0:1], v14, s0, v[4:5]
	s_mov_b32 s0, 0xdb629599
	v_not_b32_e32 v13, 63
	v_mov_b32_e32 v4, v7
	v_mad_u64_u32 v[7:8], s[0:1], v14, s0, v[4:5]
	s_mov_b32 s0, 0xf534ddc0
	s_mov_b32 s2, 0xa2f9836e
	v_mov_b32_e32 v4, v8
	v_mad_u64_u32 v[8:9], s[0:1], v14, s0, v[4:5]
	v_lshrrev_b32_e32 v4, 23, v2
	v_add_u32_e32 v15, 0xffffff88, v4
	v_mov_b32_e32 v4, v9
	s_mov_b32 s0, 0xfc2757d1
	v_mad_u64_u32 v[11:12], s[0:1], v14, s0, v[4:5]
	v_cmp_lt_u32_e32 vcc, 63, v15
	v_cndmask_b32_e32 v4, 0, v13, vcc
	v_add_u32_e32 v9, v4, v15
	v_mov_b32_e32 v4, v12
	s_mov_b32 s0, 0x4e441529
	v_mad_u64_u32 v[12:13], s[0:1], v14, s0, v[4:5]
	v_not_b32_e32 v15, 31
	v_cmp_lt_u32_e64 s[0:1], 31, v9
	v_cndmask_b32_e64 v4, 0, v15, s[0:1]
	v_add_u32_e32 v9, v4, v9
	v_mov_b32_e32 v4, v13
	v_mad_u64_u32 v[4:5], s[2:3], v14, s2, v[4:5]
	v_cmp_lt_u32_e64 s[2:3], 31, v9
	v_cndmask_b32_e64 v13, 0, v15, s[2:3]
	v_add_u32_e32 v9, v13, v9
	v_cndmask_b32_e32 v13, v12, v8, vcc
	v_cndmask_b32_e32 v4, v4, v11, vcc
	v_cndmask_b32_e32 v5, v5, v12, vcc
	v_cndmask_b32_e64 v14, v4, v13, s[0:1]
	v_cndmask_b32_e64 v4, v5, v4, s[0:1]
	v_cndmask_b32_e32 v5, v11, v7, vcc
	v_cndmask_b32_e64 v11, v13, v5, s[0:1]
	v_cndmask_b32_e64 v4, v4, v14, s[2:3]
	;; [unrolled: 1-line block ×3, first 2 shown]
	v_sub_u32_e32 v13, 32, v9
	v_alignbit_b32 v14, v4, v12, v13
	v_cmp_eq_u32_e64 s[4:5], 0, v9
	v_cndmask_b32_e64 v9, v14, v4, s[4:5]
	v_cndmask_b32_e32 v4, v8, v6, vcc
	v_cndmask_b32_e64 v5, v5, v4, s[0:1]
	v_cndmask_b32_e64 v6, v11, v5, s[2:3]
	v_alignbit_b32 v8, v12, v6, v13
	v_cndmask_b32_e32 v3, v7, v3, vcc
	v_cndmask_b32_e64 v8, v8, v12, s[4:5]
	v_bfe_u32 v14, v9, 29, 1
	v_cndmask_b32_e64 v3, v4, v3, s[0:1]
	v_alignbit_b32 v11, v9, v8, 30
	v_sub_u32_e32 v15, 0, v14
	v_cndmask_b32_e64 v3, v5, v3, s[2:3]
	v_xor_b32_e32 v11, v11, v15
	v_alignbit_b32 v4, v6, v3, v13
	v_cndmask_b32_e64 v4, v4, v6, s[4:5]
	v_ffbh_u32_e32 v6, v11
	v_alignbit_b32 v5, v8, v4, 30
	v_min_u32_e32 v6, 32, v6
	v_alignbit_b32 v3, v4, v3, 30
	v_xor_b32_e32 v5, v5, v15
	v_sub_u32_e32 v7, 31, v6
	v_xor_b32_e32 v3, v3, v15
	v_alignbit_b32 v8, v11, v5, v7
	v_alignbit_b32 v3, v5, v3, v7
	;; [unrolled: 1-line block ×3, first 2 shown]
	v_ffbh_u32_e32 v5, v4
	v_min_u32_e32 v5, 32, v5
	v_lshrrev_b32_e32 v12, 29, v9
	v_not_b32_e32 v7, v5
	v_alignbit_b32 v3, v4, v3, v7
	v_lshlrev_b32_e32 v4, 31, v12
	v_or_b32_e32 v7, 0x33000000, v4
	v_add_lshl_u32 v5, v5, v6, 23
	v_lshrrev_b32_e32 v3, 9, v3
	v_sub_u32_e32 v5, v7, v5
	v_or_b32_e32 v4, 0.5, v4
	v_lshlrev_b32_e32 v6, 23, v6
	v_or_b32_e32 v3, v5, v3
	v_lshrrev_b32_e32 v5, 9, v8
	v_sub_u32_e32 v4, v4, v6
	v_or_b32_e32 v4, v5, v4
	s_mov_b32 s0, 0x3fc90fda
	v_mul_f32_e32 v5, 0x3fc90fda, v4
	v_fma_f32 v6, v4, s0, -v5
	v_fmac_f32_e32 v6, 0x33a22168, v4
	v_fmac_f32_e32 v6, 0x3fc90fda, v3
	v_lshrrev_b32_e32 v3, 30, v9
	v_add_f32_e32 v4, v5, v6
	v_add_u32_e32 v3, v14, v3
.LBB23_172:
	s_andn2_saveexec_b64 s[0:1], s[6:7]
	s_cbranch_execz .LBB23_174
; %bb.173:
	s_mov_b32 s2, 0x3f22f983
	v_mul_f32_e64 v3, |v1|, s2
	v_rndne_f32_e32 v5, v3
	s_mov_b32 s2, 0xbfc90fda
	v_cvt_i32_f32_e32 v3, v5
	v_fma_f32 v4, v5, s2, |v1|
	v_fmac_f32_e32 v4, 0xb3a22168, v5
	v_fmac_f32_e32 v4, 0xa7c234c4, v5
.LBB23_174:
	s_or_b64 exec, exec, s[0:1]
	v_mul_f32_e32 v5, v4, v4
	v_mov_b32_e32 v6, 0x3c0881c4
	v_fmac_f32_e32 v6, 0xb94c1982, v5
	v_mov_b32_e32 v7, 0xbe2aaa9d
	v_fmac_f32_e32 v7, v5, v6
	v_mul_f32_e32 v6, v5, v7
	v_fmac_f32_e32 v4, v4, v6
	v_mov_b32_e32 v6, 0xbab64f3b
	v_fmac_f32_e32 v6, 0x37d75334, v5
	v_mov_b32_e32 v7, 0x3d2aabf7
	;; [unrolled: 2-line block ×3, first 2 shown]
	v_fmac_f32_e32 v6, v5, v7
	v_fma_f32 v5, v5, v6, 1.0
	v_and_b32_e32 v6, 1, v3
	v_lshlrev_b32_e32 v3, 30, v3
	v_cmp_eq_u32_e32 vcc, 0, v6
	v_and_b32_e32 v3, 0x80000000, v3
	v_xor_b32_e32 v2, v2, v1
	v_cndmask_b32_e32 v4, v5, v4, vcc
	v_xor_b32_e32 v2, v2, v3
	s_movk_i32 s0, 0x1f8
	v_xor_b32_e32 v2, v2, v4
	v_mov_b32_e32 v3, 0x7fc00000
	v_cmp_class_f32_e64 vcc, v1, s0
	v_cndmask_b32_e32 v1, v3, v2, vcc
	v_cvt_f16_f32_e32 v1, v1
	v_add_u32_e32 v10, 0x80, v10
	global_store_short v0, v1, s[16:17]
	s_or_b64 exec, exec, s[48:49]
	v_cmp_gt_i32_e32 vcc, s55, v10
	s_and_saveexec_b64 s[48:49], vcc
	s_cbranch_execnz .LBB23_15
.LBB23_175:
	s_or_b64 exec, exec, s[48:49]
	v_cmp_gt_i32_e32 vcc, s55, v10
	s_and_saveexec_b64 s[48:49], vcc
	s_cbranch_execz .LBB23_195
.LBB23_176:
	s_andn2_b64 vcc, exec, s[36:37]
	s_cbranch_vccnz .LBB23_181
; %bb.177:
	s_andn2_b64 vcc, exec, s[46:47]
	s_cbranch_vccnz .LBB23_182
; %bb.178:
	s_add_i32 s58, s56, 1
	s_cmp_eq_u32 s54, 2
	s_cbranch_scc1 .LBB23_203
; %bb.179:
	s_and_b32 s57, s58, 28
	v_mov_b32_e32 v2, 0
	s_mov_b32 s59, 0
	s_mov_b64 s[50:51], s[34:35]
	s_mov_b64 s[52:53], s[44:45]
	v_mov_b32_e32 v0, 0
	v_mov_b32_e32 v1, v10
.LBB23_180:                             ; =>This Inner Loop Header: Depth=1
	s_load_dwordx8 s[8:15], s[50:51], 0x4
	s_load_dwordx4 s[28:31], s[50:51], 0x24
	s_load_dwordx8 s[0:7], s[52:53], 0x0
	s_add_u32 s50, s50, 48
	s_addc_u32 s51, s51, 0
	s_waitcnt lgkmcnt(0)
	v_mul_hi_u32 v3, s9, v1
	s_add_i32 s59, s59, 4
	s_add_u32 s52, s52, 32
	s_addc_u32 s53, s53, 0
	v_add_u32_e32 v3, v1, v3
	v_lshrrev_b32_e32 v3, s10, v3
	v_mul_lo_u32 v4, v3, s8
	v_mul_hi_u32 v5, s12, v3
	s_cmp_eq_u32 s57, s59
	v_sub_u32_e32 v1, v1, v4
	v_add_u32_e32 v4, v3, v5
	v_mul_lo_u32 v5, v1, s0
	v_mul_lo_u32 v6, v1, s1
	v_lshrrev_b32_e32 v1, s13, v4
	v_mul_lo_u32 v4, v1, s11
	v_mul_hi_u32 v7, s15, v1
	v_sub_u32_e32 v3, v3, v4
	v_add_u32_e32 v4, v1, v7
	v_lshrrev_b32_e32 v4, s28, v4
	v_mul_hi_u32 v8, s30, v4
	v_mul_lo_u32 v9, v4, s14
	v_mul_lo_u32 v7, v3, s2
	;; [unrolled: 1-line block ×3, first 2 shown]
	v_sub_u32_e32 v9, v1, v9
	v_add_u32_e32 v1, v4, v8
	v_lshrrev_b32_e32 v1, s31, v1
	v_mul_lo_u32 v8, v1, s29
	v_mul_lo_u32 v11, v9, s4
	;; [unrolled: 1-line block ×3, first 2 shown]
	v_add3_u32 v0, v5, v0, v7
	v_sub_u32_e32 v4, v4, v8
	v_mul_lo_u32 v8, v4, s6
	v_mul_lo_u32 v4, v4, s7
	v_add3_u32 v2, v6, v2, v3
	v_add3_u32 v0, v11, v0, v8
	v_add3_u32 v2, v9, v2, v4
	s_cbranch_scc0 .LBB23_180
	s_branch .LBB23_204
.LBB23_181:
                                        ; implicit-def: $vgpr0
                                        ; implicit-def: $vgpr2
	s_branch .LBB23_208
.LBB23_182:
	v_mov_b32_e32 v0, 0
	v_mov_b32_e32 v2, 0
	s_branch .LBB23_207
.LBB23_183:
	s_mov_b32 s57, 0
	v_mov_b32_e32 v0, 0
	v_mov_b32_e32 v2, 0
	;; [unrolled: 1-line block ×3, first 2 shown]
.LBB23_184:
	s_and_b32 s4, s58, 3
	s_cmp_eq_u32 s4, 0
	s_cbranch_scc1 .LBB23_187
; %bb.185:
	s_lshl_b32 s0, s57, 3
	s_add_u32 s0, s34, s0
	s_addc_u32 s1, s35, 0
	s_add_u32 s0, s0, 0xc4
	s_addc_u32 s1, s1, 0
	s_mul_i32 s2, s57, 12
	s_add_u32 s2, s34, s2
	s_addc_u32 s3, s35, 0
.LBB23_186:                             ; =>This Inner Loop Header: Depth=1
	s_load_dwordx2 s[6:7], s[2:3], 0x4
	s_load_dword s5, s[2:3], 0xc
	s_load_dwordx2 s[8:9], s[0:1], 0x0
	s_add_u32 s2, s2, 12
	s_addc_u32 s3, s3, 0
	s_waitcnt lgkmcnt(0)
	v_mul_hi_u32 v3, s7, v1
	s_add_u32 s0, s0, 8
	s_addc_u32 s1, s1, 0
	s_add_i32 s4, s4, -1
	v_add_u32_e32 v3, v1, v3
	v_lshrrev_b32_e32 v4, s5, v3
	v_mul_lo_u32 v3, v4, s6
	s_cmp_lg_u32 s4, 0
	v_sub_u32_e32 v3, v1, v3
	v_mad_u64_u32 v[0:1], s[6:7], v3, s8, v[0:1]
	v_mad_u64_u32 v[2:3], s[6:7], v3, s9, v[2:3]
	v_mov_b32_e32 v1, v4
	s_cbranch_scc1 .LBB23_186
.LBB23_187:
	s_cbranch_execnz .LBB23_190
.LBB23_188:
	s_waitcnt lgkmcnt(0)
	v_mul_hi_u32 v0, s25, v10
	s_andn2_b64 vcc, exec, s[42:43]
	v_add_u32_e32 v0, v10, v0
	v_lshrrev_b32_e32 v1, s26, v0
	v_mul_lo_u32 v0, v1, s24
	v_sub_u32_e32 v2, v10, v0
	v_mul_lo_u32 v0, v2, s20
	v_mul_lo_u32 v2, v2, s21
	s_cbranch_vccnz .LBB23_190
; %bb.189:
	v_mul_hi_u32 v3, s40, v1
	v_add_u32_e32 v3, v1, v3
	v_lshrrev_b32_e32 v3, s41, v3
	v_mul_lo_u32 v3, v3, s27
	v_sub_u32_e32 v3, v1, v3
	v_mad_u64_u32 v[0:1], s[0:1], v3, s22, v[0:1]
	v_mad_u64_u32 v[2:3], s[0:1], v3, s23, v[2:3]
.LBB23_190:
	s_waitcnt lgkmcnt(0)
	global_load_ushort v1, v2, s[18:19]
	s_brev_b32 s0, 18
                                        ; implicit-def: $vgpr3
                                        ; implicit-def: $vgpr4
	s_waitcnt vmcnt(0)
	v_cvt_f32_f16_e32 v1, v1
	v_and_b32_e32 v2, 0x7fffffff, v1
	v_cmp_nlt_f32_e64 s[0:1], |v1|, s0
	s_and_saveexec_b64 s[2:3], s[0:1]
	s_xor_b64 s[6:7], exec, s[2:3]
	s_cbranch_execz .LBB23_192
; %bb.191:
	v_and_b32_e32 v3, 0x7fffff, v2
	v_or_b32_e32 v14, 0x800000, v3
	s_mov_b32 s0, 0xfe5163ab
	v_mad_u64_u32 v[3:4], s[0:1], v14, s0, 0
	v_mov_b32_e32 v5, 0
	s_mov_b32 s0, 0x3c439041
	v_mad_u64_u32 v[6:7], s[0:1], v14, s0, v[4:5]
	s_mov_b32 s0, 0xdb629599
	v_not_b32_e32 v13, 63
	v_mov_b32_e32 v4, v7
	v_mad_u64_u32 v[7:8], s[0:1], v14, s0, v[4:5]
	s_mov_b32 s0, 0xf534ddc0
	s_mov_b32 s2, 0xa2f9836e
	v_mov_b32_e32 v4, v8
	v_mad_u64_u32 v[8:9], s[0:1], v14, s0, v[4:5]
	v_lshrrev_b32_e32 v4, 23, v2
	v_add_u32_e32 v15, 0xffffff88, v4
	v_mov_b32_e32 v4, v9
	s_mov_b32 s0, 0xfc2757d1
	v_mad_u64_u32 v[11:12], s[0:1], v14, s0, v[4:5]
	v_cmp_lt_u32_e32 vcc, 63, v15
	v_cndmask_b32_e32 v4, 0, v13, vcc
	v_add_u32_e32 v9, v4, v15
	v_mov_b32_e32 v4, v12
	s_mov_b32 s0, 0x4e441529
	v_mad_u64_u32 v[12:13], s[0:1], v14, s0, v[4:5]
	v_not_b32_e32 v15, 31
	v_cmp_lt_u32_e64 s[0:1], 31, v9
	v_cndmask_b32_e64 v4, 0, v15, s[0:1]
	v_add_u32_e32 v9, v4, v9
	v_mov_b32_e32 v4, v13
	v_mad_u64_u32 v[4:5], s[2:3], v14, s2, v[4:5]
	v_cmp_lt_u32_e64 s[2:3], 31, v9
	v_cndmask_b32_e64 v13, 0, v15, s[2:3]
	v_add_u32_e32 v9, v13, v9
	v_cndmask_b32_e32 v13, v12, v8, vcc
	v_cndmask_b32_e32 v4, v4, v11, vcc
	;; [unrolled: 1-line block ×3, first 2 shown]
	v_cndmask_b32_e64 v14, v4, v13, s[0:1]
	v_cndmask_b32_e64 v4, v5, v4, s[0:1]
	v_cndmask_b32_e32 v5, v11, v7, vcc
	v_cndmask_b32_e64 v11, v13, v5, s[0:1]
	v_cndmask_b32_e64 v4, v4, v14, s[2:3]
	;; [unrolled: 1-line block ×3, first 2 shown]
	v_sub_u32_e32 v13, 32, v9
	v_alignbit_b32 v14, v4, v12, v13
	v_cmp_eq_u32_e64 s[4:5], 0, v9
	v_cndmask_b32_e64 v9, v14, v4, s[4:5]
	v_cndmask_b32_e32 v4, v8, v6, vcc
	v_cndmask_b32_e64 v5, v5, v4, s[0:1]
	v_cndmask_b32_e64 v6, v11, v5, s[2:3]
	v_alignbit_b32 v8, v12, v6, v13
	v_cndmask_b32_e32 v3, v7, v3, vcc
	v_cndmask_b32_e64 v8, v8, v12, s[4:5]
	v_bfe_u32 v14, v9, 29, 1
	v_cndmask_b32_e64 v3, v4, v3, s[0:1]
	v_alignbit_b32 v11, v9, v8, 30
	v_sub_u32_e32 v15, 0, v14
	v_cndmask_b32_e64 v3, v5, v3, s[2:3]
	v_xor_b32_e32 v11, v11, v15
	v_alignbit_b32 v4, v6, v3, v13
	v_cndmask_b32_e64 v4, v4, v6, s[4:5]
	v_ffbh_u32_e32 v6, v11
	v_alignbit_b32 v5, v8, v4, 30
	v_min_u32_e32 v6, 32, v6
	v_alignbit_b32 v3, v4, v3, 30
	v_xor_b32_e32 v5, v5, v15
	v_sub_u32_e32 v7, 31, v6
	v_xor_b32_e32 v3, v3, v15
	v_alignbit_b32 v8, v11, v5, v7
	v_alignbit_b32 v3, v5, v3, v7
	;; [unrolled: 1-line block ×3, first 2 shown]
	v_ffbh_u32_e32 v5, v4
	v_min_u32_e32 v5, 32, v5
	v_lshrrev_b32_e32 v12, 29, v9
	v_not_b32_e32 v7, v5
	v_alignbit_b32 v3, v4, v3, v7
	v_lshlrev_b32_e32 v4, 31, v12
	v_or_b32_e32 v7, 0x33000000, v4
	v_add_lshl_u32 v5, v5, v6, 23
	v_lshrrev_b32_e32 v3, 9, v3
	v_sub_u32_e32 v5, v7, v5
	v_or_b32_e32 v4, 0.5, v4
	v_lshlrev_b32_e32 v6, 23, v6
	v_or_b32_e32 v3, v5, v3
	v_lshrrev_b32_e32 v5, 9, v8
	v_sub_u32_e32 v4, v4, v6
	v_or_b32_e32 v4, v5, v4
	s_mov_b32 s0, 0x3fc90fda
	v_mul_f32_e32 v5, 0x3fc90fda, v4
	v_fma_f32 v6, v4, s0, -v5
	v_fmac_f32_e32 v6, 0x33a22168, v4
	v_fmac_f32_e32 v6, 0x3fc90fda, v3
	v_lshrrev_b32_e32 v3, 30, v9
	v_add_f32_e32 v4, v5, v6
	v_add_u32_e32 v3, v14, v3
.LBB23_192:
	s_andn2_saveexec_b64 s[0:1], s[6:7]
	s_cbranch_execz .LBB23_194
; %bb.193:
	s_mov_b32 s2, 0x3f22f983
	v_mul_f32_e64 v3, |v1|, s2
	v_rndne_f32_e32 v5, v3
	s_mov_b32 s2, 0xbfc90fda
	v_cvt_i32_f32_e32 v3, v5
	v_fma_f32 v4, v5, s2, |v1|
	v_fmac_f32_e32 v4, 0xb3a22168, v5
	v_fmac_f32_e32 v4, 0xa7c234c4, v5
.LBB23_194:
	s_or_b64 exec, exec, s[0:1]
	v_mul_f32_e32 v5, v4, v4
	v_mov_b32_e32 v6, 0x3c0881c4
	v_fmac_f32_e32 v6, 0xb94c1982, v5
	v_mov_b32_e32 v7, 0xbe2aaa9d
	v_fmac_f32_e32 v7, v5, v6
	v_mul_f32_e32 v6, v5, v7
	v_fmac_f32_e32 v4, v4, v6
	v_mov_b32_e32 v6, 0xbab64f3b
	v_fmac_f32_e32 v6, 0x37d75334, v5
	v_mov_b32_e32 v7, 0x3d2aabf7
	;; [unrolled: 2-line block ×3, first 2 shown]
	v_fmac_f32_e32 v6, v5, v7
	v_fma_f32 v5, v5, v6, 1.0
	v_and_b32_e32 v6, 1, v3
	v_lshlrev_b32_e32 v3, 30, v3
	v_cmp_eq_u32_e32 vcc, 0, v6
	v_and_b32_e32 v3, 0x80000000, v3
	v_xor_b32_e32 v2, v2, v1
	v_cndmask_b32_e32 v4, v5, v4, vcc
	v_xor_b32_e32 v2, v2, v3
	s_movk_i32 s0, 0x1f8
	v_xor_b32_e32 v2, v2, v4
	v_mov_b32_e32 v3, 0x7fc00000
	v_cmp_class_f32_e64 vcc, v1, s0
	v_cndmask_b32_e32 v1, v3, v2, vcc
	v_cvt_f16_f32_e32 v1, v1
	v_add_u32_e32 v10, 0x80, v10
	global_store_short v0, v1, s[16:17]
	s_or_b64 exec, exec, s[48:49]
	v_cmp_gt_i32_e32 vcc, s55, v10
	s_and_saveexec_b64 s[48:49], vcc
	s_cbranch_execnz .LBB23_176
.LBB23_195:
	s_or_b64 exec, exec, s[48:49]
	v_cmp_gt_i32_e32 vcc, s55, v10
	s_and_saveexec_b64 s[48:49], vcc
	s_cbranch_execz .LBB23_215
.LBB23_196:
	s_andn2_b64 vcc, exec, s[36:37]
	s_cbranch_vccnz .LBB23_201
; %bb.197:
	s_andn2_b64 vcc, exec, s[46:47]
	s_cbranch_vccnz .LBB23_202
; %bb.198:
	s_add_i32 s58, s56, 1
	s_cmp_eq_u32 s54, 2
	s_cbranch_scc1 .LBB23_223
; %bb.199:
	s_and_b32 s57, s58, 28
	v_mov_b32_e32 v2, 0
	s_mov_b32 s59, 0
	s_mov_b64 s[50:51], s[34:35]
	s_mov_b64 s[52:53], s[44:45]
	v_mov_b32_e32 v0, 0
	v_mov_b32_e32 v1, v10
.LBB23_200:                             ; =>This Inner Loop Header: Depth=1
	s_load_dwordx8 s[8:15], s[50:51], 0x4
	s_load_dwordx4 s[28:31], s[50:51], 0x24
	s_load_dwordx8 s[0:7], s[52:53], 0x0
	s_add_u32 s50, s50, 48
	s_addc_u32 s51, s51, 0
	s_waitcnt lgkmcnt(0)
	v_mul_hi_u32 v3, s9, v1
	s_add_i32 s59, s59, 4
	s_add_u32 s52, s52, 32
	s_addc_u32 s53, s53, 0
	v_add_u32_e32 v3, v1, v3
	v_lshrrev_b32_e32 v3, s10, v3
	v_mul_lo_u32 v4, v3, s8
	v_mul_hi_u32 v5, s12, v3
	s_cmp_eq_u32 s57, s59
	v_sub_u32_e32 v1, v1, v4
	v_add_u32_e32 v4, v3, v5
	v_mul_lo_u32 v5, v1, s0
	v_mul_lo_u32 v6, v1, s1
	v_lshrrev_b32_e32 v1, s13, v4
	v_mul_lo_u32 v4, v1, s11
	v_mul_hi_u32 v7, s15, v1
	v_sub_u32_e32 v3, v3, v4
	v_add_u32_e32 v4, v1, v7
	v_lshrrev_b32_e32 v4, s28, v4
	v_mul_hi_u32 v8, s30, v4
	v_mul_lo_u32 v9, v4, s14
	v_mul_lo_u32 v7, v3, s2
	;; [unrolled: 1-line block ×3, first 2 shown]
	v_sub_u32_e32 v9, v1, v9
	v_add_u32_e32 v1, v4, v8
	v_lshrrev_b32_e32 v1, s31, v1
	v_mul_lo_u32 v8, v1, s29
	v_mul_lo_u32 v11, v9, s4
	;; [unrolled: 1-line block ×3, first 2 shown]
	v_add3_u32 v0, v5, v0, v7
	v_sub_u32_e32 v4, v4, v8
	v_mul_lo_u32 v8, v4, s6
	v_mul_lo_u32 v4, v4, s7
	v_add3_u32 v2, v6, v2, v3
	v_add3_u32 v0, v11, v0, v8
	v_add3_u32 v2, v9, v2, v4
	s_cbranch_scc0 .LBB23_200
	s_branch .LBB23_224
.LBB23_201:
                                        ; implicit-def: $vgpr0
                                        ; implicit-def: $vgpr2
	s_branch .LBB23_228
.LBB23_202:
	v_mov_b32_e32 v0, 0
	v_mov_b32_e32 v2, 0
	s_branch .LBB23_227
.LBB23_203:
	s_mov_b32 s57, 0
	v_mov_b32_e32 v0, 0
	v_mov_b32_e32 v2, 0
	v_mov_b32_e32 v1, v10
.LBB23_204:
	s_and_b32 s4, s58, 3
	s_cmp_eq_u32 s4, 0
	s_cbranch_scc1 .LBB23_207
; %bb.205:
	s_lshl_b32 s0, s57, 3
	s_add_u32 s0, s34, s0
	s_addc_u32 s1, s35, 0
	s_add_u32 s0, s0, 0xc4
	s_addc_u32 s1, s1, 0
	s_mul_i32 s2, s57, 12
	s_add_u32 s2, s34, s2
	s_addc_u32 s3, s35, 0
.LBB23_206:                             ; =>This Inner Loop Header: Depth=1
	s_load_dwordx2 s[6:7], s[2:3], 0x4
	s_load_dword s5, s[2:3], 0xc
	s_load_dwordx2 s[8:9], s[0:1], 0x0
	s_add_u32 s2, s2, 12
	s_addc_u32 s3, s3, 0
	s_waitcnt lgkmcnt(0)
	v_mul_hi_u32 v3, s7, v1
	s_add_u32 s0, s0, 8
	s_addc_u32 s1, s1, 0
	s_add_i32 s4, s4, -1
	v_add_u32_e32 v3, v1, v3
	v_lshrrev_b32_e32 v4, s5, v3
	v_mul_lo_u32 v3, v4, s6
	s_cmp_lg_u32 s4, 0
	v_sub_u32_e32 v3, v1, v3
	v_mad_u64_u32 v[0:1], s[6:7], v3, s8, v[0:1]
	v_mad_u64_u32 v[2:3], s[6:7], v3, s9, v[2:3]
	v_mov_b32_e32 v1, v4
	s_cbranch_scc1 .LBB23_206
.LBB23_207:
	s_cbranch_execnz .LBB23_210
.LBB23_208:
	s_waitcnt lgkmcnt(0)
	v_mul_hi_u32 v0, s25, v10
	s_andn2_b64 vcc, exec, s[42:43]
	v_add_u32_e32 v0, v10, v0
	v_lshrrev_b32_e32 v1, s26, v0
	v_mul_lo_u32 v0, v1, s24
	v_sub_u32_e32 v2, v10, v0
	v_mul_lo_u32 v0, v2, s20
	v_mul_lo_u32 v2, v2, s21
	s_cbranch_vccnz .LBB23_210
; %bb.209:
	v_mul_hi_u32 v3, s40, v1
	v_add_u32_e32 v3, v1, v3
	v_lshrrev_b32_e32 v3, s41, v3
	v_mul_lo_u32 v3, v3, s27
	v_sub_u32_e32 v3, v1, v3
	v_mad_u64_u32 v[0:1], s[0:1], v3, s22, v[0:1]
	v_mad_u64_u32 v[2:3], s[0:1], v3, s23, v[2:3]
.LBB23_210:
	s_waitcnt lgkmcnt(0)
	global_load_ushort v1, v2, s[18:19]
	s_brev_b32 s0, 18
                                        ; implicit-def: $vgpr3
                                        ; implicit-def: $vgpr4
	s_waitcnt vmcnt(0)
	v_cvt_f32_f16_e32 v1, v1
	v_and_b32_e32 v2, 0x7fffffff, v1
	v_cmp_nlt_f32_e64 s[0:1], |v1|, s0
	s_and_saveexec_b64 s[2:3], s[0:1]
	s_xor_b64 s[6:7], exec, s[2:3]
	s_cbranch_execz .LBB23_212
; %bb.211:
	v_and_b32_e32 v3, 0x7fffff, v2
	v_or_b32_e32 v14, 0x800000, v3
	s_mov_b32 s0, 0xfe5163ab
	v_mad_u64_u32 v[3:4], s[0:1], v14, s0, 0
	v_mov_b32_e32 v5, 0
	s_mov_b32 s0, 0x3c439041
	v_mad_u64_u32 v[6:7], s[0:1], v14, s0, v[4:5]
	s_mov_b32 s0, 0xdb629599
	v_not_b32_e32 v13, 63
	v_mov_b32_e32 v4, v7
	v_mad_u64_u32 v[7:8], s[0:1], v14, s0, v[4:5]
	s_mov_b32 s0, 0xf534ddc0
	s_mov_b32 s2, 0xa2f9836e
	v_mov_b32_e32 v4, v8
	v_mad_u64_u32 v[8:9], s[0:1], v14, s0, v[4:5]
	v_lshrrev_b32_e32 v4, 23, v2
	v_add_u32_e32 v15, 0xffffff88, v4
	v_mov_b32_e32 v4, v9
	s_mov_b32 s0, 0xfc2757d1
	v_mad_u64_u32 v[11:12], s[0:1], v14, s0, v[4:5]
	v_cmp_lt_u32_e32 vcc, 63, v15
	v_cndmask_b32_e32 v4, 0, v13, vcc
	v_add_u32_e32 v9, v4, v15
	v_mov_b32_e32 v4, v12
	s_mov_b32 s0, 0x4e441529
	v_mad_u64_u32 v[12:13], s[0:1], v14, s0, v[4:5]
	v_not_b32_e32 v15, 31
	v_cmp_lt_u32_e64 s[0:1], 31, v9
	v_cndmask_b32_e64 v4, 0, v15, s[0:1]
	v_add_u32_e32 v9, v4, v9
	v_mov_b32_e32 v4, v13
	v_mad_u64_u32 v[4:5], s[2:3], v14, s2, v[4:5]
	v_cmp_lt_u32_e64 s[2:3], 31, v9
	v_cndmask_b32_e64 v13, 0, v15, s[2:3]
	v_add_u32_e32 v9, v13, v9
	v_cndmask_b32_e32 v13, v12, v8, vcc
	v_cndmask_b32_e32 v4, v4, v11, vcc
	;; [unrolled: 1-line block ×3, first 2 shown]
	v_cndmask_b32_e64 v14, v4, v13, s[0:1]
	v_cndmask_b32_e64 v4, v5, v4, s[0:1]
	v_cndmask_b32_e32 v5, v11, v7, vcc
	v_cndmask_b32_e64 v11, v13, v5, s[0:1]
	v_cndmask_b32_e64 v4, v4, v14, s[2:3]
	v_cndmask_b32_e64 v12, v14, v11, s[2:3]
	v_sub_u32_e32 v13, 32, v9
	v_alignbit_b32 v14, v4, v12, v13
	v_cmp_eq_u32_e64 s[4:5], 0, v9
	v_cndmask_b32_e64 v9, v14, v4, s[4:5]
	v_cndmask_b32_e32 v4, v8, v6, vcc
	v_cndmask_b32_e64 v5, v5, v4, s[0:1]
	v_cndmask_b32_e64 v6, v11, v5, s[2:3]
	v_alignbit_b32 v8, v12, v6, v13
	v_cndmask_b32_e32 v3, v7, v3, vcc
	v_cndmask_b32_e64 v8, v8, v12, s[4:5]
	v_bfe_u32 v14, v9, 29, 1
	v_cndmask_b32_e64 v3, v4, v3, s[0:1]
	v_alignbit_b32 v11, v9, v8, 30
	v_sub_u32_e32 v15, 0, v14
	v_cndmask_b32_e64 v3, v5, v3, s[2:3]
	v_xor_b32_e32 v11, v11, v15
	v_alignbit_b32 v4, v6, v3, v13
	v_cndmask_b32_e64 v4, v4, v6, s[4:5]
	v_ffbh_u32_e32 v6, v11
	v_alignbit_b32 v5, v8, v4, 30
	v_min_u32_e32 v6, 32, v6
	v_alignbit_b32 v3, v4, v3, 30
	v_xor_b32_e32 v5, v5, v15
	v_sub_u32_e32 v7, 31, v6
	v_xor_b32_e32 v3, v3, v15
	v_alignbit_b32 v8, v11, v5, v7
	v_alignbit_b32 v3, v5, v3, v7
	;; [unrolled: 1-line block ×3, first 2 shown]
	v_ffbh_u32_e32 v5, v4
	v_min_u32_e32 v5, 32, v5
	v_lshrrev_b32_e32 v12, 29, v9
	v_not_b32_e32 v7, v5
	v_alignbit_b32 v3, v4, v3, v7
	v_lshlrev_b32_e32 v4, 31, v12
	v_or_b32_e32 v7, 0x33000000, v4
	v_add_lshl_u32 v5, v5, v6, 23
	v_lshrrev_b32_e32 v3, 9, v3
	v_sub_u32_e32 v5, v7, v5
	v_or_b32_e32 v4, 0.5, v4
	v_lshlrev_b32_e32 v6, 23, v6
	v_or_b32_e32 v3, v5, v3
	v_lshrrev_b32_e32 v5, 9, v8
	v_sub_u32_e32 v4, v4, v6
	v_or_b32_e32 v4, v5, v4
	s_mov_b32 s0, 0x3fc90fda
	v_mul_f32_e32 v5, 0x3fc90fda, v4
	v_fma_f32 v6, v4, s0, -v5
	v_fmac_f32_e32 v6, 0x33a22168, v4
	v_fmac_f32_e32 v6, 0x3fc90fda, v3
	v_lshrrev_b32_e32 v3, 30, v9
	v_add_f32_e32 v4, v5, v6
	v_add_u32_e32 v3, v14, v3
.LBB23_212:
	s_andn2_saveexec_b64 s[0:1], s[6:7]
	s_cbranch_execz .LBB23_214
; %bb.213:
	s_mov_b32 s2, 0x3f22f983
	v_mul_f32_e64 v3, |v1|, s2
	v_rndne_f32_e32 v5, v3
	s_mov_b32 s2, 0xbfc90fda
	v_cvt_i32_f32_e32 v3, v5
	v_fma_f32 v4, v5, s2, |v1|
	v_fmac_f32_e32 v4, 0xb3a22168, v5
	v_fmac_f32_e32 v4, 0xa7c234c4, v5
.LBB23_214:
	s_or_b64 exec, exec, s[0:1]
	v_mul_f32_e32 v5, v4, v4
	v_mov_b32_e32 v6, 0x3c0881c4
	v_fmac_f32_e32 v6, 0xb94c1982, v5
	v_mov_b32_e32 v7, 0xbe2aaa9d
	v_fmac_f32_e32 v7, v5, v6
	v_mul_f32_e32 v6, v5, v7
	v_fmac_f32_e32 v4, v4, v6
	v_mov_b32_e32 v6, 0xbab64f3b
	v_fmac_f32_e32 v6, 0x37d75334, v5
	v_mov_b32_e32 v7, 0x3d2aabf7
	;; [unrolled: 2-line block ×3, first 2 shown]
	v_fmac_f32_e32 v6, v5, v7
	v_fma_f32 v5, v5, v6, 1.0
	v_and_b32_e32 v6, 1, v3
	v_lshlrev_b32_e32 v3, 30, v3
	v_cmp_eq_u32_e32 vcc, 0, v6
	v_and_b32_e32 v3, 0x80000000, v3
	v_xor_b32_e32 v2, v2, v1
	v_cndmask_b32_e32 v4, v5, v4, vcc
	v_xor_b32_e32 v2, v2, v3
	s_movk_i32 s0, 0x1f8
	v_xor_b32_e32 v2, v2, v4
	v_mov_b32_e32 v3, 0x7fc00000
	v_cmp_class_f32_e64 vcc, v1, s0
	v_cndmask_b32_e32 v1, v3, v2, vcc
	v_cvt_f16_f32_e32 v1, v1
	v_add_u32_e32 v10, 0x80, v10
	global_store_short v0, v1, s[16:17]
	s_or_b64 exec, exec, s[48:49]
	v_cmp_gt_i32_e32 vcc, s55, v10
	s_and_saveexec_b64 s[48:49], vcc
	s_cbranch_execnz .LBB23_196
.LBB23_215:
	s_or_b64 exec, exec, s[48:49]
	v_cmp_gt_i32_e32 vcc, s55, v10
	s_and_saveexec_b64 s[48:49], vcc
	s_cbranch_execz .LBB23_235
.LBB23_216:
	s_andn2_b64 vcc, exec, s[36:37]
	s_cbranch_vccnz .LBB23_221
; %bb.217:
	s_andn2_b64 vcc, exec, s[46:47]
	s_cbranch_vccnz .LBB23_222
; %bb.218:
	s_add_i32 s58, s56, 1
	s_cmp_eq_u32 s54, 2
	s_cbranch_scc1 .LBB23_243
; %bb.219:
	s_and_b32 s57, s58, 28
	v_mov_b32_e32 v2, 0
	s_mov_b32 s59, 0
	s_mov_b64 s[50:51], s[34:35]
	s_mov_b64 s[52:53], s[44:45]
	v_mov_b32_e32 v0, 0
	v_mov_b32_e32 v1, v10
.LBB23_220:                             ; =>This Inner Loop Header: Depth=1
	s_load_dwordx8 s[8:15], s[50:51], 0x4
	s_load_dwordx4 s[28:31], s[50:51], 0x24
	s_load_dwordx8 s[0:7], s[52:53], 0x0
	s_add_u32 s50, s50, 48
	s_addc_u32 s51, s51, 0
	s_waitcnt lgkmcnt(0)
	v_mul_hi_u32 v3, s9, v1
	s_add_i32 s59, s59, 4
	s_add_u32 s52, s52, 32
	s_addc_u32 s53, s53, 0
	v_add_u32_e32 v3, v1, v3
	v_lshrrev_b32_e32 v3, s10, v3
	v_mul_lo_u32 v4, v3, s8
	v_mul_hi_u32 v5, s12, v3
	s_cmp_eq_u32 s57, s59
	v_sub_u32_e32 v1, v1, v4
	v_add_u32_e32 v4, v3, v5
	v_mul_lo_u32 v5, v1, s0
	v_mul_lo_u32 v6, v1, s1
	v_lshrrev_b32_e32 v1, s13, v4
	v_mul_lo_u32 v4, v1, s11
	v_mul_hi_u32 v7, s15, v1
	v_sub_u32_e32 v3, v3, v4
	v_add_u32_e32 v4, v1, v7
	v_lshrrev_b32_e32 v4, s28, v4
	v_mul_hi_u32 v8, s30, v4
	v_mul_lo_u32 v9, v4, s14
	v_mul_lo_u32 v7, v3, s2
	;; [unrolled: 1-line block ×3, first 2 shown]
	v_sub_u32_e32 v9, v1, v9
	v_add_u32_e32 v1, v4, v8
	v_lshrrev_b32_e32 v1, s31, v1
	v_mul_lo_u32 v8, v1, s29
	v_mul_lo_u32 v11, v9, s4
	;; [unrolled: 1-line block ×3, first 2 shown]
	v_add3_u32 v0, v5, v0, v7
	v_sub_u32_e32 v4, v4, v8
	v_mul_lo_u32 v8, v4, s6
	v_mul_lo_u32 v4, v4, s7
	v_add3_u32 v2, v6, v2, v3
	v_add3_u32 v0, v11, v0, v8
	;; [unrolled: 1-line block ×3, first 2 shown]
	s_cbranch_scc0 .LBB23_220
	s_branch .LBB23_244
.LBB23_221:
                                        ; implicit-def: $vgpr0
                                        ; implicit-def: $vgpr2
	s_branch .LBB23_248
.LBB23_222:
	v_mov_b32_e32 v0, 0
	v_mov_b32_e32 v2, 0
	s_branch .LBB23_247
.LBB23_223:
	s_mov_b32 s57, 0
	v_mov_b32_e32 v0, 0
	v_mov_b32_e32 v2, 0
	v_mov_b32_e32 v1, v10
.LBB23_224:
	s_and_b32 s4, s58, 3
	s_cmp_eq_u32 s4, 0
	s_cbranch_scc1 .LBB23_227
; %bb.225:
	s_lshl_b32 s0, s57, 3
	s_add_u32 s0, s34, s0
	s_addc_u32 s1, s35, 0
	s_add_u32 s0, s0, 0xc4
	s_addc_u32 s1, s1, 0
	s_mul_i32 s2, s57, 12
	s_add_u32 s2, s34, s2
	s_addc_u32 s3, s35, 0
.LBB23_226:                             ; =>This Inner Loop Header: Depth=1
	s_load_dwordx2 s[6:7], s[2:3], 0x4
	s_load_dword s5, s[2:3], 0xc
	s_load_dwordx2 s[8:9], s[0:1], 0x0
	s_add_u32 s2, s2, 12
	s_addc_u32 s3, s3, 0
	s_waitcnt lgkmcnt(0)
	v_mul_hi_u32 v3, s7, v1
	s_add_u32 s0, s0, 8
	s_addc_u32 s1, s1, 0
	s_add_i32 s4, s4, -1
	v_add_u32_e32 v3, v1, v3
	v_lshrrev_b32_e32 v4, s5, v3
	v_mul_lo_u32 v3, v4, s6
	s_cmp_lg_u32 s4, 0
	v_sub_u32_e32 v3, v1, v3
	v_mad_u64_u32 v[0:1], s[6:7], v3, s8, v[0:1]
	v_mad_u64_u32 v[2:3], s[6:7], v3, s9, v[2:3]
	v_mov_b32_e32 v1, v4
	s_cbranch_scc1 .LBB23_226
.LBB23_227:
	s_cbranch_execnz .LBB23_230
.LBB23_228:
	s_waitcnt lgkmcnt(0)
	v_mul_hi_u32 v0, s25, v10
	s_andn2_b64 vcc, exec, s[42:43]
	v_add_u32_e32 v0, v10, v0
	v_lshrrev_b32_e32 v1, s26, v0
	v_mul_lo_u32 v0, v1, s24
	v_sub_u32_e32 v2, v10, v0
	v_mul_lo_u32 v0, v2, s20
	v_mul_lo_u32 v2, v2, s21
	s_cbranch_vccnz .LBB23_230
; %bb.229:
	v_mul_hi_u32 v3, s40, v1
	v_add_u32_e32 v3, v1, v3
	v_lshrrev_b32_e32 v3, s41, v3
	v_mul_lo_u32 v3, v3, s27
	v_sub_u32_e32 v3, v1, v3
	v_mad_u64_u32 v[0:1], s[0:1], v3, s22, v[0:1]
	v_mad_u64_u32 v[2:3], s[0:1], v3, s23, v[2:3]
.LBB23_230:
	s_waitcnt lgkmcnt(0)
	global_load_ushort v1, v2, s[18:19]
	s_brev_b32 s0, 18
                                        ; implicit-def: $vgpr3
                                        ; implicit-def: $vgpr4
	s_waitcnt vmcnt(0)
	v_cvt_f32_f16_e32 v1, v1
	v_and_b32_e32 v2, 0x7fffffff, v1
	v_cmp_nlt_f32_e64 s[0:1], |v1|, s0
	s_and_saveexec_b64 s[2:3], s[0:1]
	s_xor_b64 s[6:7], exec, s[2:3]
	s_cbranch_execz .LBB23_232
; %bb.231:
	v_and_b32_e32 v3, 0x7fffff, v2
	v_or_b32_e32 v14, 0x800000, v3
	s_mov_b32 s0, 0xfe5163ab
	v_mad_u64_u32 v[3:4], s[0:1], v14, s0, 0
	v_mov_b32_e32 v5, 0
	s_mov_b32 s0, 0x3c439041
	v_mad_u64_u32 v[6:7], s[0:1], v14, s0, v[4:5]
	s_mov_b32 s0, 0xdb629599
	v_not_b32_e32 v13, 63
	v_mov_b32_e32 v4, v7
	v_mad_u64_u32 v[7:8], s[0:1], v14, s0, v[4:5]
	s_mov_b32 s0, 0xf534ddc0
	s_mov_b32 s2, 0xa2f9836e
	v_mov_b32_e32 v4, v8
	v_mad_u64_u32 v[8:9], s[0:1], v14, s0, v[4:5]
	v_lshrrev_b32_e32 v4, 23, v2
	v_add_u32_e32 v15, 0xffffff88, v4
	v_mov_b32_e32 v4, v9
	s_mov_b32 s0, 0xfc2757d1
	v_mad_u64_u32 v[11:12], s[0:1], v14, s0, v[4:5]
	v_cmp_lt_u32_e32 vcc, 63, v15
	v_cndmask_b32_e32 v4, 0, v13, vcc
	v_add_u32_e32 v9, v4, v15
	v_mov_b32_e32 v4, v12
	s_mov_b32 s0, 0x4e441529
	v_mad_u64_u32 v[12:13], s[0:1], v14, s0, v[4:5]
	v_not_b32_e32 v15, 31
	v_cmp_lt_u32_e64 s[0:1], 31, v9
	v_cndmask_b32_e64 v4, 0, v15, s[0:1]
	v_add_u32_e32 v9, v4, v9
	v_mov_b32_e32 v4, v13
	v_mad_u64_u32 v[4:5], s[2:3], v14, s2, v[4:5]
	v_cmp_lt_u32_e64 s[2:3], 31, v9
	v_cndmask_b32_e64 v13, 0, v15, s[2:3]
	v_add_u32_e32 v9, v13, v9
	v_cndmask_b32_e32 v13, v12, v8, vcc
	v_cndmask_b32_e32 v4, v4, v11, vcc
	;; [unrolled: 1-line block ×3, first 2 shown]
	v_cndmask_b32_e64 v14, v4, v13, s[0:1]
	v_cndmask_b32_e64 v4, v5, v4, s[0:1]
	v_cndmask_b32_e32 v5, v11, v7, vcc
	v_cndmask_b32_e64 v11, v13, v5, s[0:1]
	v_cndmask_b32_e64 v4, v4, v14, s[2:3]
	;; [unrolled: 1-line block ×3, first 2 shown]
	v_sub_u32_e32 v13, 32, v9
	v_alignbit_b32 v14, v4, v12, v13
	v_cmp_eq_u32_e64 s[4:5], 0, v9
	v_cndmask_b32_e64 v9, v14, v4, s[4:5]
	v_cndmask_b32_e32 v4, v8, v6, vcc
	v_cndmask_b32_e64 v5, v5, v4, s[0:1]
	v_cndmask_b32_e64 v6, v11, v5, s[2:3]
	v_alignbit_b32 v8, v12, v6, v13
	v_cndmask_b32_e32 v3, v7, v3, vcc
	v_cndmask_b32_e64 v8, v8, v12, s[4:5]
	v_bfe_u32 v14, v9, 29, 1
	v_cndmask_b32_e64 v3, v4, v3, s[0:1]
	v_alignbit_b32 v11, v9, v8, 30
	v_sub_u32_e32 v15, 0, v14
	v_cndmask_b32_e64 v3, v5, v3, s[2:3]
	v_xor_b32_e32 v11, v11, v15
	v_alignbit_b32 v4, v6, v3, v13
	v_cndmask_b32_e64 v4, v4, v6, s[4:5]
	v_ffbh_u32_e32 v6, v11
	v_alignbit_b32 v5, v8, v4, 30
	v_min_u32_e32 v6, 32, v6
	v_alignbit_b32 v3, v4, v3, 30
	v_xor_b32_e32 v5, v5, v15
	v_sub_u32_e32 v7, 31, v6
	v_xor_b32_e32 v3, v3, v15
	v_alignbit_b32 v8, v11, v5, v7
	v_alignbit_b32 v3, v5, v3, v7
	;; [unrolled: 1-line block ×3, first 2 shown]
	v_ffbh_u32_e32 v5, v4
	v_min_u32_e32 v5, 32, v5
	v_lshrrev_b32_e32 v12, 29, v9
	v_not_b32_e32 v7, v5
	v_alignbit_b32 v3, v4, v3, v7
	v_lshlrev_b32_e32 v4, 31, v12
	v_or_b32_e32 v7, 0x33000000, v4
	v_add_lshl_u32 v5, v5, v6, 23
	v_lshrrev_b32_e32 v3, 9, v3
	v_sub_u32_e32 v5, v7, v5
	v_or_b32_e32 v4, 0.5, v4
	v_lshlrev_b32_e32 v6, 23, v6
	v_or_b32_e32 v3, v5, v3
	v_lshrrev_b32_e32 v5, 9, v8
	v_sub_u32_e32 v4, v4, v6
	v_or_b32_e32 v4, v5, v4
	s_mov_b32 s0, 0x3fc90fda
	v_mul_f32_e32 v5, 0x3fc90fda, v4
	v_fma_f32 v6, v4, s0, -v5
	v_fmac_f32_e32 v6, 0x33a22168, v4
	v_fmac_f32_e32 v6, 0x3fc90fda, v3
	v_lshrrev_b32_e32 v3, 30, v9
	v_add_f32_e32 v4, v5, v6
	v_add_u32_e32 v3, v14, v3
.LBB23_232:
	s_andn2_saveexec_b64 s[0:1], s[6:7]
	s_cbranch_execz .LBB23_234
; %bb.233:
	s_mov_b32 s2, 0x3f22f983
	v_mul_f32_e64 v3, |v1|, s2
	v_rndne_f32_e32 v5, v3
	s_mov_b32 s2, 0xbfc90fda
	v_cvt_i32_f32_e32 v3, v5
	v_fma_f32 v4, v5, s2, |v1|
	v_fmac_f32_e32 v4, 0xb3a22168, v5
	v_fmac_f32_e32 v4, 0xa7c234c4, v5
.LBB23_234:
	s_or_b64 exec, exec, s[0:1]
	v_mul_f32_e32 v5, v4, v4
	v_mov_b32_e32 v6, 0x3c0881c4
	v_fmac_f32_e32 v6, 0xb94c1982, v5
	v_mov_b32_e32 v7, 0xbe2aaa9d
	v_fmac_f32_e32 v7, v5, v6
	v_mul_f32_e32 v6, v5, v7
	v_fmac_f32_e32 v4, v4, v6
	v_mov_b32_e32 v6, 0xbab64f3b
	v_fmac_f32_e32 v6, 0x37d75334, v5
	v_mov_b32_e32 v7, 0x3d2aabf7
	;; [unrolled: 2-line block ×3, first 2 shown]
	v_fmac_f32_e32 v6, v5, v7
	v_fma_f32 v5, v5, v6, 1.0
	v_and_b32_e32 v6, 1, v3
	v_lshlrev_b32_e32 v3, 30, v3
	v_cmp_eq_u32_e32 vcc, 0, v6
	v_and_b32_e32 v3, 0x80000000, v3
	v_xor_b32_e32 v2, v2, v1
	v_cndmask_b32_e32 v4, v5, v4, vcc
	v_xor_b32_e32 v2, v2, v3
	s_movk_i32 s0, 0x1f8
	v_xor_b32_e32 v2, v2, v4
	v_mov_b32_e32 v3, 0x7fc00000
	v_cmp_class_f32_e64 vcc, v1, s0
	v_cndmask_b32_e32 v1, v3, v2, vcc
	v_cvt_f16_f32_e32 v1, v1
	v_add_u32_e32 v10, 0x80, v10
	global_store_short v0, v1, s[16:17]
	s_or_b64 exec, exec, s[48:49]
	v_cmp_gt_i32_e32 vcc, s55, v10
	s_and_saveexec_b64 s[48:49], vcc
	s_cbranch_execnz .LBB23_216
.LBB23_235:
	s_or_b64 exec, exec, s[48:49]
	v_cmp_gt_i32_e32 vcc, s55, v10
	s_and_saveexec_b64 s[48:49], vcc
	s_cbranch_execz .LBB23_255
.LBB23_236:
	s_andn2_b64 vcc, exec, s[36:37]
	s_cbranch_vccnz .LBB23_241
; %bb.237:
	s_andn2_b64 vcc, exec, s[46:47]
	s_cbranch_vccnz .LBB23_242
; %bb.238:
	s_add_i32 s58, s56, 1
	s_cmp_eq_u32 s54, 2
	s_cbranch_scc1 .LBB23_263
; %bb.239:
	s_and_b32 s57, s58, 28
	v_mov_b32_e32 v2, 0
	s_mov_b32 s59, 0
	s_mov_b64 s[50:51], s[34:35]
	s_mov_b64 s[52:53], s[44:45]
	v_mov_b32_e32 v0, 0
	v_mov_b32_e32 v1, v10
.LBB23_240:                             ; =>This Inner Loop Header: Depth=1
	s_load_dwordx8 s[8:15], s[50:51], 0x4
	s_load_dwordx4 s[28:31], s[50:51], 0x24
	s_load_dwordx8 s[0:7], s[52:53], 0x0
	s_add_u32 s50, s50, 48
	s_addc_u32 s51, s51, 0
	s_waitcnt lgkmcnt(0)
	v_mul_hi_u32 v3, s9, v1
	s_add_i32 s59, s59, 4
	s_add_u32 s52, s52, 32
	s_addc_u32 s53, s53, 0
	v_add_u32_e32 v3, v1, v3
	v_lshrrev_b32_e32 v3, s10, v3
	v_mul_lo_u32 v4, v3, s8
	v_mul_hi_u32 v5, s12, v3
	s_cmp_eq_u32 s57, s59
	v_sub_u32_e32 v1, v1, v4
	v_add_u32_e32 v4, v3, v5
	v_mul_lo_u32 v5, v1, s0
	v_mul_lo_u32 v6, v1, s1
	v_lshrrev_b32_e32 v1, s13, v4
	v_mul_lo_u32 v4, v1, s11
	v_mul_hi_u32 v7, s15, v1
	v_sub_u32_e32 v3, v3, v4
	v_add_u32_e32 v4, v1, v7
	v_lshrrev_b32_e32 v4, s28, v4
	v_mul_hi_u32 v8, s30, v4
	v_mul_lo_u32 v9, v4, s14
	v_mul_lo_u32 v7, v3, s2
	;; [unrolled: 1-line block ×3, first 2 shown]
	v_sub_u32_e32 v9, v1, v9
	v_add_u32_e32 v1, v4, v8
	v_lshrrev_b32_e32 v1, s31, v1
	v_mul_lo_u32 v8, v1, s29
	v_mul_lo_u32 v11, v9, s4
	;; [unrolled: 1-line block ×3, first 2 shown]
	v_add3_u32 v0, v5, v0, v7
	v_sub_u32_e32 v4, v4, v8
	v_mul_lo_u32 v8, v4, s6
	v_mul_lo_u32 v4, v4, s7
	v_add3_u32 v2, v6, v2, v3
	v_add3_u32 v0, v11, v0, v8
	;; [unrolled: 1-line block ×3, first 2 shown]
	s_cbranch_scc0 .LBB23_240
	s_branch .LBB23_264
.LBB23_241:
                                        ; implicit-def: $vgpr0
                                        ; implicit-def: $vgpr2
	s_branch .LBB23_268
.LBB23_242:
	v_mov_b32_e32 v0, 0
	v_mov_b32_e32 v2, 0
	s_branch .LBB23_267
.LBB23_243:
	s_mov_b32 s57, 0
	v_mov_b32_e32 v0, 0
	v_mov_b32_e32 v2, 0
	;; [unrolled: 1-line block ×3, first 2 shown]
.LBB23_244:
	s_and_b32 s4, s58, 3
	s_cmp_eq_u32 s4, 0
	s_cbranch_scc1 .LBB23_247
; %bb.245:
	s_lshl_b32 s0, s57, 3
	s_add_u32 s0, s34, s0
	s_addc_u32 s1, s35, 0
	s_add_u32 s0, s0, 0xc4
	s_addc_u32 s1, s1, 0
	s_mul_i32 s2, s57, 12
	s_add_u32 s2, s34, s2
	s_addc_u32 s3, s35, 0
.LBB23_246:                             ; =>This Inner Loop Header: Depth=1
	s_load_dwordx2 s[6:7], s[2:3], 0x4
	s_load_dword s5, s[2:3], 0xc
	s_load_dwordx2 s[8:9], s[0:1], 0x0
	s_add_u32 s2, s2, 12
	s_addc_u32 s3, s3, 0
	s_waitcnt lgkmcnt(0)
	v_mul_hi_u32 v3, s7, v1
	s_add_u32 s0, s0, 8
	s_addc_u32 s1, s1, 0
	s_add_i32 s4, s4, -1
	v_add_u32_e32 v3, v1, v3
	v_lshrrev_b32_e32 v4, s5, v3
	v_mul_lo_u32 v3, v4, s6
	s_cmp_lg_u32 s4, 0
	v_sub_u32_e32 v3, v1, v3
	v_mad_u64_u32 v[0:1], s[6:7], v3, s8, v[0:1]
	v_mad_u64_u32 v[2:3], s[6:7], v3, s9, v[2:3]
	v_mov_b32_e32 v1, v4
	s_cbranch_scc1 .LBB23_246
.LBB23_247:
	s_cbranch_execnz .LBB23_250
.LBB23_248:
	s_waitcnt lgkmcnt(0)
	v_mul_hi_u32 v0, s25, v10
	s_andn2_b64 vcc, exec, s[42:43]
	v_add_u32_e32 v0, v10, v0
	v_lshrrev_b32_e32 v1, s26, v0
	v_mul_lo_u32 v0, v1, s24
	v_sub_u32_e32 v2, v10, v0
	v_mul_lo_u32 v0, v2, s20
	v_mul_lo_u32 v2, v2, s21
	s_cbranch_vccnz .LBB23_250
; %bb.249:
	v_mul_hi_u32 v3, s40, v1
	v_add_u32_e32 v3, v1, v3
	v_lshrrev_b32_e32 v3, s41, v3
	v_mul_lo_u32 v3, v3, s27
	v_sub_u32_e32 v3, v1, v3
	v_mad_u64_u32 v[0:1], s[0:1], v3, s22, v[0:1]
	v_mad_u64_u32 v[2:3], s[0:1], v3, s23, v[2:3]
.LBB23_250:
	s_waitcnt lgkmcnt(0)
	global_load_ushort v1, v2, s[18:19]
	s_brev_b32 s0, 18
                                        ; implicit-def: $vgpr3
                                        ; implicit-def: $vgpr4
	s_waitcnt vmcnt(0)
	v_cvt_f32_f16_e32 v1, v1
	v_and_b32_e32 v2, 0x7fffffff, v1
	v_cmp_nlt_f32_e64 s[0:1], |v1|, s0
	s_and_saveexec_b64 s[2:3], s[0:1]
	s_xor_b64 s[6:7], exec, s[2:3]
	s_cbranch_execz .LBB23_252
; %bb.251:
	v_and_b32_e32 v3, 0x7fffff, v2
	v_or_b32_e32 v14, 0x800000, v3
	s_mov_b32 s0, 0xfe5163ab
	v_mad_u64_u32 v[3:4], s[0:1], v14, s0, 0
	v_mov_b32_e32 v5, 0
	s_mov_b32 s0, 0x3c439041
	v_mad_u64_u32 v[6:7], s[0:1], v14, s0, v[4:5]
	s_mov_b32 s0, 0xdb629599
	v_not_b32_e32 v13, 63
	v_mov_b32_e32 v4, v7
	v_mad_u64_u32 v[7:8], s[0:1], v14, s0, v[4:5]
	s_mov_b32 s0, 0xf534ddc0
	s_mov_b32 s2, 0xa2f9836e
	v_mov_b32_e32 v4, v8
	v_mad_u64_u32 v[8:9], s[0:1], v14, s0, v[4:5]
	v_lshrrev_b32_e32 v4, 23, v2
	v_add_u32_e32 v15, 0xffffff88, v4
	v_mov_b32_e32 v4, v9
	s_mov_b32 s0, 0xfc2757d1
	v_mad_u64_u32 v[11:12], s[0:1], v14, s0, v[4:5]
	v_cmp_lt_u32_e32 vcc, 63, v15
	v_cndmask_b32_e32 v4, 0, v13, vcc
	v_add_u32_e32 v9, v4, v15
	v_mov_b32_e32 v4, v12
	s_mov_b32 s0, 0x4e441529
	v_mad_u64_u32 v[12:13], s[0:1], v14, s0, v[4:5]
	v_not_b32_e32 v15, 31
	v_cmp_lt_u32_e64 s[0:1], 31, v9
	v_cndmask_b32_e64 v4, 0, v15, s[0:1]
	v_add_u32_e32 v9, v4, v9
	v_mov_b32_e32 v4, v13
	v_mad_u64_u32 v[4:5], s[2:3], v14, s2, v[4:5]
	v_cmp_lt_u32_e64 s[2:3], 31, v9
	v_cndmask_b32_e64 v13, 0, v15, s[2:3]
	v_add_u32_e32 v9, v13, v9
	v_cndmask_b32_e32 v13, v12, v8, vcc
	v_cndmask_b32_e32 v4, v4, v11, vcc
	;; [unrolled: 1-line block ×3, first 2 shown]
	v_cndmask_b32_e64 v14, v4, v13, s[0:1]
	v_cndmask_b32_e64 v4, v5, v4, s[0:1]
	v_cndmask_b32_e32 v5, v11, v7, vcc
	v_cndmask_b32_e64 v11, v13, v5, s[0:1]
	v_cndmask_b32_e64 v4, v4, v14, s[2:3]
	;; [unrolled: 1-line block ×3, first 2 shown]
	v_sub_u32_e32 v13, 32, v9
	v_alignbit_b32 v14, v4, v12, v13
	v_cmp_eq_u32_e64 s[4:5], 0, v9
	v_cndmask_b32_e64 v9, v14, v4, s[4:5]
	v_cndmask_b32_e32 v4, v8, v6, vcc
	v_cndmask_b32_e64 v5, v5, v4, s[0:1]
	v_cndmask_b32_e64 v6, v11, v5, s[2:3]
	v_alignbit_b32 v8, v12, v6, v13
	v_cndmask_b32_e32 v3, v7, v3, vcc
	v_cndmask_b32_e64 v8, v8, v12, s[4:5]
	v_bfe_u32 v14, v9, 29, 1
	v_cndmask_b32_e64 v3, v4, v3, s[0:1]
	v_alignbit_b32 v11, v9, v8, 30
	v_sub_u32_e32 v15, 0, v14
	v_cndmask_b32_e64 v3, v5, v3, s[2:3]
	v_xor_b32_e32 v11, v11, v15
	v_alignbit_b32 v4, v6, v3, v13
	v_cndmask_b32_e64 v4, v4, v6, s[4:5]
	v_ffbh_u32_e32 v6, v11
	v_alignbit_b32 v5, v8, v4, 30
	v_min_u32_e32 v6, 32, v6
	v_alignbit_b32 v3, v4, v3, 30
	v_xor_b32_e32 v5, v5, v15
	v_sub_u32_e32 v7, 31, v6
	v_xor_b32_e32 v3, v3, v15
	v_alignbit_b32 v8, v11, v5, v7
	v_alignbit_b32 v3, v5, v3, v7
	;; [unrolled: 1-line block ×3, first 2 shown]
	v_ffbh_u32_e32 v5, v4
	v_min_u32_e32 v5, 32, v5
	v_lshrrev_b32_e32 v12, 29, v9
	v_not_b32_e32 v7, v5
	v_alignbit_b32 v3, v4, v3, v7
	v_lshlrev_b32_e32 v4, 31, v12
	v_or_b32_e32 v7, 0x33000000, v4
	v_add_lshl_u32 v5, v5, v6, 23
	v_lshrrev_b32_e32 v3, 9, v3
	v_sub_u32_e32 v5, v7, v5
	v_or_b32_e32 v4, 0.5, v4
	v_lshlrev_b32_e32 v6, 23, v6
	v_or_b32_e32 v3, v5, v3
	v_lshrrev_b32_e32 v5, 9, v8
	v_sub_u32_e32 v4, v4, v6
	v_or_b32_e32 v4, v5, v4
	s_mov_b32 s0, 0x3fc90fda
	v_mul_f32_e32 v5, 0x3fc90fda, v4
	v_fma_f32 v6, v4, s0, -v5
	v_fmac_f32_e32 v6, 0x33a22168, v4
	v_fmac_f32_e32 v6, 0x3fc90fda, v3
	v_lshrrev_b32_e32 v3, 30, v9
	v_add_f32_e32 v4, v5, v6
	v_add_u32_e32 v3, v14, v3
.LBB23_252:
	s_andn2_saveexec_b64 s[0:1], s[6:7]
	s_cbranch_execz .LBB23_254
; %bb.253:
	s_mov_b32 s2, 0x3f22f983
	v_mul_f32_e64 v3, |v1|, s2
	v_rndne_f32_e32 v5, v3
	s_mov_b32 s2, 0xbfc90fda
	v_cvt_i32_f32_e32 v3, v5
	v_fma_f32 v4, v5, s2, |v1|
	v_fmac_f32_e32 v4, 0xb3a22168, v5
	v_fmac_f32_e32 v4, 0xa7c234c4, v5
.LBB23_254:
	s_or_b64 exec, exec, s[0:1]
	v_mul_f32_e32 v5, v4, v4
	v_mov_b32_e32 v6, 0x3c0881c4
	v_fmac_f32_e32 v6, 0xb94c1982, v5
	v_mov_b32_e32 v7, 0xbe2aaa9d
	v_fmac_f32_e32 v7, v5, v6
	v_mul_f32_e32 v6, v5, v7
	v_fmac_f32_e32 v4, v4, v6
	v_mov_b32_e32 v6, 0xbab64f3b
	v_fmac_f32_e32 v6, 0x37d75334, v5
	v_mov_b32_e32 v7, 0x3d2aabf7
	;; [unrolled: 2-line block ×3, first 2 shown]
	v_fmac_f32_e32 v6, v5, v7
	v_fma_f32 v5, v5, v6, 1.0
	v_and_b32_e32 v6, 1, v3
	v_lshlrev_b32_e32 v3, 30, v3
	v_cmp_eq_u32_e32 vcc, 0, v6
	v_and_b32_e32 v3, 0x80000000, v3
	v_xor_b32_e32 v2, v2, v1
	v_cndmask_b32_e32 v4, v5, v4, vcc
	v_xor_b32_e32 v2, v2, v3
	s_movk_i32 s0, 0x1f8
	v_xor_b32_e32 v2, v2, v4
	v_mov_b32_e32 v3, 0x7fc00000
	v_cmp_class_f32_e64 vcc, v1, s0
	v_cndmask_b32_e32 v1, v3, v2, vcc
	v_cvt_f16_f32_e32 v1, v1
	v_add_u32_e32 v10, 0x80, v10
	global_store_short v0, v1, s[16:17]
	s_or_b64 exec, exec, s[48:49]
	v_cmp_gt_i32_e32 vcc, s55, v10
	s_and_saveexec_b64 s[48:49], vcc
	s_cbranch_execnz .LBB23_236
.LBB23_255:
	s_or_b64 exec, exec, s[48:49]
	v_cmp_gt_i32_e32 vcc, s55, v10
	s_and_saveexec_b64 s[48:49], vcc
	s_cbranch_execz .LBB23_275
.LBB23_256:
	s_andn2_b64 vcc, exec, s[36:37]
	s_cbranch_vccnz .LBB23_261
; %bb.257:
	s_andn2_b64 vcc, exec, s[46:47]
	s_cbranch_vccnz .LBB23_262
; %bb.258:
	s_add_i32 s58, s56, 1
	s_cmp_eq_u32 s54, 2
	s_cbranch_scc1 .LBB23_278
; %bb.259:
	s_and_b32 s57, s58, 28
	v_mov_b32_e32 v2, 0
	s_mov_b32 s59, 0
	s_mov_b64 s[50:51], s[34:35]
	s_mov_b64 s[52:53], s[44:45]
	v_mov_b32_e32 v0, 0
	v_mov_b32_e32 v1, v10
.LBB23_260:                             ; =>This Inner Loop Header: Depth=1
	s_load_dwordx8 s[8:15], s[50:51], 0x4
	s_load_dwordx4 s[28:31], s[50:51], 0x24
	s_load_dwordx8 s[0:7], s[52:53], 0x0
	s_add_u32 s50, s50, 48
	s_addc_u32 s51, s51, 0
	s_waitcnt lgkmcnt(0)
	v_mul_hi_u32 v3, s9, v1
	s_add_i32 s59, s59, 4
	s_add_u32 s52, s52, 32
	s_addc_u32 s53, s53, 0
	v_add_u32_e32 v3, v1, v3
	v_lshrrev_b32_e32 v3, s10, v3
	v_mul_lo_u32 v4, v3, s8
	v_mul_hi_u32 v5, s12, v3
	s_cmp_eq_u32 s57, s59
	v_sub_u32_e32 v1, v1, v4
	v_add_u32_e32 v4, v3, v5
	v_mul_lo_u32 v5, v1, s0
	v_mul_lo_u32 v6, v1, s1
	v_lshrrev_b32_e32 v1, s13, v4
	v_mul_lo_u32 v4, v1, s11
	v_mul_hi_u32 v7, s15, v1
	v_sub_u32_e32 v3, v3, v4
	v_add_u32_e32 v4, v1, v7
	v_lshrrev_b32_e32 v4, s28, v4
	v_mul_hi_u32 v8, s30, v4
	v_mul_lo_u32 v9, v4, s14
	v_mul_lo_u32 v7, v3, s2
	;; [unrolled: 1-line block ×3, first 2 shown]
	v_sub_u32_e32 v9, v1, v9
	v_add_u32_e32 v1, v4, v8
	v_lshrrev_b32_e32 v1, s31, v1
	v_mul_lo_u32 v8, v1, s29
	v_mul_lo_u32 v11, v9, s4
	;; [unrolled: 1-line block ×3, first 2 shown]
	v_add3_u32 v0, v5, v0, v7
	v_sub_u32_e32 v4, v4, v8
	v_mul_lo_u32 v8, v4, s6
	v_mul_lo_u32 v4, v4, s7
	v_add3_u32 v2, v6, v2, v3
	v_add3_u32 v0, v11, v0, v8
	;; [unrolled: 1-line block ×3, first 2 shown]
	s_cbranch_scc0 .LBB23_260
	s_branch .LBB23_279
.LBB23_261:
                                        ; implicit-def: $vgpr0
                                        ; implicit-def: $vgpr2
	s_branch .LBB23_283
.LBB23_262:
	v_mov_b32_e32 v0, 0
	v_mov_b32_e32 v2, 0
	s_branch .LBB23_282
.LBB23_263:
	s_mov_b32 s57, 0
	v_mov_b32_e32 v0, 0
	v_mov_b32_e32 v2, 0
	;; [unrolled: 1-line block ×3, first 2 shown]
.LBB23_264:
	s_and_b32 s4, s58, 3
	s_cmp_eq_u32 s4, 0
	s_cbranch_scc1 .LBB23_267
; %bb.265:
	s_lshl_b32 s0, s57, 3
	s_add_u32 s0, s34, s0
	s_addc_u32 s1, s35, 0
	s_add_u32 s0, s0, 0xc4
	s_addc_u32 s1, s1, 0
	s_mul_i32 s2, s57, 12
	s_add_u32 s2, s34, s2
	s_addc_u32 s3, s35, 0
.LBB23_266:                             ; =>This Inner Loop Header: Depth=1
	s_load_dwordx2 s[6:7], s[2:3], 0x4
	s_load_dword s5, s[2:3], 0xc
	s_load_dwordx2 s[8:9], s[0:1], 0x0
	s_add_u32 s2, s2, 12
	s_addc_u32 s3, s3, 0
	s_waitcnt lgkmcnt(0)
	v_mul_hi_u32 v3, s7, v1
	s_add_u32 s0, s0, 8
	s_addc_u32 s1, s1, 0
	s_add_i32 s4, s4, -1
	v_add_u32_e32 v3, v1, v3
	v_lshrrev_b32_e32 v4, s5, v3
	v_mul_lo_u32 v3, v4, s6
	s_cmp_lg_u32 s4, 0
	v_sub_u32_e32 v3, v1, v3
	v_mad_u64_u32 v[0:1], s[6:7], v3, s8, v[0:1]
	v_mad_u64_u32 v[2:3], s[6:7], v3, s9, v[2:3]
	v_mov_b32_e32 v1, v4
	s_cbranch_scc1 .LBB23_266
.LBB23_267:
	s_cbranch_execnz .LBB23_270
.LBB23_268:
	s_waitcnt lgkmcnt(0)
	v_mul_hi_u32 v0, s25, v10
	s_andn2_b64 vcc, exec, s[42:43]
	v_add_u32_e32 v0, v10, v0
	v_lshrrev_b32_e32 v1, s26, v0
	v_mul_lo_u32 v0, v1, s24
	v_sub_u32_e32 v2, v10, v0
	v_mul_lo_u32 v0, v2, s20
	v_mul_lo_u32 v2, v2, s21
	s_cbranch_vccnz .LBB23_270
; %bb.269:
	v_mul_hi_u32 v3, s40, v1
	v_add_u32_e32 v3, v1, v3
	v_lshrrev_b32_e32 v3, s41, v3
	v_mul_lo_u32 v3, v3, s27
	v_sub_u32_e32 v3, v1, v3
	v_mad_u64_u32 v[0:1], s[0:1], v3, s22, v[0:1]
	v_mad_u64_u32 v[2:3], s[0:1], v3, s23, v[2:3]
.LBB23_270:
	s_waitcnt lgkmcnt(0)
	global_load_ushort v1, v2, s[18:19]
	s_brev_b32 s0, 18
                                        ; implicit-def: $vgpr3
                                        ; implicit-def: $vgpr4
	s_waitcnt vmcnt(0)
	v_cvt_f32_f16_e32 v1, v1
	v_and_b32_e32 v2, 0x7fffffff, v1
	v_cmp_nlt_f32_e64 s[0:1], |v1|, s0
	s_and_saveexec_b64 s[2:3], s[0:1]
	s_xor_b64 s[6:7], exec, s[2:3]
	s_cbranch_execz .LBB23_272
; %bb.271:
	v_and_b32_e32 v3, 0x7fffff, v2
	v_or_b32_e32 v14, 0x800000, v3
	s_mov_b32 s0, 0xfe5163ab
	v_mad_u64_u32 v[3:4], s[0:1], v14, s0, 0
	v_mov_b32_e32 v5, 0
	s_mov_b32 s0, 0x3c439041
	v_mad_u64_u32 v[6:7], s[0:1], v14, s0, v[4:5]
	s_mov_b32 s0, 0xdb629599
	v_not_b32_e32 v13, 63
	v_mov_b32_e32 v4, v7
	v_mad_u64_u32 v[7:8], s[0:1], v14, s0, v[4:5]
	s_mov_b32 s0, 0xf534ddc0
	s_mov_b32 s2, 0xa2f9836e
	v_mov_b32_e32 v4, v8
	v_mad_u64_u32 v[8:9], s[0:1], v14, s0, v[4:5]
	v_lshrrev_b32_e32 v4, 23, v2
	v_add_u32_e32 v15, 0xffffff88, v4
	v_mov_b32_e32 v4, v9
	s_mov_b32 s0, 0xfc2757d1
	v_mad_u64_u32 v[11:12], s[0:1], v14, s0, v[4:5]
	v_cmp_lt_u32_e32 vcc, 63, v15
	v_cndmask_b32_e32 v4, 0, v13, vcc
	v_add_u32_e32 v9, v4, v15
	v_mov_b32_e32 v4, v12
	s_mov_b32 s0, 0x4e441529
	v_mad_u64_u32 v[12:13], s[0:1], v14, s0, v[4:5]
	v_not_b32_e32 v15, 31
	v_cmp_lt_u32_e64 s[0:1], 31, v9
	v_cndmask_b32_e64 v4, 0, v15, s[0:1]
	v_add_u32_e32 v9, v4, v9
	v_mov_b32_e32 v4, v13
	v_mad_u64_u32 v[4:5], s[2:3], v14, s2, v[4:5]
	v_cmp_lt_u32_e64 s[2:3], 31, v9
	v_cndmask_b32_e64 v13, 0, v15, s[2:3]
	v_add_u32_e32 v9, v13, v9
	v_cndmask_b32_e32 v13, v12, v8, vcc
	v_cndmask_b32_e32 v4, v4, v11, vcc
	;; [unrolled: 1-line block ×3, first 2 shown]
	v_cndmask_b32_e64 v14, v4, v13, s[0:1]
	v_cndmask_b32_e64 v4, v5, v4, s[0:1]
	v_cndmask_b32_e32 v5, v11, v7, vcc
	v_cndmask_b32_e64 v11, v13, v5, s[0:1]
	v_cndmask_b32_e64 v4, v4, v14, s[2:3]
	;; [unrolled: 1-line block ×3, first 2 shown]
	v_sub_u32_e32 v13, 32, v9
	v_alignbit_b32 v14, v4, v12, v13
	v_cmp_eq_u32_e64 s[4:5], 0, v9
	v_cndmask_b32_e64 v9, v14, v4, s[4:5]
	v_cndmask_b32_e32 v4, v8, v6, vcc
	v_cndmask_b32_e64 v5, v5, v4, s[0:1]
	v_cndmask_b32_e64 v6, v11, v5, s[2:3]
	v_alignbit_b32 v8, v12, v6, v13
	v_cndmask_b32_e32 v3, v7, v3, vcc
	v_cndmask_b32_e64 v8, v8, v12, s[4:5]
	v_bfe_u32 v14, v9, 29, 1
	v_cndmask_b32_e64 v3, v4, v3, s[0:1]
	v_alignbit_b32 v11, v9, v8, 30
	v_sub_u32_e32 v15, 0, v14
	v_cndmask_b32_e64 v3, v5, v3, s[2:3]
	v_xor_b32_e32 v11, v11, v15
	v_alignbit_b32 v4, v6, v3, v13
	v_cndmask_b32_e64 v4, v4, v6, s[4:5]
	v_ffbh_u32_e32 v6, v11
	v_alignbit_b32 v5, v8, v4, 30
	v_min_u32_e32 v6, 32, v6
	v_alignbit_b32 v3, v4, v3, 30
	v_xor_b32_e32 v5, v5, v15
	v_sub_u32_e32 v7, 31, v6
	v_xor_b32_e32 v3, v3, v15
	v_alignbit_b32 v8, v11, v5, v7
	v_alignbit_b32 v3, v5, v3, v7
	;; [unrolled: 1-line block ×3, first 2 shown]
	v_ffbh_u32_e32 v5, v4
	v_min_u32_e32 v5, 32, v5
	v_lshrrev_b32_e32 v12, 29, v9
	v_not_b32_e32 v7, v5
	v_alignbit_b32 v3, v4, v3, v7
	v_lshlrev_b32_e32 v4, 31, v12
	v_or_b32_e32 v7, 0x33000000, v4
	v_add_lshl_u32 v5, v5, v6, 23
	v_lshrrev_b32_e32 v3, 9, v3
	v_sub_u32_e32 v5, v7, v5
	v_or_b32_e32 v4, 0.5, v4
	v_lshlrev_b32_e32 v6, 23, v6
	v_or_b32_e32 v3, v5, v3
	v_lshrrev_b32_e32 v5, 9, v8
	v_sub_u32_e32 v4, v4, v6
	v_or_b32_e32 v4, v5, v4
	s_mov_b32 s0, 0x3fc90fda
	v_mul_f32_e32 v5, 0x3fc90fda, v4
	v_fma_f32 v6, v4, s0, -v5
	v_fmac_f32_e32 v6, 0x33a22168, v4
	v_fmac_f32_e32 v6, 0x3fc90fda, v3
	v_lshrrev_b32_e32 v3, 30, v9
	v_add_f32_e32 v4, v5, v6
	v_add_u32_e32 v3, v14, v3
.LBB23_272:
	s_andn2_saveexec_b64 s[0:1], s[6:7]
	s_cbranch_execz .LBB23_274
; %bb.273:
	s_mov_b32 s2, 0x3f22f983
	v_mul_f32_e64 v3, |v1|, s2
	v_rndne_f32_e32 v5, v3
	s_mov_b32 s2, 0xbfc90fda
	v_cvt_i32_f32_e32 v3, v5
	v_fma_f32 v4, v5, s2, |v1|
	v_fmac_f32_e32 v4, 0xb3a22168, v5
	v_fmac_f32_e32 v4, 0xa7c234c4, v5
.LBB23_274:
	s_or_b64 exec, exec, s[0:1]
	v_mul_f32_e32 v5, v4, v4
	v_mov_b32_e32 v6, 0x3c0881c4
	v_fmac_f32_e32 v6, 0xb94c1982, v5
	v_mov_b32_e32 v7, 0xbe2aaa9d
	v_fmac_f32_e32 v7, v5, v6
	v_mul_f32_e32 v6, v5, v7
	v_fmac_f32_e32 v4, v4, v6
	v_mov_b32_e32 v6, 0xbab64f3b
	v_fmac_f32_e32 v6, 0x37d75334, v5
	v_mov_b32_e32 v7, 0x3d2aabf7
	;; [unrolled: 2-line block ×3, first 2 shown]
	v_fmac_f32_e32 v6, v5, v7
	v_fma_f32 v5, v5, v6, 1.0
	v_and_b32_e32 v6, 1, v3
	v_lshlrev_b32_e32 v3, 30, v3
	v_cmp_eq_u32_e32 vcc, 0, v6
	v_and_b32_e32 v3, 0x80000000, v3
	v_xor_b32_e32 v2, v2, v1
	v_cndmask_b32_e32 v4, v5, v4, vcc
	v_xor_b32_e32 v2, v2, v3
	s_movk_i32 s0, 0x1f8
	v_xor_b32_e32 v2, v2, v4
	v_mov_b32_e32 v3, 0x7fc00000
	v_cmp_class_f32_e64 vcc, v1, s0
	v_cndmask_b32_e32 v1, v3, v2, vcc
	v_cvt_f16_f32_e32 v1, v1
	v_add_u32_e32 v10, 0x80, v10
	global_store_short v0, v1, s[16:17]
	s_or_b64 exec, exec, s[48:49]
	v_cmp_gt_i32_e32 vcc, s55, v10
	s_and_saveexec_b64 s[48:49], vcc
	s_cbranch_execnz .LBB23_256
.LBB23_275:
	s_or_b64 exec, exec, s[48:49]
	v_cmp_gt_i32_e32 vcc, s55, v10
	s_and_saveexec_b64 s[48:49], vcc
	s_cbranch_execnz .LBB23_290
.LBB23_276:
	s_or_b64 exec, exec, s[48:49]
                                        ; implicit-def: $vgpr20
                                        ; implicit-def: $vgpr10
	s_andn2_saveexec_b64 s[0:1], s[38:39]
	s_cbranch_execnz .LBB23_8
.LBB23_277:
	s_endpgm
.LBB23_278:
	s_mov_b32 s57, 0
	v_mov_b32_e32 v0, 0
	v_mov_b32_e32 v2, 0
	;; [unrolled: 1-line block ×3, first 2 shown]
.LBB23_279:
	s_and_b32 s4, s58, 3
	s_cmp_eq_u32 s4, 0
	s_cbranch_scc1 .LBB23_282
; %bb.280:
	s_lshl_b32 s0, s57, 3
	s_add_u32 s0, s34, s0
	s_addc_u32 s1, s35, 0
	s_add_u32 s0, s0, 0xc4
	s_addc_u32 s1, s1, 0
	s_mul_i32 s2, s57, 12
	s_add_u32 s2, s34, s2
	s_addc_u32 s3, s35, 0
.LBB23_281:                             ; =>This Inner Loop Header: Depth=1
	s_load_dwordx2 s[6:7], s[2:3], 0x4
	s_load_dword s5, s[2:3], 0xc
	s_load_dwordx2 s[8:9], s[0:1], 0x0
	s_add_u32 s2, s2, 12
	s_addc_u32 s3, s3, 0
	s_waitcnt lgkmcnt(0)
	v_mul_hi_u32 v3, s7, v1
	s_add_u32 s0, s0, 8
	s_addc_u32 s1, s1, 0
	s_add_i32 s4, s4, -1
	v_add_u32_e32 v3, v1, v3
	v_lshrrev_b32_e32 v4, s5, v3
	v_mul_lo_u32 v3, v4, s6
	s_cmp_lg_u32 s4, 0
	v_sub_u32_e32 v3, v1, v3
	v_mad_u64_u32 v[0:1], s[6:7], v3, s8, v[0:1]
	v_mad_u64_u32 v[2:3], s[6:7], v3, s9, v[2:3]
	v_mov_b32_e32 v1, v4
	s_cbranch_scc1 .LBB23_281
.LBB23_282:
	s_cbranch_execnz .LBB23_285
.LBB23_283:
	s_waitcnt lgkmcnt(0)
	v_mul_hi_u32 v0, s25, v10
	s_andn2_b64 vcc, exec, s[42:43]
	v_add_u32_e32 v0, v10, v0
	v_lshrrev_b32_e32 v1, s26, v0
	v_mul_lo_u32 v0, v1, s24
	v_sub_u32_e32 v2, v10, v0
	v_mul_lo_u32 v0, v2, s20
	v_mul_lo_u32 v2, v2, s21
	s_cbranch_vccnz .LBB23_285
; %bb.284:
	v_mul_hi_u32 v3, s40, v1
	v_add_u32_e32 v3, v1, v3
	v_lshrrev_b32_e32 v3, s41, v3
	v_mul_lo_u32 v3, v3, s27
	v_sub_u32_e32 v3, v1, v3
	v_mad_u64_u32 v[0:1], s[0:1], v3, s22, v[0:1]
	v_mad_u64_u32 v[2:3], s[0:1], v3, s23, v[2:3]
.LBB23_285:
	s_waitcnt lgkmcnt(0)
	global_load_ushort v1, v2, s[18:19]
	s_brev_b32 s0, 18
                                        ; implicit-def: $vgpr3
                                        ; implicit-def: $vgpr4
	s_waitcnt vmcnt(0)
	v_cvt_f32_f16_e32 v1, v1
	v_and_b32_e32 v2, 0x7fffffff, v1
	v_cmp_nlt_f32_e64 s[0:1], |v1|, s0
	s_and_saveexec_b64 s[2:3], s[0:1]
	s_xor_b64 s[6:7], exec, s[2:3]
	s_cbranch_execz .LBB23_287
; %bb.286:
	v_and_b32_e32 v3, 0x7fffff, v2
	v_or_b32_e32 v14, 0x800000, v3
	s_mov_b32 s0, 0xfe5163ab
	v_mad_u64_u32 v[3:4], s[0:1], v14, s0, 0
	v_mov_b32_e32 v5, 0
	s_mov_b32 s0, 0x3c439041
	v_mad_u64_u32 v[6:7], s[0:1], v14, s0, v[4:5]
	s_mov_b32 s0, 0xdb629599
	v_not_b32_e32 v13, 63
	v_mov_b32_e32 v4, v7
	v_mad_u64_u32 v[7:8], s[0:1], v14, s0, v[4:5]
	s_mov_b32 s0, 0xf534ddc0
	s_mov_b32 s2, 0xa2f9836e
	v_mov_b32_e32 v4, v8
	v_mad_u64_u32 v[8:9], s[0:1], v14, s0, v[4:5]
	v_lshrrev_b32_e32 v4, 23, v2
	v_add_u32_e32 v15, 0xffffff88, v4
	v_mov_b32_e32 v4, v9
	s_mov_b32 s0, 0xfc2757d1
	v_mad_u64_u32 v[11:12], s[0:1], v14, s0, v[4:5]
	v_cmp_lt_u32_e32 vcc, 63, v15
	v_cndmask_b32_e32 v4, 0, v13, vcc
	v_add_u32_e32 v9, v4, v15
	v_mov_b32_e32 v4, v12
	s_mov_b32 s0, 0x4e441529
	v_mad_u64_u32 v[12:13], s[0:1], v14, s0, v[4:5]
	v_not_b32_e32 v15, 31
	v_cmp_lt_u32_e64 s[0:1], 31, v9
	v_cndmask_b32_e64 v4, 0, v15, s[0:1]
	v_add_u32_e32 v9, v4, v9
	v_mov_b32_e32 v4, v13
	v_mad_u64_u32 v[4:5], s[2:3], v14, s2, v[4:5]
	v_cmp_lt_u32_e64 s[2:3], 31, v9
	v_cndmask_b32_e64 v13, 0, v15, s[2:3]
	v_add_u32_e32 v9, v13, v9
	v_cndmask_b32_e32 v13, v12, v8, vcc
	v_cndmask_b32_e32 v4, v4, v11, vcc
	;; [unrolled: 1-line block ×3, first 2 shown]
	v_cndmask_b32_e64 v14, v4, v13, s[0:1]
	v_cndmask_b32_e64 v4, v5, v4, s[0:1]
	v_cndmask_b32_e32 v5, v11, v7, vcc
	v_cndmask_b32_e64 v11, v13, v5, s[0:1]
	v_cndmask_b32_e64 v4, v4, v14, s[2:3]
	;; [unrolled: 1-line block ×3, first 2 shown]
	v_sub_u32_e32 v13, 32, v9
	v_alignbit_b32 v14, v4, v12, v13
	v_cmp_eq_u32_e64 s[4:5], 0, v9
	v_cndmask_b32_e64 v9, v14, v4, s[4:5]
	v_cndmask_b32_e32 v4, v8, v6, vcc
	v_cndmask_b32_e64 v5, v5, v4, s[0:1]
	v_cndmask_b32_e64 v6, v11, v5, s[2:3]
	v_alignbit_b32 v8, v12, v6, v13
	v_cndmask_b32_e32 v3, v7, v3, vcc
	v_cndmask_b32_e64 v8, v8, v12, s[4:5]
	v_bfe_u32 v14, v9, 29, 1
	v_cndmask_b32_e64 v3, v4, v3, s[0:1]
	v_alignbit_b32 v11, v9, v8, 30
	v_sub_u32_e32 v15, 0, v14
	v_cndmask_b32_e64 v3, v5, v3, s[2:3]
	v_xor_b32_e32 v11, v11, v15
	v_alignbit_b32 v4, v6, v3, v13
	v_cndmask_b32_e64 v4, v4, v6, s[4:5]
	v_ffbh_u32_e32 v6, v11
	v_alignbit_b32 v5, v8, v4, 30
	v_min_u32_e32 v6, 32, v6
	v_alignbit_b32 v3, v4, v3, 30
	v_xor_b32_e32 v5, v5, v15
	v_sub_u32_e32 v7, 31, v6
	v_xor_b32_e32 v3, v3, v15
	v_alignbit_b32 v8, v11, v5, v7
	v_alignbit_b32 v3, v5, v3, v7
	;; [unrolled: 1-line block ×3, first 2 shown]
	v_ffbh_u32_e32 v5, v4
	v_min_u32_e32 v5, 32, v5
	v_lshrrev_b32_e32 v12, 29, v9
	v_not_b32_e32 v7, v5
	v_alignbit_b32 v3, v4, v3, v7
	v_lshlrev_b32_e32 v4, 31, v12
	v_or_b32_e32 v7, 0x33000000, v4
	v_add_lshl_u32 v5, v5, v6, 23
	v_lshrrev_b32_e32 v3, 9, v3
	v_sub_u32_e32 v5, v7, v5
	v_or_b32_e32 v4, 0.5, v4
	v_lshlrev_b32_e32 v6, 23, v6
	v_or_b32_e32 v3, v5, v3
	v_lshrrev_b32_e32 v5, 9, v8
	v_sub_u32_e32 v4, v4, v6
	v_or_b32_e32 v4, v5, v4
	s_mov_b32 s0, 0x3fc90fda
	v_mul_f32_e32 v5, 0x3fc90fda, v4
	v_fma_f32 v6, v4, s0, -v5
	v_fmac_f32_e32 v6, 0x33a22168, v4
	v_fmac_f32_e32 v6, 0x3fc90fda, v3
	v_lshrrev_b32_e32 v3, 30, v9
	v_add_f32_e32 v4, v5, v6
	v_add_u32_e32 v3, v14, v3
.LBB23_287:
	s_andn2_saveexec_b64 s[0:1], s[6:7]
	s_cbranch_execz .LBB23_289
; %bb.288:
	s_mov_b32 s2, 0x3f22f983
	v_mul_f32_e64 v3, |v1|, s2
	v_rndne_f32_e32 v5, v3
	s_mov_b32 s2, 0xbfc90fda
	v_cvt_i32_f32_e32 v3, v5
	v_fma_f32 v4, v5, s2, |v1|
	v_fmac_f32_e32 v4, 0xb3a22168, v5
	v_fmac_f32_e32 v4, 0xa7c234c4, v5
.LBB23_289:
	s_or_b64 exec, exec, s[0:1]
	v_mul_f32_e32 v5, v4, v4
	v_mov_b32_e32 v6, 0x3c0881c4
	v_fmac_f32_e32 v6, 0xb94c1982, v5
	v_mov_b32_e32 v7, 0xbe2aaa9d
	v_fmac_f32_e32 v7, v5, v6
	v_mul_f32_e32 v6, v5, v7
	v_fmac_f32_e32 v4, v4, v6
	v_mov_b32_e32 v6, 0xbab64f3b
	v_fmac_f32_e32 v6, 0x37d75334, v5
	v_mov_b32_e32 v7, 0x3d2aabf7
	;; [unrolled: 2-line block ×3, first 2 shown]
	v_fmac_f32_e32 v6, v5, v7
	v_fma_f32 v5, v5, v6, 1.0
	v_and_b32_e32 v6, 1, v3
	v_lshlrev_b32_e32 v3, 30, v3
	v_cmp_eq_u32_e32 vcc, 0, v6
	v_and_b32_e32 v3, 0x80000000, v3
	v_xor_b32_e32 v2, v2, v1
	v_cndmask_b32_e32 v4, v5, v4, vcc
	v_xor_b32_e32 v2, v2, v3
	s_movk_i32 s0, 0x1f8
	v_xor_b32_e32 v2, v2, v4
	v_mov_b32_e32 v3, 0x7fc00000
	v_cmp_class_f32_e64 vcc, v1, s0
	v_cndmask_b32_e32 v1, v3, v2, vcc
	v_cvt_f16_f32_e32 v1, v1
	v_add_u32_e32 v10, 0x80, v10
	global_store_short v0, v1, s[16:17]
	s_or_b64 exec, exec, s[48:49]
	v_cmp_gt_i32_e32 vcc, s55, v10
	s_and_saveexec_b64 s[48:49], vcc
	s_cbranch_execz .LBB23_276
.LBB23_290:
	s_andn2_b64 vcc, exec, s[36:37]
	s_cbranch_vccnz .LBB23_295
; %bb.291:
	s_andn2_b64 vcc, exec, s[46:47]
	s_cbranch_vccnz .LBB23_296
; %bb.292:
	s_add_i32 s56, s56, 1
	s_cmp_eq_u32 s54, 2
	s_cbranch_scc1 .LBB23_297
; %bb.293:
	s_and_b32 s50, s56, 28
	v_mov_b32_e32 v2, 0
	s_mov_b32 s51, 0
	s_mov_b64 s[46:47], s[34:35]
	v_mov_b32_e32 v0, 0
	v_mov_b32_e32 v1, v10
.LBB23_294:                             ; =>This Inner Loop Header: Depth=1
	s_load_dwordx8 s[8:15], s[46:47], 0x4
	s_load_dwordx4 s[28:31], s[46:47], 0x24
	s_load_dwordx8 s[0:7], s[44:45], 0x0
	s_add_u32 s46, s46, 48
	s_addc_u32 s47, s47, 0
	s_waitcnt lgkmcnt(0)
	v_mul_hi_u32 v3, s9, v1
	s_add_i32 s51, s51, 4
	s_add_u32 s44, s44, 32
	s_addc_u32 s45, s45, 0
	v_add_u32_e32 v3, v1, v3
	v_lshrrev_b32_e32 v3, s10, v3
	v_mul_lo_u32 v4, v3, s8
	v_mul_hi_u32 v5, s12, v3
	s_cmp_eq_u32 s50, s51
	v_sub_u32_e32 v1, v1, v4
	v_add_u32_e32 v4, v3, v5
	v_mul_lo_u32 v5, v1, s0
	v_mul_lo_u32 v6, v1, s1
	v_lshrrev_b32_e32 v1, s13, v4
	v_mul_lo_u32 v4, v1, s11
	v_mul_hi_u32 v7, s15, v1
	v_sub_u32_e32 v3, v3, v4
	v_add_u32_e32 v4, v1, v7
	v_lshrrev_b32_e32 v4, s28, v4
	v_mul_hi_u32 v8, s30, v4
	v_mul_lo_u32 v9, v4, s14
	v_mul_lo_u32 v7, v3, s2
	;; [unrolled: 1-line block ×3, first 2 shown]
	v_sub_u32_e32 v9, v1, v9
	v_add_u32_e32 v1, v4, v8
	v_lshrrev_b32_e32 v1, s31, v1
	v_mul_lo_u32 v8, v1, s29
	v_mul_lo_u32 v11, v9, s4
	;; [unrolled: 1-line block ×3, first 2 shown]
	v_add3_u32 v0, v5, v0, v7
	v_sub_u32_e32 v4, v4, v8
	v_mul_lo_u32 v8, v4, s6
	v_mul_lo_u32 v4, v4, s7
	v_add3_u32 v2, v6, v2, v3
	v_add3_u32 v0, v11, v0, v8
	;; [unrolled: 1-line block ×3, first 2 shown]
	s_cbranch_scc0 .LBB23_294
	s_branch .LBB23_298
.LBB23_295:
                                        ; implicit-def: $vgpr0
                                        ; implicit-def: $vgpr2
	s_branch .LBB23_302
.LBB23_296:
	v_mov_b32_e32 v0, 0
	v_mov_b32_e32 v2, 0
	s_branch .LBB23_301
.LBB23_297:
	s_mov_b32 s50, 0
	v_mov_b32_e32 v0, 0
	v_mov_b32_e32 v2, 0
	;; [unrolled: 1-line block ×3, first 2 shown]
.LBB23_298:
	s_and_b32 s4, s56, 3
	s_cmp_eq_u32 s4, 0
	s_cbranch_scc1 .LBB23_301
; %bb.299:
	s_lshl_b32 s0, s50, 3
	s_add_u32 s0, s34, s0
	s_addc_u32 s1, s35, 0
	s_add_u32 s0, s0, 0xc4
	s_addc_u32 s1, s1, 0
	s_mul_i32 s2, s50, 12
	s_add_u32 s2, s34, s2
	s_addc_u32 s3, s35, 0
.LBB23_300:                             ; =>This Inner Loop Header: Depth=1
	s_load_dwordx2 s[6:7], s[2:3], 0x4
	s_load_dword s5, s[2:3], 0xc
	s_load_dwordx2 s[8:9], s[0:1], 0x0
	s_add_u32 s2, s2, 12
	s_addc_u32 s3, s3, 0
	s_waitcnt lgkmcnt(0)
	v_mul_hi_u32 v3, s7, v1
	s_add_u32 s0, s0, 8
	s_addc_u32 s1, s1, 0
	s_add_i32 s4, s4, -1
	v_add_u32_e32 v3, v1, v3
	v_lshrrev_b32_e32 v4, s5, v3
	v_mul_lo_u32 v3, v4, s6
	s_cmp_lg_u32 s4, 0
	v_sub_u32_e32 v3, v1, v3
	v_mad_u64_u32 v[0:1], s[6:7], v3, s8, v[0:1]
	v_mad_u64_u32 v[2:3], s[6:7], v3, s9, v[2:3]
	v_mov_b32_e32 v1, v4
	s_cbranch_scc1 .LBB23_300
.LBB23_301:
	s_cbranch_execnz .LBB23_304
.LBB23_302:
	s_waitcnt lgkmcnt(0)
	v_mul_hi_u32 v0, s25, v10
	s_andn2_b64 vcc, exec, s[42:43]
	v_add_u32_e32 v0, v10, v0
	v_lshrrev_b32_e32 v1, s26, v0
	v_mul_lo_u32 v0, v1, s24
	v_sub_u32_e32 v2, v10, v0
	v_mul_lo_u32 v0, v2, s20
	v_mul_lo_u32 v2, v2, s21
	s_cbranch_vccnz .LBB23_304
; %bb.303:
	v_mul_hi_u32 v3, s40, v1
	v_add_u32_e32 v3, v1, v3
	v_lshrrev_b32_e32 v3, s41, v3
	v_mul_lo_u32 v3, v3, s27
	v_sub_u32_e32 v3, v1, v3
	v_mad_u64_u32 v[0:1], s[0:1], v3, s22, v[0:1]
	v_mad_u64_u32 v[2:3], s[0:1], v3, s23, v[2:3]
.LBB23_304:
	s_waitcnt lgkmcnt(0)
	global_load_ushort v1, v2, s[18:19]
	s_brev_b32 s0, 18
                                        ; implicit-def: $vgpr3
                                        ; implicit-def: $vgpr4
	s_waitcnt vmcnt(0)
	v_cvt_f32_f16_e32 v1, v1
	v_and_b32_e32 v2, 0x7fffffff, v1
	v_cmp_nlt_f32_e64 s[0:1], |v1|, s0
	s_and_saveexec_b64 s[2:3], s[0:1]
	s_xor_b64 s[6:7], exec, s[2:3]
	s_cbranch_execz .LBB23_306
; %bb.305:
	v_and_b32_e32 v3, 0x7fffff, v2
	v_or_b32_e32 v12, 0x800000, v3
	s_mov_b32 s0, 0xfe5163ab
	v_mad_u64_u32 v[3:4], s[0:1], v12, s0, 0
	v_mov_b32_e32 v5, 0
	s_mov_b32 s0, 0x3c439041
	v_mad_u64_u32 v[6:7], s[0:1], v12, s0, v[4:5]
	s_mov_b32 s0, 0xdb629599
	v_not_b32_e32 v11, 63
	v_mov_b32_e32 v4, v7
	v_mad_u64_u32 v[7:8], s[0:1], v12, s0, v[4:5]
	s_mov_b32 s0, 0xf534ddc0
	v_not_b32_e32 v14, 31
	v_mov_b32_e32 v4, v8
	v_mad_u64_u32 v[8:9], s[0:1], v12, s0, v[4:5]
	v_lshrrev_b32_e32 v4, 23, v2
	v_add_u32_e32 v13, 0xffffff88, v4
	v_mov_b32_e32 v4, v9
	s_mov_b32 s0, 0xfc2757d1
	v_mad_u64_u32 v[9:10], s[0:1], v12, s0, v[4:5]
	v_cmp_lt_u32_e32 vcc, 63, v13
	v_cndmask_b32_e32 v4, 0, v11, vcc
	v_add_u32_e32 v13, v4, v13
	v_mov_b32_e32 v4, v10
	s_mov_b32 s0, 0x4e441529
	v_mad_u64_u32 v[10:11], s[0:1], v12, s0, v[4:5]
	v_cmp_lt_u32_e64 s[0:1], 31, v13
	v_cndmask_b32_e64 v4, 0, v14, s[0:1]
	v_add_u32_e32 v13, v4, v13
	v_mov_b32_e32 v4, v11
	s_mov_b32 s2, 0xa2f9836e
	v_mad_u64_u32 v[4:5], s[2:3], v12, s2, v[4:5]
	v_cmp_lt_u32_e64 s[2:3], 31, v13
	v_cndmask_b32_e64 v11, 0, v14, s[2:3]
	v_cndmask_b32_e32 v12, v10, v8, vcc
	v_cndmask_b32_e32 v4, v4, v9, vcc
	;; [unrolled: 1-line block ×3, first 2 shown]
	v_add_u32_e32 v11, v11, v13
	v_cndmask_b32_e64 v13, v4, v12, s[0:1]
	v_cndmask_b32_e64 v4, v5, v4, s[0:1]
	v_cndmask_b32_e32 v5, v9, v7, vcc
	v_cndmask_b32_e64 v9, v12, v5, s[0:1]
	v_cndmask_b32_e64 v4, v4, v13, s[2:3]
	;; [unrolled: 1-line block ×3, first 2 shown]
	v_sub_u32_e32 v12, 32, v11
	v_alignbit_b32 v13, v4, v10, v12
	v_cmp_eq_u32_e64 s[4:5], 0, v11
	v_cndmask_b32_e64 v11, v13, v4, s[4:5]
	v_cndmask_b32_e32 v4, v8, v6, vcc
	v_cndmask_b32_e64 v5, v5, v4, s[0:1]
	v_cndmask_b32_e64 v6, v9, v5, s[2:3]
	v_alignbit_b32 v8, v10, v6, v12
	v_cndmask_b32_e32 v3, v7, v3, vcc
	v_cndmask_b32_e64 v8, v8, v10, s[4:5]
	v_bfe_u32 v13, v11, 29, 1
	v_cndmask_b32_e64 v3, v4, v3, s[0:1]
	v_alignbit_b32 v9, v11, v8, 30
	v_sub_u32_e32 v14, 0, v13
	v_cndmask_b32_e64 v3, v5, v3, s[2:3]
	v_xor_b32_e32 v9, v9, v14
	v_alignbit_b32 v4, v6, v3, v12
	v_cndmask_b32_e64 v4, v4, v6, s[4:5]
	v_ffbh_u32_e32 v6, v9
	v_alignbit_b32 v5, v8, v4, 30
	v_min_u32_e32 v6, 32, v6
	v_alignbit_b32 v3, v4, v3, 30
	v_xor_b32_e32 v5, v5, v14
	v_sub_u32_e32 v7, 31, v6
	v_xor_b32_e32 v3, v3, v14
	v_alignbit_b32 v8, v9, v5, v7
	v_alignbit_b32 v3, v5, v3, v7
	;; [unrolled: 1-line block ×3, first 2 shown]
	v_ffbh_u32_e32 v5, v4
	v_min_u32_e32 v5, 32, v5
	v_lshrrev_b32_e32 v10, 29, v11
	v_not_b32_e32 v7, v5
	v_alignbit_b32 v3, v4, v3, v7
	v_lshlrev_b32_e32 v4, 31, v10
	v_or_b32_e32 v7, 0x33000000, v4
	v_add_lshl_u32 v5, v5, v6, 23
	v_lshrrev_b32_e32 v3, 9, v3
	v_sub_u32_e32 v5, v7, v5
	v_or_b32_e32 v4, 0.5, v4
	v_lshlrev_b32_e32 v6, 23, v6
	v_or_b32_e32 v3, v5, v3
	v_lshrrev_b32_e32 v5, 9, v8
	v_sub_u32_e32 v4, v4, v6
	v_or_b32_e32 v4, v5, v4
	s_mov_b32 s0, 0x3fc90fda
	v_mul_f32_e32 v5, 0x3fc90fda, v4
	v_fma_f32 v6, v4, s0, -v5
	v_fmac_f32_e32 v6, 0x33a22168, v4
	v_fmac_f32_e32 v6, 0x3fc90fda, v3
	v_lshrrev_b32_e32 v3, 30, v11
	v_add_f32_e32 v4, v5, v6
	v_add_u32_e32 v3, v13, v3
.LBB23_306:
	s_andn2_saveexec_b64 s[0:1], s[6:7]
	s_cbranch_execz .LBB23_308
; %bb.307:
	s_mov_b32 s2, 0x3f22f983
	v_mul_f32_e64 v3, |v1|, s2
	v_rndne_f32_e32 v5, v3
	s_mov_b32 s2, 0xbfc90fda
	v_cvt_i32_f32_e32 v3, v5
	v_fma_f32 v4, v5, s2, |v1|
	v_fmac_f32_e32 v4, 0xb3a22168, v5
	v_fmac_f32_e32 v4, 0xa7c234c4, v5
.LBB23_308:
	s_or_b64 exec, exec, s[0:1]
	v_mul_f32_e32 v5, v4, v4
	v_mov_b32_e32 v6, 0x3c0881c4
	v_fmac_f32_e32 v6, 0xb94c1982, v5
	v_mov_b32_e32 v7, 0xbe2aaa9d
	v_fmac_f32_e32 v7, v5, v6
	v_mul_f32_e32 v6, v5, v7
	v_fmac_f32_e32 v4, v4, v6
	v_mov_b32_e32 v6, 0xbab64f3b
	v_fmac_f32_e32 v6, 0x37d75334, v5
	v_mov_b32_e32 v7, 0x3d2aabf7
	;; [unrolled: 2-line block ×3, first 2 shown]
	v_fmac_f32_e32 v6, v5, v7
	v_fma_f32 v5, v5, v6, 1.0
	v_and_b32_e32 v6, 1, v3
	v_lshlrev_b32_e32 v3, 30, v3
	v_cmp_eq_u32_e32 vcc, 0, v6
	v_and_b32_e32 v3, 0x80000000, v3
	v_xor_b32_e32 v2, v2, v1
	v_cndmask_b32_e32 v4, v5, v4, vcc
	v_xor_b32_e32 v2, v2, v3
	s_movk_i32 s0, 0x1f8
	v_xor_b32_e32 v2, v2, v4
	v_mov_b32_e32 v3, 0x7fc00000
	v_cmp_class_f32_e64 vcc, v1, s0
	v_cndmask_b32_e32 v1, v3, v2, vcc
	v_cvt_f16_f32_e32 v1, v1
	global_store_short v0, v1, s[16:17]
	s_or_b64 exec, exec, s[48:49]
                                        ; implicit-def: $vgpr20
                                        ; implicit-def: $vgpr10
	s_andn2_saveexec_b64 s[0:1], s[38:39]
	s_cbranch_execz .LBB23_277
	s_branch .LBB23_8
	.section	.rodata,"a",@progbits
	.p2align	6, 0x0
	.amdhsa_kernel _ZN2at6native32elementwise_kernel_manual_unrollILi128ELi8EZNS0_22gpu_kernel_impl_nocastIZZZNS0_15sin_kernel_cudaERNS_18TensorIteratorBaseEENKUlvE0_clEvENKUlvE1_clEvEUlN3c104HalfEE_EEvS4_RKT_EUlibE_EEviT1_
		.amdhsa_group_segment_fixed_size 0
		.amdhsa_private_segment_fixed_size 0
		.amdhsa_kernarg_size 360
		.amdhsa_user_sgpr_count 6
		.amdhsa_user_sgpr_private_segment_buffer 1
		.amdhsa_user_sgpr_dispatch_ptr 0
		.amdhsa_user_sgpr_queue_ptr 0
		.amdhsa_user_sgpr_kernarg_segment_ptr 1
		.amdhsa_user_sgpr_dispatch_id 0
		.amdhsa_user_sgpr_flat_scratch_init 0
		.amdhsa_user_sgpr_private_segment_size 0
		.amdhsa_uses_dynamic_stack 0
		.amdhsa_system_sgpr_private_segment_wavefront_offset 0
		.amdhsa_system_sgpr_workgroup_id_x 1
		.amdhsa_system_sgpr_workgroup_id_y 0
		.amdhsa_system_sgpr_workgroup_id_z 0
		.amdhsa_system_sgpr_workgroup_info 0
		.amdhsa_system_vgpr_workitem_id 0
		.amdhsa_next_free_vgpr 50
		.amdhsa_next_free_sgpr 60
		.amdhsa_reserve_vcc 1
		.amdhsa_reserve_flat_scratch 0
		.amdhsa_float_round_mode_32 0
		.amdhsa_float_round_mode_16_64 0
		.amdhsa_float_denorm_mode_32 3
		.amdhsa_float_denorm_mode_16_64 3
		.amdhsa_dx10_clamp 1
		.amdhsa_ieee_mode 1
		.amdhsa_fp16_overflow 0
		.amdhsa_exception_fp_ieee_invalid_op 0
		.amdhsa_exception_fp_denorm_src 0
		.amdhsa_exception_fp_ieee_div_zero 0
		.amdhsa_exception_fp_ieee_overflow 0
		.amdhsa_exception_fp_ieee_underflow 0
		.amdhsa_exception_fp_ieee_inexact 0
		.amdhsa_exception_int_div_zero 0
	.end_amdhsa_kernel
	.section	.text._ZN2at6native32elementwise_kernel_manual_unrollILi128ELi8EZNS0_22gpu_kernel_impl_nocastIZZZNS0_15sin_kernel_cudaERNS_18TensorIteratorBaseEENKUlvE0_clEvENKUlvE1_clEvEUlN3c104HalfEE_EEvS4_RKT_EUlibE_EEviT1_,"axG",@progbits,_ZN2at6native32elementwise_kernel_manual_unrollILi128ELi8EZNS0_22gpu_kernel_impl_nocastIZZZNS0_15sin_kernel_cudaERNS_18TensorIteratorBaseEENKUlvE0_clEvENKUlvE1_clEvEUlN3c104HalfEE_EEvS4_RKT_EUlibE_EEviT1_,comdat
.Lfunc_end23:
	.size	_ZN2at6native32elementwise_kernel_manual_unrollILi128ELi8EZNS0_22gpu_kernel_impl_nocastIZZZNS0_15sin_kernel_cudaERNS_18TensorIteratorBaseEENKUlvE0_clEvENKUlvE1_clEvEUlN3c104HalfEE_EEvS4_RKT_EUlibE_EEviT1_, .Lfunc_end23-_ZN2at6native32elementwise_kernel_manual_unrollILi128ELi8EZNS0_22gpu_kernel_impl_nocastIZZZNS0_15sin_kernel_cudaERNS_18TensorIteratorBaseEENKUlvE0_clEvENKUlvE1_clEvEUlN3c104HalfEE_EEvS4_RKT_EUlibE_EEviT1_
                                        ; -- End function
	.set _ZN2at6native32elementwise_kernel_manual_unrollILi128ELi8EZNS0_22gpu_kernel_impl_nocastIZZZNS0_15sin_kernel_cudaERNS_18TensorIteratorBaseEENKUlvE0_clEvENKUlvE1_clEvEUlN3c104HalfEE_EEvS4_RKT_EUlibE_EEviT1_.num_vgpr, 50
	.set _ZN2at6native32elementwise_kernel_manual_unrollILi128ELi8EZNS0_22gpu_kernel_impl_nocastIZZZNS0_15sin_kernel_cudaERNS_18TensorIteratorBaseEENKUlvE0_clEvENKUlvE1_clEvEUlN3c104HalfEE_EEvS4_RKT_EUlibE_EEviT1_.num_agpr, 0
	.set _ZN2at6native32elementwise_kernel_manual_unrollILi128ELi8EZNS0_22gpu_kernel_impl_nocastIZZZNS0_15sin_kernel_cudaERNS_18TensorIteratorBaseEENKUlvE0_clEvENKUlvE1_clEvEUlN3c104HalfEE_EEvS4_RKT_EUlibE_EEviT1_.numbered_sgpr, 60
	.set _ZN2at6native32elementwise_kernel_manual_unrollILi128ELi8EZNS0_22gpu_kernel_impl_nocastIZZZNS0_15sin_kernel_cudaERNS_18TensorIteratorBaseEENKUlvE0_clEvENKUlvE1_clEvEUlN3c104HalfEE_EEvS4_RKT_EUlibE_EEviT1_.num_named_barrier, 0
	.set _ZN2at6native32elementwise_kernel_manual_unrollILi128ELi8EZNS0_22gpu_kernel_impl_nocastIZZZNS0_15sin_kernel_cudaERNS_18TensorIteratorBaseEENKUlvE0_clEvENKUlvE1_clEvEUlN3c104HalfEE_EEvS4_RKT_EUlibE_EEviT1_.private_seg_size, 0
	.set _ZN2at6native32elementwise_kernel_manual_unrollILi128ELi8EZNS0_22gpu_kernel_impl_nocastIZZZNS0_15sin_kernel_cudaERNS_18TensorIteratorBaseEENKUlvE0_clEvENKUlvE1_clEvEUlN3c104HalfEE_EEvS4_RKT_EUlibE_EEviT1_.uses_vcc, 1
	.set _ZN2at6native32elementwise_kernel_manual_unrollILi128ELi8EZNS0_22gpu_kernel_impl_nocastIZZZNS0_15sin_kernel_cudaERNS_18TensorIteratorBaseEENKUlvE0_clEvENKUlvE1_clEvEUlN3c104HalfEE_EEvS4_RKT_EUlibE_EEviT1_.uses_flat_scratch, 0
	.set _ZN2at6native32elementwise_kernel_manual_unrollILi128ELi8EZNS0_22gpu_kernel_impl_nocastIZZZNS0_15sin_kernel_cudaERNS_18TensorIteratorBaseEENKUlvE0_clEvENKUlvE1_clEvEUlN3c104HalfEE_EEvS4_RKT_EUlibE_EEviT1_.has_dyn_sized_stack, 0
	.set _ZN2at6native32elementwise_kernel_manual_unrollILi128ELi8EZNS0_22gpu_kernel_impl_nocastIZZZNS0_15sin_kernel_cudaERNS_18TensorIteratorBaseEENKUlvE0_clEvENKUlvE1_clEvEUlN3c104HalfEE_EEvS4_RKT_EUlibE_EEviT1_.has_recursion, 0
	.set _ZN2at6native32elementwise_kernel_manual_unrollILi128ELi8EZNS0_22gpu_kernel_impl_nocastIZZZNS0_15sin_kernel_cudaERNS_18TensorIteratorBaseEENKUlvE0_clEvENKUlvE1_clEvEUlN3c104HalfEE_EEvS4_RKT_EUlibE_EEviT1_.has_indirect_call, 0
	.section	.AMDGPU.csdata,"",@progbits
; Kernel info:
; codeLenInByte = 24600
; TotalNumSgprs: 64
; NumVgprs: 50
; ScratchSize: 0
; MemoryBound: 0
; FloatMode: 240
; IeeeMode: 1
; LDSByteSize: 0 bytes/workgroup (compile time only)
; SGPRBlocks: 7
; VGPRBlocks: 12
; NumSGPRsForWavesPerEU: 64
; NumVGPRsForWavesPerEU: 50
; Occupancy: 4
; WaveLimiterHint : 1
; COMPUTE_PGM_RSRC2:SCRATCH_EN: 0
; COMPUTE_PGM_RSRC2:USER_SGPR: 6
; COMPUTE_PGM_RSRC2:TRAP_HANDLER: 0
; COMPUTE_PGM_RSRC2:TGID_X_EN: 1
; COMPUTE_PGM_RSRC2:TGID_Y_EN: 0
; COMPUTE_PGM_RSRC2:TGID_Z_EN: 0
; COMPUTE_PGM_RSRC2:TIDIG_COMP_CNT: 0
	.section	.text._ZN2at6native32elementwise_kernel_manual_unrollILi128ELi4EZNS0_15gpu_kernel_implIZZZNS0_15sin_kernel_cudaERNS_18TensorIteratorBaseEENKUlvE0_clEvENKUlvE1_clEvEUlN3c104HalfEE_EEvS4_RKT_EUlibE_EEviT1_,"axG",@progbits,_ZN2at6native32elementwise_kernel_manual_unrollILi128ELi4EZNS0_15gpu_kernel_implIZZZNS0_15sin_kernel_cudaERNS_18TensorIteratorBaseEENKUlvE0_clEvENKUlvE1_clEvEUlN3c104HalfEE_EEvS4_RKT_EUlibE_EEviT1_,comdat
	.globl	_ZN2at6native32elementwise_kernel_manual_unrollILi128ELi4EZNS0_15gpu_kernel_implIZZZNS0_15sin_kernel_cudaERNS_18TensorIteratorBaseEENKUlvE0_clEvENKUlvE1_clEvEUlN3c104HalfEE_EEvS4_RKT_EUlibE_EEviT1_ ; -- Begin function _ZN2at6native32elementwise_kernel_manual_unrollILi128ELi4EZNS0_15gpu_kernel_implIZZZNS0_15sin_kernel_cudaERNS_18TensorIteratorBaseEENKUlvE0_clEvENKUlvE1_clEvEUlN3c104HalfEE_EEvS4_RKT_EUlibE_EEviT1_
	.p2align	8
	.type	_ZN2at6native32elementwise_kernel_manual_unrollILi128ELi4EZNS0_15gpu_kernel_implIZZZNS0_15sin_kernel_cudaERNS_18TensorIteratorBaseEENKUlvE0_clEvENKUlvE1_clEvEUlN3c104HalfEE_EEvS4_RKT_EUlibE_EEviT1_,@function
_ZN2at6native32elementwise_kernel_manual_unrollILi128ELi4EZNS0_15gpu_kernel_implIZZZNS0_15sin_kernel_cudaERNS_18TensorIteratorBaseEENKUlvE0_clEvENKUlvE1_clEvEUlN3c104HalfEE_EEvS4_RKT_EUlibE_EEviT1_: ; @_ZN2at6native32elementwise_kernel_manual_unrollILi128ELi4EZNS0_15gpu_kernel_implIZZZNS0_15sin_kernel_cudaERNS_18TensorIteratorBaseEENKUlvE0_clEvENKUlvE1_clEvEUlN3c104HalfEE_EEvS4_RKT_EUlibE_EEviT1_
; %bb.0:
	v_mov_b32_e32 v1, 0
	global_load_ushort v1, v1, s[4:5] offset:33
	s_load_dwordx4 s[8:11], s[4:5], 0x8
	s_load_dwordx2 s[12:13], s[4:5], 0x18
	s_load_dword s38, s[4:5], 0x0
	v_lshl_or_b32 v2, s6, 9, v0
	v_or_b32_e32 v0, 0x180, v2
	s_mov_b64 s[14:15], 0
	s_mov_b64 s[16:17], 0
	s_waitcnt lgkmcnt(0)
	v_cmp_le_i32_e32 vcc, s38, v0
	s_waitcnt vmcnt(0)
	v_readfirstlane_b32 s33, v1
	s_and_b32 s0, 0xffff, s33
	s_lshr_b32 s42, s0, 8
	s_and_saveexec_b64 s[0:1], vcc
	s_xor_b64 s[6:7], exec, s[0:1]
	s_cbranch_execz .LBB24_1042
; %bb.1:
	v_cmp_gt_i32_e32 vcc, s38, v2
	s_mov_b64 s[2:3], -1
	s_mov_b64 s[24:25], 0
	s_mov_b64 s[18:19], 0
	s_and_saveexec_b64 s[20:21], vcc
	s_cbranch_execz .LBB24_255
; %bb.2:
	v_mul_lo_u32 v0, v2, s13
	v_mov_b32_e32 v1, s11
	s_and_b32 s16, 0xffff, s42
	s_cmp_lt_i32 s16, 11
	v_ashrrev_i32_e32 v3, 31, v0
	v_add_co_u32_e32 v0, vcc, s10, v0
	v_addc_co_u32_e32 v1, vcc, v1, v3, vcc
	s_cbranch_scc1 .LBB24_9
; %bb.3:
	s_cmp_gt_i32 s16, 25
	s_cbranch_scc0 .LBB24_22
; %bb.4:
	s_cmp_gt_i32 s16, 28
	s_cbranch_scc0 .LBB24_26
; %bb.5:
	s_cmp_gt_i32 s16, 43
	s_cbranch_scc0 .LBB24_28
; %bb.6:
	s_cmp_gt_i32 s16, 45
	s_cbranch_scc0 .LBB24_32
; %bb.7:
	s_cmp_eq_u32 s16, 46
	s_mov_b64 s[2:3], 0
	s_cbranch_scc0 .LBB24_31
; %bb.8:
	global_load_dword v3, v[0:1], off
	s_mov_b64 s[0:1], -1
	s_waitcnt vmcnt(0)
	v_lshlrev_b32_e32 v3, 16, v3
	v_cvt_f16_f32_e32 v3, v3
	s_branch .LBB24_33
.LBB24_9:
                                        ; implicit-def: $vgpr3
	s_mov_b64 s[0:1], 0
	s_and_b64 vcc, exec, s[2:3]
	s_cbranch_vccnz .LBB24_206
.LBB24_10:
	s_andn2_b64 vcc, exec, s[0:1]
	s_cbranch_vccnz .LBB24_253
.LBB24_11:
	s_waitcnt vmcnt(0)
	v_cvt_f32_f16_e32 v0, v3
	s_brev_b32 s0, 18
                                        ; implicit-def: $vgpr3
                                        ; implicit-def: $vgpr4
	v_and_b32_e32 v1, 0x7fffffff, v0
	v_cmp_nlt_f32_e64 s[0:1], |v0|, s0
	s_and_saveexec_b64 s[2:3], s[0:1]
	s_xor_b64 s[16:17], exec, s[2:3]
	s_cbranch_execz .LBB24_13
; %bb.12:
	v_and_b32_e32 v3, 0x7fffff, v1
	v_or_b32_e32 v12, 0x800000, v3
	s_mov_b32 s0, 0xfe5163ab
	v_mad_u64_u32 v[3:4], s[0:1], v12, s0, 0
	v_mov_b32_e32 v5, 0
	s_mov_b32 s0, 0x3c439041
	v_mad_u64_u32 v[6:7], s[0:1], v12, s0, v[4:5]
	s_mov_b32 s0, 0xdb629599
	v_not_b32_e32 v11, 63
	v_mov_b32_e32 v4, v7
	v_mad_u64_u32 v[7:8], s[0:1], v12, s0, v[4:5]
	s_mov_b32 s0, 0xf534ddc0
	v_not_b32_e32 v14, 31
	v_mov_b32_e32 v4, v8
	v_mad_u64_u32 v[8:9], s[0:1], v12, s0, v[4:5]
	v_lshrrev_b32_e32 v4, 23, v1
	v_add_u32_e32 v13, 0xffffff88, v4
	v_mov_b32_e32 v4, v9
	s_mov_b32 s0, 0xfc2757d1
	v_mad_u64_u32 v[9:10], s[0:1], v12, s0, v[4:5]
	v_cmp_lt_u32_e32 vcc, 63, v13
	v_cndmask_b32_e32 v4, 0, v11, vcc
	v_add_u32_e32 v13, v4, v13
	v_mov_b32_e32 v4, v10
	s_mov_b32 s0, 0x4e441529
	v_mad_u64_u32 v[10:11], s[0:1], v12, s0, v[4:5]
	v_cmp_lt_u32_e64 s[0:1], 31, v13
	v_cndmask_b32_e64 v4, 0, v14, s[0:1]
	v_add_u32_e32 v13, v4, v13
	v_mov_b32_e32 v4, v11
	s_mov_b32 s2, 0xa2f9836e
	v_mad_u64_u32 v[4:5], s[2:3], v12, s2, v[4:5]
	v_cmp_lt_u32_e64 s[2:3], 31, v13
	v_cndmask_b32_e64 v11, 0, v14, s[2:3]
	v_cndmask_b32_e32 v12, v10, v8, vcc
	v_cndmask_b32_e32 v4, v4, v9, vcc
	;; [unrolled: 1-line block ×3, first 2 shown]
	v_add_u32_e32 v11, v11, v13
	v_cndmask_b32_e64 v13, v4, v12, s[0:1]
	v_cndmask_b32_e64 v4, v5, v4, s[0:1]
	v_cndmask_b32_e32 v5, v9, v7, vcc
	v_cndmask_b32_e64 v9, v12, v5, s[0:1]
	v_cndmask_b32_e64 v4, v4, v13, s[2:3]
	;; [unrolled: 1-line block ×3, first 2 shown]
	v_sub_u32_e32 v12, 32, v11
	v_alignbit_b32 v13, v4, v10, v12
	v_cmp_eq_u32_e64 s[4:5], 0, v11
	v_cndmask_b32_e64 v11, v13, v4, s[4:5]
	v_cndmask_b32_e32 v4, v8, v6, vcc
	v_cndmask_b32_e64 v5, v5, v4, s[0:1]
	v_cndmask_b32_e64 v6, v9, v5, s[2:3]
	v_alignbit_b32 v8, v10, v6, v12
	v_cndmask_b32_e32 v3, v7, v3, vcc
	v_cndmask_b32_e64 v8, v8, v10, s[4:5]
	v_bfe_u32 v13, v11, 29, 1
	v_cndmask_b32_e64 v3, v4, v3, s[0:1]
	v_alignbit_b32 v9, v11, v8, 30
	v_sub_u32_e32 v14, 0, v13
	v_cndmask_b32_e64 v3, v5, v3, s[2:3]
	v_xor_b32_e32 v9, v9, v14
	v_alignbit_b32 v4, v6, v3, v12
	v_cndmask_b32_e64 v4, v4, v6, s[4:5]
	v_ffbh_u32_e32 v6, v9
	v_alignbit_b32 v5, v8, v4, 30
	v_min_u32_e32 v6, 32, v6
	v_alignbit_b32 v3, v4, v3, 30
	v_xor_b32_e32 v5, v5, v14
	v_sub_u32_e32 v7, 31, v6
	v_xor_b32_e32 v3, v3, v14
	v_alignbit_b32 v8, v9, v5, v7
	v_alignbit_b32 v3, v5, v3, v7
	;; [unrolled: 1-line block ×3, first 2 shown]
	v_ffbh_u32_e32 v5, v4
	v_min_u32_e32 v5, 32, v5
	v_lshrrev_b32_e32 v10, 29, v11
	v_not_b32_e32 v7, v5
	v_alignbit_b32 v3, v4, v3, v7
	v_lshlrev_b32_e32 v4, 31, v10
	v_or_b32_e32 v7, 0x33000000, v4
	v_add_lshl_u32 v5, v5, v6, 23
	v_lshrrev_b32_e32 v3, 9, v3
	v_sub_u32_e32 v5, v7, v5
	v_or_b32_e32 v4, 0.5, v4
	v_lshlrev_b32_e32 v6, 23, v6
	v_or_b32_e32 v3, v5, v3
	v_lshrrev_b32_e32 v5, 9, v8
	v_sub_u32_e32 v4, v4, v6
	v_or_b32_e32 v4, v5, v4
	s_mov_b32 s0, 0x3fc90fda
	v_mul_f32_e32 v5, 0x3fc90fda, v4
	v_fma_f32 v6, v4, s0, -v5
	v_fmac_f32_e32 v6, 0x33a22168, v4
	v_fmac_f32_e32 v6, 0x3fc90fda, v3
	v_lshrrev_b32_e32 v3, 30, v11
	v_add_f32_e32 v4, v5, v6
	v_add_u32_e32 v3, v13, v3
.LBB24_13:
	s_andn2_saveexec_b64 s[0:1], s[16:17]
	s_cbranch_execz .LBB24_15
; %bb.14:
	s_mov_b32 s2, 0x3f22f983
	v_mul_f32_e64 v3, |v0|, s2
	v_rndne_f32_e32 v5, v3
	s_mov_b32 s2, 0xbfc90fda
	v_cvt_i32_f32_e32 v3, v5
	v_fma_f32 v4, v5, s2, |v0|
	v_fmac_f32_e32 v4, 0xb3a22168, v5
	v_fmac_f32_e32 v4, 0xa7c234c4, v5
.LBB24_15:
	s_or_b64 exec, exec, s[0:1]
	v_mul_f32_e32 v5, v4, v4
	v_mov_b32_e32 v6, 0x3c0881c4
	v_fmac_f32_e32 v6, 0xb94c1982, v5
	v_mov_b32_e32 v7, 0xbe2aaa9d
	v_fmac_f32_e32 v7, v5, v6
	v_mul_f32_e32 v6, v5, v7
	v_fmac_f32_e32 v4, v4, v6
	v_mov_b32_e32 v6, 0xbab64f3b
	v_fmac_f32_e32 v6, 0x37d75334, v5
	v_mov_b32_e32 v7, 0x3d2aabf7
	;; [unrolled: 2-line block ×3, first 2 shown]
	v_fmac_f32_e32 v6, v5, v7
	v_fma_f32 v5, v5, v6, 1.0
	v_and_b32_e32 v6, 1, v3
	v_lshlrev_b32_e32 v3, 30, v3
	v_cmp_eq_u32_e32 vcc, 0, v6
	v_and_b32_e32 v3, 0x80000000, v3
	v_xor_b32_e32 v1, v1, v0
	v_cndmask_b32_e32 v4, v5, v4, vcc
	v_xor_b32_e32 v1, v1, v3
	s_movk_i32 s0, 0x1f8
	v_xor_b32_e32 v1, v1, v4
	v_mov_b32_e32 v3, 0x7fc00000
	v_mul_lo_u32 v4, v2, s12
	v_cmp_class_f32_e64 vcc, v0, s0
	v_cndmask_b32_e32 v0, v3, v1, vcc
	v_cvt_f16_f32_e32 v3, v0
	v_ashrrev_i32_e32 v1, 31, v4
	v_mov_b32_e32 v5, s9
	s_and_b32 s22, s33, 0xff
	v_add_co_u32_e32 v0, vcc, s8, v4
	s_cmp_lt_i32 s22, 11
	v_addc_co_u32_e32 v1, vcc, v5, v1, vcc
	s_cbranch_scc1 .LBB24_23
; %bb.16:
	s_and_b32 s23, 0xffff, s22
	s_cmp_gt_i32 s23, 25
	s_cbranch_scc0 .LBB24_27
; %bb.17:
	s_cmp_gt_i32 s23, 28
	s_cbranch_scc0 .LBB24_29
; %bb.18:
	s_cmp_gt_i32 s23, 43
	s_cbranch_scc0 .LBB24_30
; %bb.19:
	s_cmp_gt_i32 s23, 45
	s_cbranch_scc0 .LBB24_36
; %bb.20:
	s_mov_b64 s[4:5], 0
	s_mov_b64 s[0:1], -1
	s_cmp_eq_u32 s23, 46
	s_mov_b64 s[2:3], 0
	s_cbranch_scc0 .LBB24_37
; %bb.21:
	v_cvt_f32_f16_e32 v4, v3
	s_movk_i32 s0, 0x7fff
	v_cmp_o_f16_e32 vcc, v3, v3
	v_mov_b32_e32 v5, 0x7fc0
	v_bfe_u32 v6, v4, 16, 1
	v_add3_u32 v4, v4, v6, s0
	v_cndmask_b32_sdwa v4, v5, v4, vcc dst_sel:DWORD dst_unused:UNUSED_PAD src0_sel:DWORD src1_sel:WORD_1
	global_store_dword v[0:1], v4, off
	s_mov_b64 s[2:3], -1
	s_mov_b64 s[0:1], 0
	s_branch .LBB24_37
.LBB24_22:
	s_mov_b64 s[0:1], 0
                                        ; implicit-def: $vgpr3
	s_and_b64 vcc, exec, s[2:3]
	s_cbranch_vccnz .LBB24_171
	s_branch .LBB24_205
.LBB24_23:
	s_mov_b64 s[0:1], 0
	s_mov_b64 s[2:3], 0
	s_cbranch_execnz .LBB24_106
.LBB24_24:
	s_andn2_b64 vcc, exec, s[2:3]
	s_cbranch_vccnz .LBB24_144
.LBB24_25:
	v_add_u32_e32 v2, 0x80, v2
	s_mov_b64 s[2:3], -1
	s_branch .LBB24_254
.LBB24_26:
	s_mov_b64 s[0:1], 0
                                        ; implicit-def: $vgpr3
	s_branch .LBB24_152
.LBB24_27:
	s_mov_b64 s[4:5], -1
	s_mov_b64 s[0:1], 0
	s_mov_b64 s[2:3], 0
	s_branch .LBB24_64
.LBB24_28:
	s_mov_b64 s[0:1], 0
                                        ; implicit-def: $vgpr3
	s_branch .LBB24_147
.LBB24_29:
	s_mov_b64 s[4:5], -1
	s_mov_b64 s[0:1], 0
	s_mov_b64 s[2:3], 0
	s_branch .LBB24_47
.LBB24_30:
	s_mov_b64 s[4:5], -1
	s_mov_b64 s[0:1], 0
	s_mov_b64 s[2:3], 0
	s_branch .LBB24_43
.LBB24_31:
	s_mov_b64 s[18:19], -1
.LBB24_32:
	s_mov_b64 s[0:1], 0
                                        ; implicit-def: $vgpr3
.LBB24_33:
	s_and_b64 vcc, exec, s[2:3]
	s_cbranch_vccz .LBB24_146
; %bb.34:
	s_cmp_eq_u32 s16, 44
	s_cbranch_scc0 .LBB24_145
; %bb.35:
	global_load_ubyte v3, v[0:1], off
	s_movk_i32 s2, 0xff
	v_mov_b32_e32 v5, 0x7e00
	s_mov_b64 s[0:1], -1
	s_mov_b64 s[18:19], 0
	s_waitcnt vmcnt(0)
	v_lshlrev_b32_e32 v4, 23, v3
	v_cvt_f16_f32_e32 v4, v4
	v_cmp_ne_u32_e32 vcc, s2, v3
	v_cndmask_b32_e32 v4, v5, v4, vcc
	v_cmp_ne_u32_e32 vcc, 0, v3
	v_cndmask_b32_e32 v3, 0, v4, vcc
	s_branch .LBB24_146
.LBB24_36:
	s_mov_b64 s[4:5], -1
	s_mov_b64 s[0:1], 0
	s_mov_b64 s[2:3], 0
.LBB24_37:
	s_and_b64 vcc, exec, s[4:5]
	s_cbranch_vccz .LBB24_42
; %bb.38:
	s_cmp_eq_u32 s23, 44
	s_mov_b64 s[0:1], -1
	s_cbranch_scc0 .LBB24_42
; %bb.39:
	v_cvt_f32_f16_e32 v4, v3
	s_movk_i32 s0, 0xff
	v_mov_b32_e32 v6, 0xff
	v_bfe_u32 v5, v4, 23, 8
	v_cmp_ne_u32_e32 vcc, s0, v5
	s_and_saveexec_b64 s[2:3], vcc
; %bb.40:
	s_mov_b32 s0, 0x3fffff
	v_lshrrev_b32_e32 v6, 23, v4
	v_and_b32_e32 v7, 0x400000, v4
	v_and_or_b32 v4, v4, s0, v5
	v_cmp_ne_u32_e32 vcc, 0, v7
	v_cmp_ne_u32_e64 s[0:1], 0, v4
	s_and_b64 s[0:1], vcc, s[0:1]
	v_cndmask_b32_e64 v4, 0, 1, s[0:1]
	v_add_u32_e32 v6, v6, v4
; %bb.41:
	s_or_b64 exec, exec, s[2:3]
	s_mov_b64 s[2:3], -1
	s_mov_b64 s[0:1], 0
	global_store_byte v[0:1], v6, off
.LBB24_42:
	s_mov_b64 s[4:5], 0
.LBB24_43:
	s_and_b64 vcc, exec, s[4:5]
	s_cbranch_vccz .LBB24_46
; %bb.44:
	s_cmp_eq_u32 s23, 29
	s_mov_b64 s[0:1], -1
	s_cbranch_scc0 .LBB24_46
; %bb.45:
	v_cvt_f32_f16_e32 v4, v3
	v_mov_b32_e32 v5, 0
	s_mov_b64 s[2:3], -1
	s_mov_b64 s[0:1], 0
	v_cvt_u32_f32_e32 v4, v4
	s_mov_b64 s[4:5], 0
	global_store_dwordx2 v[0:1], v[4:5], off
	s_branch .LBB24_47
.LBB24_46:
	s_mov_b64 s[4:5], 0
.LBB24_47:
	s_and_b64 vcc, exec, s[4:5]
	s_cbranch_vccz .LBB24_63
; %bb.48:
	s_cmp_lt_i32 s23, 27
	s_mov_b64 s[2:3], -1
	s_cbranch_scc1 .LBB24_54
; %bb.49:
	s_cmp_gt_i32 s23, 27
	s_cbranch_scc0 .LBB24_51
; %bb.50:
	v_cvt_f32_f16_e32 v4, v3
	s_mov_b64 s[2:3], 0
	v_cvt_u32_f32_e32 v4, v4
	global_store_dword v[0:1], v4, off
.LBB24_51:
	s_andn2_b64 vcc, exec, s[2:3]
	s_cbranch_vccnz .LBB24_53
; %bb.52:
	v_cvt_u16_f16_e32 v4, v3
	global_store_short v[0:1], v4, off
.LBB24_53:
	s_mov_b64 s[2:3], 0
.LBB24_54:
	s_andn2_b64 vcc, exec, s[2:3]
	s_cbranch_vccnz .LBB24_62
; %bb.55:
	v_cvt_f32_f16_e32 v4, v3
	s_mov_b32 s2, 0x43800000
	v_mov_b32_e32 v6, 0x80
	v_and_b32_e32 v5, 0x7fffffff, v4
	v_cmp_gt_u32_e32 vcc, s2, v5
	s_and_saveexec_b64 s[2:3], vcc
	s_cbranch_execz .LBB24_61
; %bb.56:
	s_mov_b32 s4, 0x3bffffff
	v_cmp_lt_u32_e32 vcc, s4, v5
	s_mov_b64 s[4:5], 0
                                        ; implicit-def: $vgpr5
	s_and_saveexec_b64 s[16:17], vcc
	s_xor_b64 s[16:17], exec, s[16:17]
	s_cbranch_execz .LBB24_286
; %bb.57:
	v_bfe_u32 v5, v4, 20, 1
	s_mov_b32 s26, 0x487ffff
	v_add3_u32 v5, v4, v5, s26
	s_mov_b64 s[4:5], exec
	v_lshrrev_b32_e32 v5, 20, v5
	s_andn2_saveexec_b64 s[16:17], s[16:17]
	s_cbranch_execnz .LBB24_287
.LBB24_58:
	s_or_b64 exec, exec, s[16:17]
	v_mov_b32_e32 v6, 0
	s_and_saveexec_b64 s[16:17], s[4:5]
.LBB24_59:
	v_lshrrev_b32_e32 v4, 24, v4
	s_movk_i32 s4, 0x80
	v_and_or_b32 v6, v4, s4, v5
.LBB24_60:
	s_or_b64 exec, exec, s[16:17]
.LBB24_61:
	s_or_b64 exec, exec, s[2:3]
	global_store_byte v[0:1], v6, off
.LBB24_62:
	s_mov_b64 s[2:3], -1
.LBB24_63:
	s_mov_b64 s[4:5], 0
.LBB24_64:
	s_and_b64 vcc, exec, s[4:5]
	s_cbranch_vccz .LBB24_105
; %bb.65:
	s_cmp_gt_i32 s23, 22
	s_mov_b64 s[4:5], -1
	s_cbranch_scc0 .LBB24_97
; %bb.66:
	s_cmp_lt_i32 s23, 24
	s_mov_b64 s[2:3], -1
	s_cbranch_scc1 .LBB24_86
; %bb.67:
	s_cmp_gt_i32 s23, 24
	s_cbranch_scc0 .LBB24_75
; %bb.68:
	v_cvt_f32_f16_e32 v4, v3
	s_mov_b32 s2, 0x47800000
	v_mov_b32_e32 v6, 0x80
	v_and_b32_e32 v5, 0x7fffffff, v4
	v_cmp_gt_u32_e32 vcc, s2, v5
	s_and_saveexec_b64 s[2:3], vcc
	s_cbranch_execz .LBB24_74
; %bb.69:
	s_mov_b32 s4, 0x37ffffff
	v_cmp_lt_u32_e32 vcc, s4, v5
	s_mov_b64 s[4:5], 0
                                        ; implicit-def: $vgpr5
	s_and_saveexec_b64 s[16:17], vcc
	s_xor_b64 s[16:17], exec, s[16:17]
	s_cbranch_execz .LBB24_290
; %bb.70:
	v_bfe_u32 v5, v4, 21, 1
	s_mov_b32 s26, 0x88fffff
	v_add3_u32 v5, v4, v5, s26
	s_mov_b64 s[4:5], exec
	v_lshrrev_b32_e32 v5, 21, v5
	s_andn2_saveexec_b64 s[16:17], s[16:17]
	s_cbranch_execnz .LBB24_291
.LBB24_71:
	s_or_b64 exec, exec, s[16:17]
	v_mov_b32_e32 v6, 0
	s_and_saveexec_b64 s[16:17], s[4:5]
.LBB24_72:
	v_lshrrev_b32_e32 v4, 24, v4
	s_movk_i32 s4, 0x80
	v_and_or_b32 v6, v4, s4, v5
.LBB24_73:
	s_or_b64 exec, exec, s[16:17]
.LBB24_74:
	s_or_b64 exec, exec, s[2:3]
	s_mov_b64 s[2:3], 0
	global_store_byte v[0:1], v6, off
.LBB24_75:
	s_and_b64 vcc, exec, s[2:3]
	s_cbranch_vccz .LBB24_85
; %bb.76:
	v_cvt_f32_f16_e32 v4, v3
	s_mov_b32 s2, 0x43f00000
                                        ; implicit-def: $vgpr5
	v_and_b32_e32 v6, 0x7fffffff, v4
	v_cmp_gt_u32_e32 vcc, s2, v6
	s_and_saveexec_b64 s[2:3], vcc
	s_xor_b64 s[2:3], exec, s[2:3]
	s_cbranch_execz .LBB24_82
; %bb.77:
	s_mov_b32 s4, 0x3c7fffff
	v_cmp_lt_u32_e32 vcc, s4, v6
                                        ; implicit-def: $vgpr5
	s_and_saveexec_b64 s[4:5], vcc
	s_xor_b64 s[4:5], exec, s[4:5]
; %bb.78:
	v_bfe_u32 v5, v4, 20, 1
	s_mov_b32 s16, 0x407ffff
	v_add3_u32 v5, v4, v5, s16
	v_lshrrev_b32_e32 v6, 20, v5
	v_and_b32_e32 v5, 0xff00000, v5
	s_mov_b32 s16, 0x7f00000
	v_mov_b32_e32 v7, 0x7e
	v_cmp_ne_u32_e32 vcc, s16, v5
	v_cndmask_b32_e32 v5, v7, v6, vcc
; %bb.79:
	s_andn2_saveexec_b64 s[4:5], s[4:5]
; %bb.80:
	s_mov_b32 s16, 0x46800000
	v_add_f32_e64 v5, |v4|, s16
; %bb.81:
	s_or_b64 exec, exec, s[4:5]
                                        ; implicit-def: $vgpr6
.LBB24_82:
	s_andn2_saveexec_b64 s[2:3], s[2:3]
; %bb.83:
	s_mov_b32 s4, 0x7f800000
	v_mov_b32_e32 v5, 0x7e
	v_mov_b32_e32 v7, 0x7f
	v_cmp_lt_u32_e32 vcc, s4, v6
	v_cndmask_b32_e32 v5, v5, v7, vcc
; %bb.84:
	s_or_b64 exec, exec, s[2:3]
	v_lshrrev_b32_e32 v4, 24, v4
	s_movk_i32 s2, 0x80
	v_and_or_b32 v4, v4, s2, v5
	global_store_byte v[0:1], v4, off
.LBB24_85:
	s_mov_b64 s[2:3], 0
.LBB24_86:
	s_andn2_b64 vcc, exec, s[2:3]
	s_cbranch_vccnz .LBB24_96
; %bb.87:
	v_cvt_f32_f16_e32 v4, v3
	s_mov_b32 s2, 0x47800000
                                        ; implicit-def: $vgpr5
	v_and_b32_e32 v6, 0x7fffffff, v4
	v_cmp_gt_u32_e32 vcc, s2, v6
	s_and_saveexec_b64 s[2:3], vcc
	s_xor_b64 s[2:3], exec, s[2:3]
	s_cbranch_execz .LBB24_93
; %bb.88:
	s_mov_b32 s4, 0x387fffff
	v_cmp_lt_u32_e32 vcc, s4, v6
                                        ; implicit-def: $vgpr5
	s_and_saveexec_b64 s[4:5], vcc
	s_xor_b64 s[4:5], exec, s[4:5]
; %bb.89:
	v_bfe_u32 v5, v4, 21, 1
	s_mov_b32 s16, 0x80fffff
	v_add3_u32 v5, v4, v5, s16
	v_lshrrev_b32_e32 v5, 21, v5
; %bb.90:
	s_andn2_saveexec_b64 s[4:5], s[4:5]
; %bb.91:
	s_mov_b32 s16, 0x43000000
	v_add_f32_e64 v5, |v4|, s16
; %bb.92:
	s_or_b64 exec, exec, s[4:5]
                                        ; implicit-def: $vgpr6
.LBB24_93:
	s_andn2_saveexec_b64 s[2:3], s[2:3]
; %bb.94:
	s_mov_b32 s4, 0x7f800000
	v_mov_b32_e32 v5, 0x7c
	v_mov_b32_e32 v7, 0x7f
	v_cmp_lt_u32_e32 vcc, s4, v6
	v_cndmask_b32_e32 v5, v5, v7, vcc
; %bb.95:
	s_or_b64 exec, exec, s[2:3]
	v_lshrrev_b32_e32 v4, 24, v4
	s_movk_i32 s2, 0x80
	v_and_or_b32 v4, v4, s2, v5
	global_store_byte v[0:1], v4, off
.LBB24_96:
	s_mov_b64 s[4:5], 0
	s_mov_b64 s[2:3], -1
.LBB24_97:
	s_andn2_b64 vcc, exec, s[4:5]
	s_cbranch_vccnz .LBB24_105
; %bb.98:
	s_cmp_gt_i32 s23, 14
	s_mov_b64 s[4:5], -1
	s_cbranch_scc0 .LBB24_102
; %bb.99:
	s_cmp_eq_u32 s23, 15
	s_mov_b64 s[0:1], -1
	s_cbranch_scc0 .LBB24_101
; %bb.100:
	v_cvt_f32_f16_e32 v4, v3
	s_movk_i32 s0, 0x7fff
	v_cmp_o_f16_e32 vcc, v3, v3
	v_mov_b32_e32 v5, 0x7fc0
	v_bfe_u32 v6, v4, 16, 1
	v_add3_u32 v4, v4, v6, s0
	v_cndmask_b32_sdwa v4, v5, v4, vcc dst_sel:DWORD dst_unused:UNUSED_PAD src0_sel:DWORD src1_sel:WORD_1
	global_store_short v[0:1], v4, off
	s_mov_b64 s[2:3], -1
	s_mov_b64 s[0:1], 0
.LBB24_101:
	s_mov_b64 s[4:5], 0
.LBB24_102:
	s_and_b64 vcc, exec, s[4:5]
	s_cbranch_vccz .LBB24_105
; %bb.103:
	s_cmp_eq_u32 s23, 11
	s_mov_b64 s[0:1], -1
	s_cbranch_scc0 .LBB24_105
; %bb.104:
	v_cmp_neq_f16_e32 vcc, 0, v3
	v_cndmask_b32_e64 v4, 0, 1, vcc
	s_mov_b64 s[2:3], -1
	s_mov_b64 s[0:1], 0
	global_store_byte v[0:1], v4, off
.LBB24_105:
	s_branch .LBB24_24
.LBB24_106:
	s_and_b32 s4, 0xffff, s22
	s_cmp_lt_i32 s4, 5
	s_mov_b64 s[2:3], -1
	s_cbranch_scc1 .LBB24_127
; %bb.107:
	s_cmp_lt_i32 s4, 8
	s_cbranch_scc1 .LBB24_117
; %bb.108:
	s_cmp_lt_i32 s4, 9
	s_cbranch_scc1 .LBB24_114
; %bb.109:
	s_cmp_gt_i32 s4, 9
	s_cbranch_scc0 .LBB24_111
; %bb.110:
	v_cvt_f32_f16_e32 v4, v3
	v_mov_b32_e32 v6, 0
	v_mov_b32_e32 v7, v6
	s_mov_b64 s[2:3], 0
	v_cvt_f64_f32_e32 v[4:5], v4
	global_store_dwordx4 v[0:1], v[4:7], off
.LBB24_111:
	s_andn2_b64 vcc, exec, s[2:3]
	s_cbranch_vccnz .LBB24_113
; %bb.112:
	v_cvt_f32_f16_e32 v4, v3
	v_mov_b32_e32 v5, 0
	global_store_dwordx2 v[0:1], v[4:5], off
.LBB24_113:
	s_mov_b64 s[2:3], 0
.LBB24_114:
	s_andn2_b64 vcc, exec, s[2:3]
	s_cbranch_vccnz .LBB24_116
; %bb.115:
	global_store_dword v[0:1], v3, off
.LBB24_116:
	s_mov_b64 s[2:3], 0
.LBB24_117:
	s_andn2_b64 vcc, exec, s[2:3]
	s_cbranch_vccnz .LBB24_126
; %bb.118:
	s_cmp_lt_i32 s4, 6
	s_mov_b64 s[2:3], -1
	s_cbranch_scc1 .LBB24_124
; %bb.119:
	s_cmp_gt_i32 s4, 6
	s_cbranch_scc0 .LBB24_121
; %bb.120:
	v_cvt_f32_f16_e32 v4, v3
	s_mov_b64 s[2:3], 0
	v_cvt_f64_f32_e32 v[4:5], v4
	global_store_dwordx2 v[0:1], v[4:5], off
.LBB24_121:
	s_andn2_b64 vcc, exec, s[2:3]
	s_cbranch_vccnz .LBB24_123
; %bb.122:
	v_cvt_f32_f16_e32 v4, v3
	global_store_dword v[0:1], v4, off
.LBB24_123:
	s_mov_b64 s[2:3], 0
.LBB24_124:
	s_andn2_b64 vcc, exec, s[2:3]
	s_cbranch_vccnz .LBB24_126
; %bb.125:
	global_store_short v[0:1], v3, off
.LBB24_126:
	s_mov_b64 s[2:3], 0
.LBB24_127:
	s_andn2_b64 vcc, exec, s[2:3]
	s_cbranch_vccnz .LBB24_143
; %bb.128:
	s_cmp_lt_i32 s4, 2
	s_mov_b64 s[2:3], -1
	s_cbranch_scc1 .LBB24_138
; %bb.129:
	s_cmp_lt_i32 s4, 3
	s_cbranch_scc1 .LBB24_135
; %bb.130:
	s_cmp_gt_i32 s4, 3
	s_cbranch_scc0 .LBB24_132
; %bb.131:
	v_cvt_f32_f16_e32 v4, v3
	s_mov_b64 s[2:3], 0
	v_cvt_i32_f32_e32 v4, v4
	v_ashrrev_i32_e32 v5, 31, v4
	global_store_dwordx2 v[0:1], v[4:5], off
.LBB24_132:
	s_andn2_b64 vcc, exec, s[2:3]
	s_cbranch_vccnz .LBB24_134
; %bb.133:
	v_cvt_f32_f16_e32 v4, v3
	v_cvt_i32_f32_e32 v4, v4
	global_store_dword v[0:1], v4, off
.LBB24_134:
	s_mov_b64 s[2:3], 0
.LBB24_135:
	s_andn2_b64 vcc, exec, s[2:3]
	s_cbranch_vccnz .LBB24_137
; %bb.136:
	v_cvt_i16_f16_e32 v4, v3
	global_store_short v[0:1], v4, off
.LBB24_137:
	s_mov_b64 s[2:3], 0
.LBB24_138:
	s_andn2_b64 vcc, exec, s[2:3]
	s_cbranch_vccnz .LBB24_143
; %bb.139:
	s_cmp_gt_i32 s4, 0
	s_mov_b64 s[2:3], -1
	s_cbranch_scc0 .LBB24_141
; %bb.140:
	v_cvt_i16_f16_e32 v4, v3
	global_store_byte v[0:1], v4, off
	s_mov_b64 s[2:3], 0
.LBB24_141:
	s_andn2_b64 vcc, exec, s[2:3]
	s_cbranch_vccnz .LBB24_143
; %bb.142:
	v_cvt_f32_f16_e32 v3, v3
	v_cvt_i32_f32_e32 v3, v3
	global_store_byte v[0:1], v3, off
.LBB24_143:
	s_branch .LBB24_25
.LBB24_144:
	s_mov_b64 s[2:3], 0
                                        ; implicit-def: $vgpr2
	s_branch .LBB24_254
.LBB24_145:
	s_mov_b64 s[18:19], -1
                                        ; implicit-def: $vgpr3
.LBB24_146:
	s_mov_b64 s[2:3], 0
.LBB24_147:
	s_and_b64 vcc, exec, s[2:3]
	s_cbranch_vccz .LBB24_151
; %bb.148:
	s_cmp_eq_u32 s16, 29
	s_cbranch_scc0 .LBB24_150
; %bb.149:
	global_load_dwordx2 v[3:4], v[0:1], off
	s_mov_b64 s[0:1], -1
	s_mov_b64 s[18:19], 0
	s_mov_b64 s[2:3], 0
	s_waitcnt vmcnt(0)
	v_ffbh_u32_e32 v5, v4
	v_min_u32_e32 v5, 32, v5
	v_lshlrev_b64 v[3:4], v5, v[3:4]
	v_min_u32_e32 v3, 1, v3
	v_or_b32_e32 v3, v4, v3
	v_cvt_f32_u32_e32 v3, v3
	v_sub_u32_e32 v4, 32, v5
	v_ldexp_f32 v3, v3, v4
	v_cvt_f16_f32_e32 v3, v3
	s_branch .LBB24_152
.LBB24_150:
	s_mov_b64 s[18:19], -1
                                        ; implicit-def: $vgpr3
.LBB24_151:
	s_mov_b64 s[2:3], 0
.LBB24_152:
	s_and_b64 vcc, exec, s[2:3]
	s_cbranch_vccz .LBB24_170
; %bb.153:
	s_cmp_lt_i32 s16, 27
	s_cbranch_scc1 .LBB24_156
; %bb.154:
	s_cmp_gt_i32 s16, 27
	s_cbranch_scc0 .LBB24_157
; %bb.155:
	global_load_dword v3, v[0:1], off
	s_mov_b64 s[0:1], 0
	s_waitcnt vmcnt(0)
	v_cvt_f32_u32_e32 v3, v3
	v_cvt_f16_f32_e32 v3, v3
	s_branch .LBB24_158
.LBB24_156:
	s_mov_b64 s[0:1], -1
                                        ; implicit-def: $vgpr3
	s_branch .LBB24_161
.LBB24_157:
	s_mov_b64 s[0:1], -1
                                        ; implicit-def: $vgpr3
.LBB24_158:
	s_andn2_b64 vcc, exec, s[0:1]
	s_cbranch_vccnz .LBB24_160
; %bb.159:
	global_load_ushort v3, v[0:1], off
	s_waitcnt vmcnt(0)
	v_cvt_f16_u16_e32 v3, v3
.LBB24_160:
	s_mov_b64 s[0:1], 0
.LBB24_161:
	s_andn2_b64 vcc, exec, s[0:1]
	s_cbranch_vccnz .LBB24_169
; %bb.162:
	global_load_ubyte v4, v[0:1], off
	s_movk_i32 s0, 0x7f
	s_waitcnt vmcnt(0)
	v_cmp_lt_i16_e32 vcc, s0, v4
	s_mov_b64 s[0:1], 0
	s_and_saveexec_b64 s[2:3], vcc
	s_xor_b64 s[2:3], exec, s[2:3]
	s_cbranch_execz .LBB24_182
; %bb.163:
	s_movk_i32 s0, 0x80
	v_cmp_eq_u16_e32 vcc, s0, v4
	s_mov_b64 s[0:1], -1
	s_and_saveexec_b64 s[4:5], vcc
; %bb.164:
	s_xor_b64 s[0:1], exec, -1
; %bb.165:
	s_or_b64 exec, exec, s[4:5]
	s_and_b64 s[0:1], s[0:1], exec
	s_or_saveexec_b64 s[2:3], s[2:3]
	v_mov_b32_e32 v3, 0x7e00
	s_xor_b64 exec, exec, s[2:3]
	s_cbranch_execnz .LBB24_183
.LBB24_166:
	s_or_b64 exec, exec, s[2:3]
	s_and_saveexec_b64 s[2:3], s[0:1]
	s_cbranch_execz .LBB24_168
.LBB24_167:
	v_lshlrev_b32_e32 v3, 24, v4
	v_and_b32_e32 v4, 0xffff, v4
	v_and_b32_e32 v5, 7, v4
	v_ffbh_u32_e32 v7, v5
	v_min_u32_e32 v7, 32, v7
	v_subrev_u32_e32 v8, 28, v7
	v_bfe_u32 v6, v4, 3, 4
	v_lshlrev_b32_e32 v4, v8, v4
	v_sub_u32_e32 v7, 29, v7
	v_and_b32_e32 v4, 7, v4
	v_cmp_eq_u32_e32 vcc, 0, v6
	v_cndmask_b32_e32 v6, v6, v7, vcc
	v_cndmask_b32_e32 v4, v5, v4, vcc
	v_mov_b32_e32 v5, 0x3b800000
	v_lshlrev_b32_e32 v4, 20, v4
	v_and_b32_e32 v3, 0x80000000, v3
	v_lshl_add_u32 v5, v6, 23, v5
	v_or3_b32 v3, v3, v5, v4
	v_cvt_f16_f32_e32 v3, v3
.LBB24_168:
	s_or_b64 exec, exec, s[2:3]
.LBB24_169:
	s_mov_b64 s[0:1], -1
.LBB24_170:
	s_branch .LBB24_205
.LBB24_171:
	s_cmp_gt_i32 s16, 22
	s_cbranch_scc0 .LBB24_181
; %bb.172:
	s_cmp_lt_i32 s16, 24
	s_cbranch_scc1 .LBB24_184
; %bb.173:
	s_cmp_gt_i32 s16, 24
	s_cbranch_scc0 .LBB24_185
; %bb.174:
	global_load_ubyte v4, v[0:1], off
	s_movk_i32 s0, 0x7f
	s_waitcnt vmcnt(0)
	v_cmp_lt_i16_e32 vcc, s0, v4
	s_mov_b64 s[0:1], 0
	s_and_saveexec_b64 s[2:3], vcc
	s_xor_b64 s[2:3], exec, s[2:3]
	s_cbranch_execz .LBB24_197
; %bb.175:
	s_movk_i32 s0, 0x80
	v_cmp_eq_u16_e32 vcc, s0, v4
	s_mov_b64 s[0:1], -1
	s_and_saveexec_b64 s[4:5], vcc
; %bb.176:
	s_xor_b64 s[0:1], exec, -1
; %bb.177:
	s_or_b64 exec, exec, s[4:5]
	s_and_b64 s[0:1], s[0:1], exec
	s_or_saveexec_b64 s[2:3], s[2:3]
	v_mov_b32_e32 v3, 0x7e00
	s_xor_b64 exec, exec, s[2:3]
	s_cbranch_execnz .LBB24_198
.LBB24_178:
	s_or_b64 exec, exec, s[2:3]
	s_and_saveexec_b64 s[2:3], s[0:1]
	s_cbranch_execz .LBB24_180
.LBB24_179:
	v_lshlrev_b32_e32 v3, 24, v4
	v_and_b32_e32 v4, 0xffff, v4
	v_and_b32_e32 v5, 3, v4
	v_ffbh_u32_e32 v7, v5
	v_min_u32_e32 v7, 32, v7
	v_subrev_u32_e32 v8, 29, v7
	v_bfe_u32 v6, v4, 2, 5
	v_lshlrev_b32_e32 v4, v8, v4
	v_sub_u32_e32 v7, 30, v7
	v_and_b32_e32 v4, 3, v4
	v_cmp_eq_u32_e32 vcc, 0, v6
	v_cndmask_b32_e32 v6, v6, v7, vcc
	v_cndmask_b32_e32 v4, v5, v4, vcc
	v_mov_b32_e32 v5, 0x37800000
	v_lshlrev_b32_e32 v4, 21, v4
	v_and_b32_e32 v3, 0x80000000, v3
	v_lshl_add_u32 v5, v6, 23, v5
	v_or3_b32 v3, v3, v5, v4
	v_cvt_f16_f32_e32 v3, v3
.LBB24_180:
	s_or_b64 exec, exec, s[2:3]
	s_mov_b64 s[0:1], 0
	s_branch .LBB24_186
.LBB24_181:
	s_mov_b64 s[2:3], -1
                                        ; implicit-def: $vgpr3
	s_branch .LBB24_192
.LBB24_182:
	s_or_saveexec_b64 s[2:3], s[2:3]
	v_mov_b32_e32 v3, 0x7e00
	s_xor_b64 exec, exec, s[2:3]
	s_cbranch_execz .LBB24_166
.LBB24_183:
	v_cmp_ne_u16_e32 vcc, 0, v4
	s_andn2_b64 s[0:1], s[0:1], exec
	s_and_b64 s[4:5], vcc, exec
	s_or_b64 s[0:1], s[0:1], s[4:5]
	v_mov_b32_e32 v3, v4
	s_or_b64 exec, exec, s[2:3]
	s_and_saveexec_b64 s[2:3], s[0:1]
	s_cbranch_execnz .LBB24_167
	s_branch .LBB24_168
.LBB24_184:
	s_mov_b64 s[0:1], -1
                                        ; implicit-def: $vgpr3
	s_branch .LBB24_189
.LBB24_185:
	s_mov_b64 s[0:1], -1
                                        ; implicit-def: $vgpr3
.LBB24_186:
	s_and_b64 vcc, exec, s[0:1]
	s_cbranch_vccz .LBB24_188
; %bb.187:
	global_load_ubyte v3, v[0:1], off
	s_mov_b32 s0, 0x7f800000
	s_waitcnt vmcnt(0)
	v_lshlrev_b32_e32 v3, 24, v3
	v_and_b32_e32 v4, 0x7f000000, v3
	v_ffbh_u32_e32 v5, v4
	v_min_u32_e32 v5, 32, v5
	v_sub_u32_e64 v5, v5, 4 clamp
	v_lshlrev_b32_e32 v7, v5, v4
	v_lshlrev_b32_e32 v5, 23, v5
	v_lshrrev_b32_e32 v7, 4, v7
	v_add_u32_e32 v6, 0x1000000, v4
	v_sub_u32_e32 v5, v7, v5
	v_ashrrev_i32_e32 v6, 8, v6
	v_add_u32_e32 v5, 0x3c000000, v5
	v_and_or_b32 v5, v6, s0, v5
	v_cmp_ne_u32_e32 vcc, 0, v4
	v_cndmask_b32_e32 v4, 0, v5, vcc
	s_brev_b32 s0, 1
	v_and_or_b32 v3, v3, s0, v4
	v_cvt_f16_f32_e32 v3, v3
.LBB24_188:
	s_mov_b64 s[0:1], 0
.LBB24_189:
	s_andn2_b64 vcc, exec, s[0:1]
	s_cbranch_vccnz .LBB24_191
; %bb.190:
	global_load_ubyte v3, v[0:1], off
	s_movk_i32 s0, 0x7f00
	s_brev_b32 s1, 16
	s_waitcnt vmcnt(0)
	v_lshlrev_b16_e32 v4, 8, v3
	v_lshlrev_b32_e32 v3, 25, v3
	v_lshrrev_b32_e32 v5, 4, v3
	v_and_or_b32 v6, v4, s0, 0.5
	v_or_b32_e32 v5, 0x70000000, v5
	v_add_f32_e32 v6, -0.5, v6
	v_mul_f32_e32 v5, 0x7800000, v5
	v_cmp_gt_u32_e32 vcc, s1, v3
	v_bfe_i32 v4, v4, 0, 16
	v_cndmask_b32_e32 v3, v5, v6, vcc
	s_brev_b32 s0, 1
	v_and_or_b32 v3, v4, s0, v3
	v_cvt_f16_f32_e32 v3, v3
.LBB24_191:
	s_mov_b64 s[2:3], 0
	s_mov_b64 s[0:1], -1
.LBB24_192:
	s_andn2_b64 vcc, exec, s[2:3]
	s_cbranch_vccnz .LBB24_205
; %bb.193:
	s_cmp_gt_i32 s16, 14
	s_cbranch_scc0 .LBB24_196
; %bb.194:
	s_cmp_eq_u32 s16, 15
	s_cbranch_scc0 .LBB24_199
; %bb.195:
	global_load_ushort v3, v[0:1], off
	s_mov_b64 s[0:1], -1
	s_mov_b64 s[18:19], 0
	s_waitcnt vmcnt(0)
	v_lshlrev_b32_e32 v3, 16, v3
	v_cvt_f16_f32_e32 v3, v3
	s_branch .LBB24_200
.LBB24_196:
	s_mov_b64 s[2:3], -1
                                        ; implicit-def: $vgpr3
	s_branch .LBB24_201
.LBB24_197:
	s_or_saveexec_b64 s[2:3], s[2:3]
	v_mov_b32_e32 v3, 0x7e00
	s_xor_b64 exec, exec, s[2:3]
	s_cbranch_execz .LBB24_178
.LBB24_198:
	v_cmp_ne_u16_e32 vcc, 0, v4
	s_andn2_b64 s[0:1], s[0:1], exec
	s_and_b64 s[4:5], vcc, exec
	s_or_b64 s[0:1], s[0:1], s[4:5]
	v_mov_b32_e32 v3, v4
	s_or_b64 exec, exec, s[2:3]
	s_and_saveexec_b64 s[2:3], s[0:1]
	s_cbranch_execnz .LBB24_179
	s_branch .LBB24_180
.LBB24_199:
	s_mov_b64 s[18:19], -1
                                        ; implicit-def: $vgpr3
.LBB24_200:
	s_mov_b64 s[2:3], 0
.LBB24_201:
	s_and_b64 vcc, exec, s[2:3]
	s_cbranch_vccz .LBB24_205
; %bb.202:
	s_cmp_eq_u32 s16, 11
	s_cbranch_scc0 .LBB24_204
; %bb.203:
	global_load_ubyte v3, v[0:1], off
	v_mov_b32_e32 v4, 0x3c00
	s_mov_b64 s[0:1], -1
	s_mov_b64 s[18:19], 0
	s_waitcnt vmcnt(0)
	v_cmp_ne_u16_e32 vcc, 0, v3
	v_cndmask_b32_e32 v3, 0, v4, vcc
	s_branch .LBB24_205
.LBB24_204:
	s_mov_b64 s[18:19], -1
                                        ; implicit-def: $vgpr3
.LBB24_205:
	s_branch .LBB24_10
.LBB24_206:
	s_cmp_lt_i32 s16, 5
	s_cbranch_scc1 .LBB24_211
; %bb.207:
	s_cmp_lt_i32 s16, 8
	s_cbranch_scc1 .LBB24_212
; %bb.208:
	;; [unrolled: 3-line block ×3, first 2 shown]
	s_cmp_gt_i32 s16, 9
	s_cbranch_scc0 .LBB24_214
; %bb.210:
	global_load_dwordx2 v[3:4], v[0:1], off
	s_movk_i32 s0, 0x1ff
	s_movk_i32 s1, 0xffe
	v_mov_b32_e32 v5, 0x7c00
	v_mov_b32_e32 v6, 0x7e00
	s_movk_i32 s2, 0x40f
	s_mov_b32 s3, 0x8000
	s_waitcnt vmcnt(0)
	v_and_or_b32 v3, v4, s0, v3
	v_cmp_ne_u32_e32 vcc, 0, v3
	v_lshrrev_b32_e32 v7, 8, v4
	v_bfe_u32 v8, v4, 20, 11
	v_cndmask_b32_e64 v3, 0, 1, vcc
	v_sub_u32_e32 v9, 0x3f1, v8
	v_and_or_b32 v3, v7, s1, v3
	v_add_u32_e32 v8, 0xfffffc10, v8
	v_med3_i32 v7, v9, 0, 13
	v_or_b32_e32 v9, 0x1000, v3
	v_cmp_ne_u32_e32 vcc, 0, v3
	v_lshl_or_b32 v10, v8, 12, v3
	v_cndmask_b32_e32 v3, v5, v6, vcc
	v_lshrrev_b32_e32 v6, v7, v9
	v_lshlrev_b32_e32 v7, v7, v6
	v_cmp_ne_u32_e32 vcc, v7, v9
	v_cndmask_b32_e64 v7, 0, 1, vcc
	v_or_b32_e32 v6, v6, v7
	v_cmp_gt_i32_e32 vcc, 1, v8
	v_cndmask_b32_e32 v6, v10, v6, vcc
	v_and_b32_e32 v7, 7, v6
	v_cmp_lt_i32_e32 vcc, 5, v7
	v_cndmask_b32_e64 v9, 0, 1, vcc
	v_cmp_eq_u32_e32 vcc, 3, v7
	v_cndmask_b32_e64 v7, 0, 1, vcc
	v_lshrrev_b32_e32 v6, 2, v6
	v_or_b32_e32 v7, v7, v9
	v_add_u32_e32 v6, v6, v7
	v_cmp_gt_i32_e32 vcc, 31, v8
	v_cndmask_b32_e32 v5, v5, v6, vcc
	v_cmp_eq_u32_e32 vcc, s2, v8
	v_lshrrev_b32_e32 v4, 16, v4
	v_cndmask_b32_e32 v3, v5, v3, vcc
	v_and_or_b32 v3, v4, s3, v3
	s_mov_b64 s[0:1], 0
	s_branch .LBB24_215
.LBB24_211:
                                        ; implicit-def: $vgpr3
	s_branch .LBB24_233
.LBB24_212:
	s_mov_b64 s[0:1], -1
                                        ; implicit-def: $vgpr3
	s_branch .LBB24_221
.LBB24_213:
	s_mov_b64 s[0:1], -1
                                        ; implicit-def: $vgpr3
	s_branch .LBB24_218
.LBB24_214:
	s_mov_b64 s[0:1], -1
                                        ; implicit-def: $vgpr3
.LBB24_215:
	s_andn2_b64 vcc, exec, s[0:1]
	s_cbranch_vccnz .LBB24_217
; %bb.216:
	global_load_dword v3, v[0:1], off
	s_waitcnt vmcnt(0)
	v_cvt_f16_f32_e32 v3, v3
.LBB24_217:
	s_mov_b64 s[0:1], 0
.LBB24_218:
	s_andn2_b64 vcc, exec, s[0:1]
	s_cbranch_vccnz .LBB24_220
; %bb.219:
	global_load_dword v3, v[0:1], off
.LBB24_220:
	s_mov_b64 s[0:1], 0
.LBB24_221:
	s_andn2_b64 vcc, exec, s[0:1]
	s_cbranch_vccnz .LBB24_232
; %bb.222:
	s_cmp_lt_i32 s16, 6
	s_cbranch_scc1 .LBB24_225
; %bb.223:
	s_cmp_gt_i32 s16, 6
	s_cbranch_scc0 .LBB24_226
; %bb.224:
	global_load_dwordx2 v[3:4], v[0:1], off
	s_movk_i32 s0, 0x1ff
	s_movk_i32 s1, 0xffe
	v_mov_b32_e32 v5, 0x7c00
	v_mov_b32_e32 v6, 0x7e00
	s_movk_i32 s2, 0x40f
	s_mov_b32 s3, 0x8000
	s_waitcnt vmcnt(0)
	v_and_or_b32 v3, v4, s0, v3
	v_cmp_ne_u32_e32 vcc, 0, v3
	v_lshrrev_b32_e32 v7, 8, v4
	v_bfe_u32 v8, v4, 20, 11
	v_cndmask_b32_e64 v3, 0, 1, vcc
	v_sub_u32_e32 v9, 0x3f1, v8
	v_and_or_b32 v3, v7, s1, v3
	v_add_u32_e32 v8, 0xfffffc10, v8
	v_med3_i32 v7, v9, 0, 13
	v_or_b32_e32 v9, 0x1000, v3
	v_cmp_ne_u32_e32 vcc, 0, v3
	v_lshl_or_b32 v10, v8, 12, v3
	v_cndmask_b32_e32 v3, v5, v6, vcc
	v_lshrrev_b32_e32 v6, v7, v9
	v_lshlrev_b32_e32 v7, v7, v6
	v_cmp_ne_u32_e32 vcc, v7, v9
	v_cndmask_b32_e64 v7, 0, 1, vcc
	v_or_b32_e32 v6, v6, v7
	v_cmp_gt_i32_e32 vcc, 1, v8
	v_cndmask_b32_e32 v6, v10, v6, vcc
	v_and_b32_e32 v7, 7, v6
	v_cmp_lt_i32_e32 vcc, 5, v7
	v_cndmask_b32_e64 v9, 0, 1, vcc
	v_cmp_eq_u32_e32 vcc, 3, v7
	v_cndmask_b32_e64 v7, 0, 1, vcc
	v_lshrrev_b32_e32 v6, 2, v6
	v_or_b32_e32 v7, v7, v9
	v_add_u32_e32 v6, v6, v7
	v_cmp_gt_i32_e32 vcc, 31, v8
	v_cndmask_b32_e32 v5, v5, v6, vcc
	v_cmp_eq_u32_e32 vcc, s2, v8
	v_lshrrev_b32_e32 v4, 16, v4
	v_cndmask_b32_e32 v3, v5, v3, vcc
	v_and_or_b32 v3, v4, s3, v3
	s_mov_b64 s[0:1], 0
	s_branch .LBB24_227
.LBB24_225:
	s_mov_b64 s[0:1], -1
                                        ; implicit-def: $vgpr3
	s_branch .LBB24_230
.LBB24_226:
	s_mov_b64 s[0:1], -1
                                        ; implicit-def: $vgpr3
.LBB24_227:
	s_andn2_b64 vcc, exec, s[0:1]
	s_cbranch_vccnz .LBB24_229
; %bb.228:
	global_load_dword v3, v[0:1], off
	s_waitcnt vmcnt(0)
	v_cvt_f16_f32_e32 v3, v3
.LBB24_229:
	s_mov_b64 s[0:1], 0
.LBB24_230:
	s_andn2_b64 vcc, exec, s[0:1]
	s_cbranch_vccnz .LBB24_232
; %bb.231:
	global_load_ushort v3, v[0:1], off
.LBB24_232:
	s_cbranch_execnz .LBB24_252
.LBB24_233:
	s_cmp_lt_i32 s16, 2
	s_cbranch_scc1 .LBB24_237
; %bb.234:
	s_cmp_lt_i32 s16, 3
	s_cbranch_scc1 .LBB24_238
; %bb.235:
	s_cmp_gt_i32 s16, 3
	s_cbranch_scc0 .LBB24_239
; %bb.236:
	global_load_dwordx2 v[3:4], v[0:1], off
	s_mov_b64 s[0:1], 0
	s_waitcnt vmcnt(0)
	v_xor_b32_e32 v6, v3, v4
	v_ffbh_i32_e32 v5, v4
	v_ashrrev_i32_e32 v6, 31, v6
	v_add_u32_e32 v5, -1, v5
	v_add_u32_e32 v6, 32, v6
	v_min_u32_e32 v5, v5, v6
	v_lshlrev_b64 v[3:4], v5, v[3:4]
	v_min_u32_e32 v3, 1, v3
	v_or_b32_e32 v3, v4, v3
	v_cvt_f32_i32_e32 v3, v3
	v_sub_u32_e32 v4, 32, v5
	v_ldexp_f32 v3, v3, v4
	v_cvt_f16_f32_e32 v3, v3
	s_branch .LBB24_240
.LBB24_237:
	s_mov_b64 s[0:1], -1
                                        ; implicit-def: $vgpr3
	s_branch .LBB24_246
.LBB24_238:
	s_mov_b64 s[0:1], -1
                                        ; implicit-def: $vgpr3
	s_branch .LBB24_243
.LBB24_239:
	s_mov_b64 s[0:1], -1
                                        ; implicit-def: $vgpr3
.LBB24_240:
	s_andn2_b64 vcc, exec, s[0:1]
	s_cbranch_vccnz .LBB24_242
; %bb.241:
	global_load_dword v3, v[0:1], off
	s_waitcnt vmcnt(0)
	v_cvt_f32_i32_e32 v3, v3
	v_cvt_f16_f32_e32 v3, v3
.LBB24_242:
	s_mov_b64 s[0:1], 0
.LBB24_243:
	s_andn2_b64 vcc, exec, s[0:1]
	s_cbranch_vccnz .LBB24_245
; %bb.244:
	global_load_ushort v3, v[0:1], off
	s_waitcnt vmcnt(0)
	v_cvt_f16_i16_e32 v3, v3
.LBB24_245:
	s_mov_b64 s[0:1], 0
.LBB24_246:
	s_andn2_b64 vcc, exec, s[0:1]
	s_cbranch_vccnz .LBB24_252
; %bb.247:
	s_cmp_gt_i32 s16, 0
	s_cbranch_scc0 .LBB24_249
; %bb.248:
	global_load_sbyte v3, v[0:1], off
	s_mov_b64 s[0:1], 0
	s_waitcnt vmcnt(0)
	v_cvt_f16_i16_e32 v3, v3
	s_branch .LBB24_250
.LBB24_249:
	s_mov_b64 s[0:1], -1
                                        ; implicit-def: $vgpr3
.LBB24_250:
	s_andn2_b64 vcc, exec, s[0:1]
	s_cbranch_vccnz .LBB24_252
; %bb.251:
	global_load_ubyte v0, v[0:1], off
	s_waitcnt vmcnt(0)
	v_cvt_f16_u16_e32 v3, v0
.LBB24_252:
	s_branch .LBB24_11
.LBB24_253:
	s_mov_b64 s[0:1], 0
                                        ; implicit-def: $vgpr2
	s_mov_b64 s[2:3], 0
.LBB24_254:
	s_and_b64 s[16:17], s[0:1], exec
	s_and_b64 s[18:19], s[18:19], exec
	s_orn2_b64 s[2:3], s[2:3], exec
.LBB24_255:
	s_or_b64 exec, exec, s[20:21]
	s_mov_b64 s[4:5], 0
	s_mov_b64 s[0:1], 0
                                        ; implicit-def: $vgpr0_vgpr1
                                        ; implicit-def: $vgpr4
	s_and_saveexec_b64 s[20:21], s[2:3]
	s_cbranch_execz .LBB24_264
; %bb.256:
	v_cmp_gt_i32_e32 vcc, s38, v2
	s_mov_b64 s[0:1], -1
	s_mov_b64 s[22:23], s[18:19]
	s_mov_b64 s[24:25], s[16:17]
	s_and_saveexec_b64 s[26:27], vcc
	s_cbranch_execz .LBB24_520
; %bb.257:
	v_mul_lo_u32 v0, v2, s13
	v_mov_b32_e32 v1, s11
	s_and_b32 s24, 0xffff, s42
	s_cmp_lt_i32 s24, 11
	s_waitcnt vmcnt(0)
	v_ashrrev_i32_e32 v3, 31, v0
	v_add_co_u32_e32 v0, vcc, s10, v0
	v_addc_co_u32_e32 v1, vcc, v1, v3, vcc
	s_cbranch_scc1 .LBB24_267
; %bb.258:
	s_cmp_gt_i32 s24, 25
	s_cbranch_scc0 .LBB24_280
; %bb.259:
	s_cmp_gt_i32 s24, 28
	s_cbranch_scc0 .LBB24_282
	;; [unrolled: 3-line block ×4, first 2 shown]
; %bb.262:
	s_cmp_eq_u32 s24, 46
	s_mov_b64 s[2:3], 0
	s_cbranch_scc0 .LBB24_292
; %bb.263:
	global_load_dword v3, v[0:1], off
	s_mov_b64 s[22:23], 0
	s_waitcnt vmcnt(0)
	v_lshlrev_b32_e32 v3, 16, v3
	v_cvt_f16_f32_e32 v3, v3
	s_branch .LBB24_293
.LBB24_264:
	s_or_b64 exec, exec, s[20:21]
	s_mov_b64 s[20:21], 0
	s_and_saveexec_b64 s[2:3], s[18:19]
	s_cbranch_execnz .LBB24_870
.LBB24_265:
	s_or_b64 exec, exec, s[2:3]
	s_and_saveexec_b64 s[2:3], s[24:25]
	s_xor_b64 s[2:3], exec, s[2:3]
	s_cbranch_execz .LBB24_871
.LBB24_266:
	global_load_ubyte v3, v[0:1], off
	v_mov_b32_e32 v4, 0x3c00
	s_or_b64 s[0:1], s[0:1], exec
	s_waitcnt vmcnt(0)
	v_cmp_ne_u16_e32 vcc, 0, v3
	v_cndmask_b32_e32 v4, 0, v4, vcc
	s_or_b64 exec, exec, s[2:3]
	s_and_saveexec_b64 s[2:3], s[4:5]
	s_cbranch_execz .LBB24_917
	s_branch .LBB24_872
.LBB24_267:
	s_mov_b64 s[0:1], 0
                                        ; implicit-def: $vgpr3
	s_mov_b64 s[22:23], s[18:19]
	s_cbranch_execnz .LBB24_470
.LBB24_268:
	s_andn2_b64 vcc, exec, s[0:1]
	s_cbranch_vccnz .LBB24_518
.LBB24_269:
	s_waitcnt vmcnt(0)
	v_cvt_f32_f16_e32 v0, v3
	s_brev_b32 s0, 18
                                        ; implicit-def: $vgpr3
                                        ; implicit-def: $vgpr4
	v_and_b32_e32 v1, 0x7fffffff, v0
	v_cmp_nlt_f32_e64 s[0:1], |v0|, s0
	s_and_saveexec_b64 s[2:3], s[0:1]
	s_xor_b64 s[24:25], exec, s[2:3]
	s_cbranch_execz .LBB24_271
; %bb.270:
	v_and_b32_e32 v3, 0x7fffff, v1
	v_or_b32_e32 v12, 0x800000, v3
	s_mov_b32 s0, 0xfe5163ab
	v_mad_u64_u32 v[3:4], s[0:1], v12, s0, 0
	v_mov_b32_e32 v5, 0
	s_mov_b32 s0, 0x3c439041
	v_mad_u64_u32 v[6:7], s[0:1], v12, s0, v[4:5]
	s_mov_b32 s0, 0xdb629599
	v_not_b32_e32 v11, 63
	v_mov_b32_e32 v4, v7
	v_mad_u64_u32 v[7:8], s[0:1], v12, s0, v[4:5]
	s_mov_b32 s0, 0xf534ddc0
	v_not_b32_e32 v14, 31
	v_mov_b32_e32 v4, v8
	v_mad_u64_u32 v[8:9], s[0:1], v12, s0, v[4:5]
	v_lshrrev_b32_e32 v4, 23, v1
	v_add_u32_e32 v13, 0xffffff88, v4
	v_mov_b32_e32 v4, v9
	s_mov_b32 s0, 0xfc2757d1
	v_mad_u64_u32 v[9:10], s[0:1], v12, s0, v[4:5]
	v_cmp_lt_u32_e32 vcc, 63, v13
	v_cndmask_b32_e32 v4, 0, v11, vcc
	v_add_u32_e32 v13, v4, v13
	v_mov_b32_e32 v4, v10
	s_mov_b32 s0, 0x4e441529
	v_mad_u64_u32 v[10:11], s[0:1], v12, s0, v[4:5]
	v_cmp_lt_u32_e64 s[0:1], 31, v13
	v_cndmask_b32_e64 v4, 0, v14, s[0:1]
	v_add_u32_e32 v13, v4, v13
	v_mov_b32_e32 v4, v11
	s_mov_b32 s2, 0xa2f9836e
	v_mad_u64_u32 v[4:5], s[2:3], v12, s2, v[4:5]
	v_cmp_lt_u32_e64 s[2:3], 31, v13
	v_cndmask_b32_e64 v11, 0, v14, s[2:3]
	v_cndmask_b32_e32 v12, v10, v8, vcc
	v_cndmask_b32_e32 v4, v4, v9, vcc
	;; [unrolled: 1-line block ×3, first 2 shown]
	v_add_u32_e32 v11, v11, v13
	v_cndmask_b32_e64 v13, v4, v12, s[0:1]
	v_cndmask_b32_e64 v4, v5, v4, s[0:1]
	v_cndmask_b32_e32 v5, v9, v7, vcc
	v_cndmask_b32_e64 v9, v12, v5, s[0:1]
	v_cndmask_b32_e64 v4, v4, v13, s[2:3]
	;; [unrolled: 1-line block ×3, first 2 shown]
	v_sub_u32_e32 v12, 32, v11
	v_alignbit_b32 v13, v4, v10, v12
	v_cmp_eq_u32_e64 s[4:5], 0, v11
	v_cndmask_b32_e64 v11, v13, v4, s[4:5]
	v_cndmask_b32_e32 v4, v8, v6, vcc
	v_cndmask_b32_e64 v5, v5, v4, s[0:1]
	v_cndmask_b32_e64 v6, v9, v5, s[2:3]
	v_alignbit_b32 v8, v10, v6, v12
	v_cndmask_b32_e32 v3, v7, v3, vcc
	v_cndmask_b32_e64 v8, v8, v10, s[4:5]
	v_bfe_u32 v13, v11, 29, 1
	v_cndmask_b32_e64 v3, v4, v3, s[0:1]
	v_alignbit_b32 v9, v11, v8, 30
	v_sub_u32_e32 v14, 0, v13
	v_cndmask_b32_e64 v3, v5, v3, s[2:3]
	v_xor_b32_e32 v9, v9, v14
	v_alignbit_b32 v4, v6, v3, v12
	v_cndmask_b32_e64 v4, v4, v6, s[4:5]
	v_ffbh_u32_e32 v6, v9
	v_alignbit_b32 v5, v8, v4, 30
	v_min_u32_e32 v6, 32, v6
	v_alignbit_b32 v3, v4, v3, 30
	v_xor_b32_e32 v5, v5, v14
	v_sub_u32_e32 v7, 31, v6
	v_xor_b32_e32 v3, v3, v14
	v_alignbit_b32 v8, v9, v5, v7
	v_alignbit_b32 v3, v5, v3, v7
	;; [unrolled: 1-line block ×3, first 2 shown]
	v_ffbh_u32_e32 v5, v4
	v_min_u32_e32 v5, 32, v5
	v_lshrrev_b32_e32 v10, 29, v11
	v_not_b32_e32 v7, v5
	v_alignbit_b32 v3, v4, v3, v7
	v_lshlrev_b32_e32 v4, 31, v10
	v_or_b32_e32 v7, 0x33000000, v4
	v_add_lshl_u32 v5, v5, v6, 23
	v_lshrrev_b32_e32 v3, 9, v3
	v_sub_u32_e32 v5, v7, v5
	v_or_b32_e32 v4, 0.5, v4
	v_lshlrev_b32_e32 v6, 23, v6
	v_or_b32_e32 v3, v5, v3
	v_lshrrev_b32_e32 v5, 9, v8
	v_sub_u32_e32 v4, v4, v6
	v_or_b32_e32 v4, v5, v4
	s_mov_b32 s0, 0x3fc90fda
	v_mul_f32_e32 v5, 0x3fc90fda, v4
	v_fma_f32 v6, v4, s0, -v5
	v_fmac_f32_e32 v6, 0x33a22168, v4
	v_fmac_f32_e32 v6, 0x3fc90fda, v3
	v_lshrrev_b32_e32 v3, 30, v11
	v_add_f32_e32 v4, v5, v6
	v_add_u32_e32 v3, v13, v3
.LBB24_271:
	s_andn2_saveexec_b64 s[0:1], s[24:25]
	s_cbranch_execz .LBB24_273
; %bb.272:
	s_mov_b32 s2, 0x3f22f983
	v_mul_f32_e64 v3, |v0|, s2
	v_rndne_f32_e32 v5, v3
	s_mov_b32 s2, 0xbfc90fda
	v_cvt_i32_f32_e32 v3, v5
	v_fma_f32 v4, v5, s2, |v0|
	v_fmac_f32_e32 v4, 0xb3a22168, v5
	v_fmac_f32_e32 v4, 0xa7c234c4, v5
.LBB24_273:
	s_or_b64 exec, exec, s[0:1]
	v_mul_f32_e32 v5, v4, v4
	v_mov_b32_e32 v6, 0x3c0881c4
	v_fmac_f32_e32 v6, 0xb94c1982, v5
	v_mov_b32_e32 v7, 0xbe2aaa9d
	v_fmac_f32_e32 v7, v5, v6
	v_mul_f32_e32 v6, v5, v7
	v_fmac_f32_e32 v4, v4, v6
	v_mov_b32_e32 v6, 0xbab64f3b
	v_fmac_f32_e32 v6, 0x37d75334, v5
	v_mov_b32_e32 v7, 0x3d2aabf7
	;; [unrolled: 2-line block ×3, first 2 shown]
	v_fmac_f32_e32 v6, v5, v7
	v_fma_f32 v5, v5, v6, 1.0
	v_and_b32_e32 v6, 1, v3
	v_lshlrev_b32_e32 v3, 30, v3
	v_cmp_eq_u32_e32 vcc, 0, v6
	v_and_b32_e32 v3, 0x80000000, v3
	v_xor_b32_e32 v1, v1, v0
	v_cndmask_b32_e32 v4, v5, v4, vcc
	v_xor_b32_e32 v1, v1, v3
	s_movk_i32 s0, 0x1f8
	v_xor_b32_e32 v1, v1, v4
	v_mov_b32_e32 v3, 0x7fc00000
	v_mul_lo_u32 v4, v2, s12
	v_cmp_class_f32_e64 vcc, v0, s0
	v_cndmask_b32_e32 v0, v3, v1, vcc
	v_cvt_f16_f32_e32 v3, v0
	v_ashrrev_i32_e32 v1, 31, v4
	v_mov_b32_e32 v5, s9
	s_and_b32 s28, s33, 0xff
	v_add_co_u32_e32 v0, vcc, s8, v4
	s_cmp_lt_i32 s28, 11
	v_addc_co_u32_e32 v1, vcc, v5, v1, vcc
	s_cbranch_scc1 .LBB24_281
; %bb.274:
	s_and_b32 s29, 0xffff, s28
	s_cmp_gt_i32 s29, 25
	s_cbranch_scc0 .LBB24_283
; %bb.275:
	s_cmp_gt_i32 s29, 28
	s_cbranch_scc0 .LBB24_285
; %bb.276:
	;; [unrolled: 3-line block ×4, first 2 shown]
	s_mov_b64 s[4:5], 0
	s_mov_b64 s[0:1], -1
	s_cmp_eq_u32 s29, 46
	s_mov_b64 s[2:3], 0
	s_cbranch_scc0 .LBB24_297
; %bb.279:
	v_cvt_f32_f16_e32 v4, v3
	s_movk_i32 s0, 0x7fff
	v_cmp_o_f16_e32 vcc, v3, v3
	v_mov_b32_e32 v5, 0x7fc0
	v_bfe_u32 v6, v4, 16, 1
	v_add3_u32 v4, v4, v6, s0
	v_cndmask_b32_sdwa v4, v5, v4, vcc dst_sel:DWORD dst_unused:UNUSED_PAD src0_sel:DWORD src1_sel:WORD_1
	global_store_dword v[0:1], v4, off
	s_mov_b64 s[2:3], -1
	s_mov_b64 s[0:1], 0
	s_branch .LBB24_297
.LBB24_280:
	s_mov_b64 s[2:3], -1
	s_mov_b64 s[0:1], 0
	s_mov_b64 s[22:23], s[18:19]
                                        ; implicit-def: $vgpr3
	s_branch .LBB24_434
.LBB24_281:
	s_mov_b64 s[4:5], -1
	s_mov_b64 s[2:3], 0
	s_mov_b64 s[0:1], s[16:17]
	s_branch .LBB24_366
.LBB24_282:
	s_mov_b64 s[2:3], -1
	s_mov_b64 s[0:1], 0
	s_mov_b64 s[22:23], s[18:19]
                                        ; implicit-def: $vgpr3
	s_branch .LBB24_415
.LBB24_283:
	s_mov_b64 s[4:5], -1
	s_mov_b64 s[2:3], 0
	s_mov_b64 s[0:1], s[16:17]
	s_branch .LBB24_324
.LBB24_284:
	s_mov_b64 s[2:3], -1
	s_mov_b64 s[0:1], 0
	s_mov_b64 s[22:23], s[18:19]
                                        ; implicit-def: $vgpr3
	s_branch .LBB24_410
.LBB24_285:
	s_mov_b64 s[4:5], -1
	s_mov_b64 s[2:3], 0
	s_mov_b64 s[0:1], s[16:17]
	s_branch .LBB24_307
.LBB24_286:
	s_andn2_saveexec_b64 s[16:17], s[16:17]
	s_cbranch_execz .LBB24_58
.LBB24_287:
	s_mov_b32 s26, 0x46000000
	v_add_f32_e64 v5, |v4|, s26
	v_and_b32_e32 v5, 0xff, v5
	v_cmp_ne_u32_e32 vcc, 0, v5
	s_andn2_b64 s[4:5], s[4:5], exec
	s_and_b64 s[26:27], vcc, exec
	s_or_b64 s[4:5], s[4:5], s[26:27]
	s_or_b64 exec, exec, s[16:17]
	v_mov_b32_e32 v6, 0
	s_and_saveexec_b64 s[16:17], s[4:5]
	s_cbranch_execnz .LBB24_59
	s_branch .LBB24_60
.LBB24_288:
	s_mov_b64 s[2:3], -1
	s_mov_b64 s[0:1], 0
	s_mov_b64 s[22:23], s[18:19]
                                        ; implicit-def: $vgpr3
	s_branch .LBB24_293
.LBB24_289:
	s_mov_b64 s[4:5], -1
	s_mov_b64 s[2:3], 0
	s_mov_b64 s[0:1], s[16:17]
	s_branch .LBB24_303
.LBB24_290:
	s_andn2_saveexec_b64 s[16:17], s[16:17]
	s_cbranch_execz .LBB24_71
.LBB24_291:
	s_mov_b32 s26, 0x42800000
	v_add_f32_e64 v5, |v4|, s26
	v_and_b32_e32 v5, 0xff, v5
	v_cmp_ne_u32_e32 vcc, 0, v5
	s_andn2_b64 s[4:5], s[4:5], exec
	s_and_b64 s[26:27], vcc, exec
	s_or_b64 s[4:5], s[4:5], s[26:27]
	s_or_b64 exec, exec, s[16:17]
	v_mov_b32_e32 v6, 0
	s_and_saveexec_b64 s[16:17], s[4:5]
	s_cbranch_execnz .LBB24_72
	s_branch .LBB24_73
.LBB24_292:
	s_mov_b64 s[22:23], -1
                                        ; implicit-def: $vgpr3
	s_mov_b64 s[0:1], 0
.LBB24_293:
	s_and_b64 vcc, exec, s[2:3]
	s_cbranch_vccz .LBB24_409
; %bb.294:
	s_cmp_eq_u32 s24, 44
	s_cbranch_scc0 .LBB24_408
; %bb.295:
	global_load_ubyte v3, v[0:1], off
	s_movk_i32 s2, 0xff
	v_mov_b32_e32 v5, 0x7e00
	s_mov_b64 s[0:1], -1
	s_mov_b64 s[22:23], 0
	s_waitcnt vmcnt(0)
	v_lshlrev_b32_e32 v4, 23, v3
	v_cvt_f16_f32_e32 v4, v4
	v_cmp_ne_u32_e32 vcc, s2, v3
	v_cndmask_b32_e32 v4, v5, v4, vcc
	v_cmp_ne_u32_e32 vcc, 0, v3
	v_cndmask_b32_e32 v3, 0, v4, vcc
	s_branch .LBB24_409
.LBB24_296:
	s_mov_b64 s[4:5], -1
	s_mov_b64 s[2:3], 0
	s_mov_b64 s[0:1], s[16:17]
.LBB24_297:
	s_and_b64 vcc, exec, s[4:5]
	s_cbranch_vccz .LBB24_302
; %bb.298:
	s_cmp_eq_u32 s29, 44
	s_mov_b64 s[0:1], -1
	s_cbranch_scc0 .LBB24_302
; %bb.299:
	v_cvt_f32_f16_e32 v4, v3
	s_movk_i32 s0, 0xff
	v_mov_b32_e32 v6, 0xff
	v_bfe_u32 v5, v4, 23, 8
	v_cmp_ne_u32_e32 vcc, s0, v5
	s_and_saveexec_b64 s[2:3], vcc
; %bb.300:
	s_mov_b32 s0, 0x3fffff
	v_lshrrev_b32_e32 v6, 23, v4
	v_and_b32_e32 v7, 0x400000, v4
	v_and_or_b32 v4, v4, s0, v5
	v_cmp_ne_u32_e32 vcc, 0, v7
	v_cmp_ne_u32_e64 s[0:1], 0, v4
	s_and_b64 s[0:1], vcc, s[0:1]
	v_cndmask_b32_e64 v4, 0, 1, s[0:1]
	v_add_u32_e32 v6, v6, v4
; %bb.301:
	s_or_b64 exec, exec, s[2:3]
	s_mov_b64 s[2:3], -1
	s_mov_b64 s[0:1], 0
	global_store_byte v[0:1], v6, off
.LBB24_302:
	s_mov_b64 s[4:5], 0
.LBB24_303:
	s_and_b64 vcc, exec, s[4:5]
	s_cbranch_vccz .LBB24_306
; %bb.304:
	s_cmp_eq_u32 s29, 29
	s_mov_b64 s[0:1], -1
	s_cbranch_scc0 .LBB24_306
; %bb.305:
	v_cvt_f32_f16_e32 v4, v3
	v_mov_b32_e32 v5, 0
	s_mov_b64 s[2:3], -1
	s_mov_b64 s[0:1], 0
	v_cvt_u32_f32_e32 v4, v4
	s_mov_b64 s[4:5], 0
	global_store_dwordx2 v[0:1], v[4:5], off
	s_branch .LBB24_307
.LBB24_306:
	s_mov_b64 s[4:5], 0
.LBB24_307:
	s_and_b64 vcc, exec, s[4:5]
	s_cbranch_vccz .LBB24_323
; %bb.308:
	s_cmp_lt_i32 s29, 27
	s_mov_b64 s[2:3], -1
	s_cbranch_scc1 .LBB24_314
; %bb.309:
	s_cmp_gt_i32 s29, 27
	s_cbranch_scc0 .LBB24_311
; %bb.310:
	v_cvt_f32_f16_e32 v4, v3
	s_mov_b64 s[2:3], 0
	v_cvt_u32_f32_e32 v4, v4
	global_store_dword v[0:1], v4, off
.LBB24_311:
	s_andn2_b64 vcc, exec, s[2:3]
	s_cbranch_vccnz .LBB24_313
; %bb.312:
	v_cvt_u16_f16_e32 v4, v3
	global_store_short v[0:1], v4, off
.LBB24_313:
	s_mov_b64 s[2:3], 0
.LBB24_314:
	s_andn2_b64 vcc, exec, s[2:3]
	s_cbranch_vccnz .LBB24_322
; %bb.315:
	v_cvt_f32_f16_e32 v4, v3
	s_mov_b32 s2, 0x43800000
	v_mov_b32_e32 v6, 0x80
	v_and_b32_e32 v5, 0x7fffffff, v4
	v_cmp_gt_u32_e32 vcc, s2, v5
	s_and_saveexec_b64 s[2:3], vcc
	s_cbranch_execz .LBB24_321
; %bb.316:
	s_mov_b32 s4, 0x3bffffff
	v_cmp_lt_u32_e32 vcc, s4, v5
	s_mov_b64 s[4:5], 0
                                        ; implicit-def: $vgpr5
	s_and_saveexec_b64 s[24:25], vcc
	s_xor_b64 s[24:25], exec, s[24:25]
	s_cbranch_execz .LBB24_533
; %bb.317:
	v_bfe_u32 v5, v4, 20, 1
	s_mov_b32 s30, 0x487ffff
	v_add3_u32 v5, v4, v5, s30
	s_mov_b64 s[4:5], exec
	v_lshrrev_b32_e32 v5, 20, v5
	s_andn2_saveexec_b64 s[24:25], s[24:25]
	s_cbranch_execnz .LBB24_534
.LBB24_318:
	s_or_b64 exec, exec, s[24:25]
	v_mov_b32_e32 v6, 0
	s_and_saveexec_b64 s[24:25], s[4:5]
.LBB24_319:
	v_lshrrev_b32_e32 v4, 24, v4
	s_movk_i32 s4, 0x80
	v_and_or_b32 v6, v4, s4, v5
.LBB24_320:
	s_or_b64 exec, exec, s[24:25]
.LBB24_321:
	s_or_b64 exec, exec, s[2:3]
	global_store_byte v[0:1], v6, off
.LBB24_322:
	s_mov_b64 s[2:3], -1
.LBB24_323:
	s_mov_b64 s[4:5], 0
.LBB24_324:
	s_and_b64 vcc, exec, s[4:5]
	s_cbranch_vccz .LBB24_365
; %bb.325:
	s_cmp_gt_i32 s29, 22
	s_mov_b64 s[4:5], -1
	s_cbranch_scc0 .LBB24_357
; %bb.326:
	s_cmp_lt_i32 s29, 24
	s_mov_b64 s[2:3], -1
	s_cbranch_scc1 .LBB24_346
; %bb.327:
	s_cmp_gt_i32 s29, 24
	s_cbranch_scc0 .LBB24_335
; %bb.328:
	v_cvt_f32_f16_e32 v4, v3
	s_mov_b32 s2, 0x47800000
	v_mov_b32_e32 v6, 0x80
	v_and_b32_e32 v5, 0x7fffffff, v4
	v_cmp_gt_u32_e32 vcc, s2, v5
	s_and_saveexec_b64 s[2:3], vcc
	s_cbranch_execz .LBB24_334
; %bb.329:
	s_mov_b32 s4, 0x37ffffff
	v_cmp_lt_u32_e32 vcc, s4, v5
	s_mov_b64 s[4:5], 0
                                        ; implicit-def: $vgpr5
	s_and_saveexec_b64 s[24:25], vcc
	s_xor_b64 s[24:25], exec, s[24:25]
	s_cbranch_execz .LBB24_536
; %bb.330:
	v_bfe_u32 v5, v4, 21, 1
	s_mov_b32 s30, 0x88fffff
	v_add3_u32 v5, v4, v5, s30
	s_mov_b64 s[4:5], exec
	v_lshrrev_b32_e32 v5, 21, v5
	s_andn2_saveexec_b64 s[24:25], s[24:25]
	s_cbranch_execnz .LBB24_537
.LBB24_331:
	s_or_b64 exec, exec, s[24:25]
	v_mov_b32_e32 v6, 0
	s_and_saveexec_b64 s[24:25], s[4:5]
.LBB24_332:
	v_lshrrev_b32_e32 v4, 24, v4
	s_movk_i32 s4, 0x80
	v_and_or_b32 v6, v4, s4, v5
.LBB24_333:
	s_or_b64 exec, exec, s[24:25]
.LBB24_334:
	s_or_b64 exec, exec, s[2:3]
	s_mov_b64 s[2:3], 0
	global_store_byte v[0:1], v6, off
.LBB24_335:
	s_and_b64 vcc, exec, s[2:3]
	s_cbranch_vccz .LBB24_345
; %bb.336:
	v_cvt_f32_f16_e32 v4, v3
	s_mov_b32 s2, 0x43f00000
                                        ; implicit-def: $vgpr5
	v_and_b32_e32 v6, 0x7fffffff, v4
	v_cmp_gt_u32_e32 vcc, s2, v6
	s_and_saveexec_b64 s[2:3], vcc
	s_xor_b64 s[2:3], exec, s[2:3]
	s_cbranch_execz .LBB24_342
; %bb.337:
	s_mov_b32 s4, 0x3c7fffff
	v_cmp_lt_u32_e32 vcc, s4, v6
                                        ; implicit-def: $vgpr5
	s_and_saveexec_b64 s[4:5], vcc
	s_xor_b64 s[4:5], exec, s[4:5]
; %bb.338:
	v_bfe_u32 v5, v4, 20, 1
	s_mov_b32 s24, 0x407ffff
	v_add3_u32 v5, v4, v5, s24
	v_lshrrev_b32_e32 v6, 20, v5
	v_and_b32_e32 v5, 0xff00000, v5
	s_mov_b32 s24, 0x7f00000
	v_mov_b32_e32 v7, 0x7e
	v_cmp_ne_u32_e32 vcc, s24, v5
	v_cndmask_b32_e32 v5, v7, v6, vcc
; %bb.339:
	s_andn2_saveexec_b64 s[4:5], s[4:5]
; %bb.340:
	s_mov_b32 s24, 0x46800000
	v_add_f32_e64 v5, |v4|, s24
; %bb.341:
	s_or_b64 exec, exec, s[4:5]
                                        ; implicit-def: $vgpr6
.LBB24_342:
	s_andn2_saveexec_b64 s[2:3], s[2:3]
; %bb.343:
	s_mov_b32 s4, 0x7f800000
	v_mov_b32_e32 v5, 0x7e
	v_mov_b32_e32 v7, 0x7f
	v_cmp_lt_u32_e32 vcc, s4, v6
	v_cndmask_b32_e32 v5, v5, v7, vcc
; %bb.344:
	s_or_b64 exec, exec, s[2:3]
	v_lshrrev_b32_e32 v4, 24, v4
	s_movk_i32 s2, 0x80
	v_and_or_b32 v4, v4, s2, v5
	global_store_byte v[0:1], v4, off
.LBB24_345:
	s_mov_b64 s[2:3], 0
.LBB24_346:
	s_andn2_b64 vcc, exec, s[2:3]
	s_cbranch_vccnz .LBB24_356
; %bb.347:
	v_cvt_f32_f16_e32 v4, v3
	s_mov_b32 s2, 0x47800000
                                        ; implicit-def: $vgpr5
	v_and_b32_e32 v6, 0x7fffffff, v4
	v_cmp_gt_u32_e32 vcc, s2, v6
	s_and_saveexec_b64 s[2:3], vcc
	s_xor_b64 s[2:3], exec, s[2:3]
	s_cbranch_execz .LBB24_353
; %bb.348:
	s_mov_b32 s4, 0x387fffff
	v_cmp_lt_u32_e32 vcc, s4, v6
                                        ; implicit-def: $vgpr5
	s_and_saveexec_b64 s[4:5], vcc
	s_xor_b64 s[4:5], exec, s[4:5]
; %bb.349:
	v_bfe_u32 v5, v4, 21, 1
	s_mov_b32 s24, 0x80fffff
	v_add3_u32 v5, v4, v5, s24
	v_lshrrev_b32_e32 v5, 21, v5
; %bb.350:
	s_andn2_saveexec_b64 s[4:5], s[4:5]
; %bb.351:
	s_mov_b32 s24, 0x43000000
	v_add_f32_e64 v5, |v4|, s24
; %bb.352:
	s_or_b64 exec, exec, s[4:5]
                                        ; implicit-def: $vgpr6
.LBB24_353:
	s_andn2_saveexec_b64 s[2:3], s[2:3]
; %bb.354:
	s_mov_b32 s4, 0x7f800000
	v_mov_b32_e32 v5, 0x7c
	v_mov_b32_e32 v7, 0x7f
	v_cmp_lt_u32_e32 vcc, s4, v6
	v_cndmask_b32_e32 v5, v5, v7, vcc
; %bb.355:
	s_or_b64 exec, exec, s[2:3]
	v_lshrrev_b32_e32 v4, 24, v4
	s_movk_i32 s2, 0x80
	v_and_or_b32 v4, v4, s2, v5
	global_store_byte v[0:1], v4, off
.LBB24_356:
	s_mov_b64 s[4:5], 0
	s_mov_b64 s[2:3], -1
.LBB24_357:
	s_andn2_b64 vcc, exec, s[4:5]
	s_cbranch_vccnz .LBB24_365
; %bb.358:
	s_cmp_gt_i32 s29, 14
	s_mov_b64 s[4:5], -1
	s_cbranch_scc0 .LBB24_362
; %bb.359:
	s_cmp_eq_u32 s29, 15
	s_mov_b64 s[0:1], -1
	s_cbranch_scc0 .LBB24_361
; %bb.360:
	v_cvt_f32_f16_e32 v4, v3
	s_movk_i32 s0, 0x7fff
	v_cmp_o_f16_e32 vcc, v3, v3
	v_mov_b32_e32 v5, 0x7fc0
	v_bfe_u32 v6, v4, 16, 1
	v_add3_u32 v4, v4, v6, s0
	v_cndmask_b32_sdwa v4, v5, v4, vcc dst_sel:DWORD dst_unused:UNUSED_PAD src0_sel:DWORD src1_sel:WORD_1
	global_store_short v[0:1], v4, off
	s_mov_b64 s[2:3], -1
	s_mov_b64 s[0:1], 0
.LBB24_361:
	s_mov_b64 s[4:5], 0
.LBB24_362:
	s_and_b64 vcc, exec, s[4:5]
	s_cbranch_vccz .LBB24_365
; %bb.363:
	s_cmp_eq_u32 s29, 11
	s_mov_b64 s[0:1], -1
	s_cbranch_scc0 .LBB24_365
; %bb.364:
	v_cmp_neq_f16_e32 vcc, 0, v3
	v_cndmask_b32_e64 v4, 0, 1, vcc
	s_mov_b64 s[2:3], -1
	s_mov_b64 s[0:1], 0
	global_store_byte v[0:1], v4, off
.LBB24_365:
	s_mov_b64 s[4:5], 0
.LBB24_366:
	s_and_b64 vcc, exec, s[4:5]
	s_cbranch_vccz .LBB24_405
; %bb.367:
	s_and_b32 s4, 0xffff, s28
	s_cmp_lt_i32 s4, 5
	s_mov_b64 s[2:3], -1
	s_cbranch_scc1 .LBB24_388
; %bb.368:
	s_cmp_lt_i32 s4, 8
	s_cbranch_scc1 .LBB24_378
; %bb.369:
	s_cmp_lt_i32 s4, 9
	s_cbranch_scc1 .LBB24_375
; %bb.370:
	s_cmp_gt_i32 s4, 9
	s_cbranch_scc0 .LBB24_372
; %bb.371:
	v_cvt_f32_f16_e32 v4, v3
	v_mov_b32_e32 v6, 0
	v_mov_b32_e32 v7, v6
	s_mov_b64 s[2:3], 0
	v_cvt_f64_f32_e32 v[4:5], v4
	global_store_dwordx4 v[0:1], v[4:7], off
.LBB24_372:
	s_andn2_b64 vcc, exec, s[2:3]
	s_cbranch_vccnz .LBB24_374
; %bb.373:
	v_cvt_f32_f16_e32 v4, v3
	v_mov_b32_e32 v5, 0
	global_store_dwordx2 v[0:1], v[4:5], off
.LBB24_374:
	s_mov_b64 s[2:3], 0
.LBB24_375:
	s_andn2_b64 vcc, exec, s[2:3]
	s_cbranch_vccnz .LBB24_377
; %bb.376:
	global_store_dword v[0:1], v3, off
.LBB24_377:
	s_mov_b64 s[2:3], 0
.LBB24_378:
	s_andn2_b64 vcc, exec, s[2:3]
	s_cbranch_vccnz .LBB24_387
; %bb.379:
	s_cmp_lt_i32 s4, 6
	s_mov_b64 s[2:3], -1
	s_cbranch_scc1 .LBB24_385
; %bb.380:
	s_cmp_gt_i32 s4, 6
	s_cbranch_scc0 .LBB24_382
; %bb.381:
	v_cvt_f32_f16_e32 v4, v3
	s_mov_b64 s[2:3], 0
	v_cvt_f64_f32_e32 v[4:5], v4
	global_store_dwordx2 v[0:1], v[4:5], off
.LBB24_382:
	s_andn2_b64 vcc, exec, s[2:3]
	s_cbranch_vccnz .LBB24_384
; %bb.383:
	v_cvt_f32_f16_e32 v4, v3
	global_store_dword v[0:1], v4, off
.LBB24_384:
	s_mov_b64 s[2:3], 0
.LBB24_385:
	s_andn2_b64 vcc, exec, s[2:3]
	s_cbranch_vccnz .LBB24_387
; %bb.386:
	global_store_short v[0:1], v3, off
.LBB24_387:
	s_mov_b64 s[2:3], 0
.LBB24_388:
	s_andn2_b64 vcc, exec, s[2:3]
	s_cbranch_vccnz .LBB24_404
; %bb.389:
	s_cmp_lt_i32 s4, 2
	s_mov_b64 s[2:3], -1
	s_cbranch_scc1 .LBB24_399
; %bb.390:
	s_cmp_lt_i32 s4, 3
	s_cbranch_scc1 .LBB24_396
; %bb.391:
	s_cmp_gt_i32 s4, 3
	s_cbranch_scc0 .LBB24_393
; %bb.392:
	v_cvt_f32_f16_e32 v4, v3
	s_mov_b64 s[2:3], 0
	v_cvt_i32_f32_e32 v4, v4
	v_ashrrev_i32_e32 v5, 31, v4
	global_store_dwordx2 v[0:1], v[4:5], off
.LBB24_393:
	s_andn2_b64 vcc, exec, s[2:3]
	s_cbranch_vccnz .LBB24_395
; %bb.394:
	v_cvt_f32_f16_e32 v4, v3
	v_cvt_i32_f32_e32 v4, v4
	global_store_dword v[0:1], v4, off
.LBB24_395:
	s_mov_b64 s[2:3], 0
.LBB24_396:
	s_andn2_b64 vcc, exec, s[2:3]
	s_cbranch_vccnz .LBB24_398
; %bb.397:
	v_cvt_i16_f16_e32 v4, v3
	global_store_short v[0:1], v4, off
.LBB24_398:
	s_mov_b64 s[2:3], 0
.LBB24_399:
	s_andn2_b64 vcc, exec, s[2:3]
	s_cbranch_vccnz .LBB24_404
; %bb.400:
	s_cmp_gt_i32 s4, 0
	s_mov_b64 s[2:3], -1
	s_cbranch_scc0 .LBB24_402
; %bb.401:
	v_cvt_i16_f16_e32 v4, v3
	s_mov_b64 s[2:3], 0
	global_store_byte v[0:1], v4, off
.LBB24_402:
	s_andn2_b64 vcc, exec, s[2:3]
	s_cbranch_vccnz .LBB24_404
; %bb.403:
	v_cvt_f32_f16_e32 v3, v3
	v_cvt_i32_f32_e32 v3, v3
	global_store_byte v[0:1], v3, off
.LBB24_404:
	s_mov_b64 s[2:3], -1
.LBB24_405:
	s_andn2_b64 vcc, exec, s[2:3]
	s_cbranch_vccnz .LBB24_407
; %bb.406:
	v_add_u32_e32 v2, 0x80, v2
	s_mov_b64 s[2:3], -1
	s_branch .LBB24_519
.LBB24_407:
	s_mov_b64 s[2:3], 0
                                        ; implicit-def: $vgpr2
	s_branch .LBB24_519
.LBB24_408:
	s_mov_b64 s[22:23], -1
                                        ; implicit-def: $vgpr3
.LBB24_409:
	s_mov_b64 s[2:3], 0
.LBB24_410:
	s_and_b64 vcc, exec, s[2:3]
	s_cbranch_vccz .LBB24_414
; %bb.411:
	s_cmp_eq_u32 s24, 29
	s_cbranch_scc0 .LBB24_413
; %bb.412:
	global_load_dwordx2 v[3:4], v[0:1], off
	s_mov_b64 s[0:1], -1
	s_mov_b64 s[22:23], 0
	s_mov_b64 s[2:3], 0
	s_waitcnt vmcnt(0)
	v_ffbh_u32_e32 v5, v4
	v_min_u32_e32 v5, 32, v5
	v_lshlrev_b64 v[3:4], v5, v[3:4]
	v_min_u32_e32 v3, 1, v3
	v_or_b32_e32 v3, v4, v3
	v_cvt_f32_u32_e32 v3, v3
	v_sub_u32_e32 v4, 32, v5
	v_ldexp_f32 v3, v3, v4
	v_cvt_f16_f32_e32 v3, v3
	s_branch .LBB24_415
.LBB24_413:
	s_mov_b64 s[22:23], -1
                                        ; implicit-def: $vgpr3
.LBB24_414:
	s_mov_b64 s[2:3], 0
.LBB24_415:
	s_and_b64 vcc, exec, s[2:3]
	s_cbranch_vccz .LBB24_433
; %bb.416:
	s_cmp_lt_i32 s24, 27
	s_cbranch_scc1 .LBB24_419
; %bb.417:
	s_cmp_gt_i32 s24, 27
	s_cbranch_scc0 .LBB24_420
; %bb.418:
	global_load_dword v3, v[0:1], off
	s_mov_b64 s[0:1], 0
	s_waitcnt vmcnt(0)
	v_cvt_f32_u32_e32 v3, v3
	v_cvt_f16_f32_e32 v3, v3
	s_branch .LBB24_421
.LBB24_419:
	s_mov_b64 s[0:1], -1
                                        ; implicit-def: $vgpr3
	s_branch .LBB24_424
.LBB24_420:
	s_mov_b64 s[0:1], -1
                                        ; implicit-def: $vgpr3
.LBB24_421:
	s_andn2_b64 vcc, exec, s[0:1]
	s_cbranch_vccnz .LBB24_423
; %bb.422:
	global_load_ushort v3, v[0:1], off
	s_waitcnt vmcnt(0)
	v_cvt_f16_u16_e32 v3, v3
.LBB24_423:
	s_mov_b64 s[0:1], 0
.LBB24_424:
	s_andn2_b64 vcc, exec, s[0:1]
	s_cbranch_vccnz .LBB24_432
; %bb.425:
	global_load_ubyte v4, v[0:1], off
	s_movk_i32 s0, 0x7f
	s_waitcnt vmcnt(0)
	v_cmp_lt_i16_e32 vcc, s0, v4
	s_mov_b64 s[0:1], 0
	s_and_saveexec_b64 s[2:3], vcc
	s_xor_b64 s[2:3], exec, s[2:3]
	s_cbranch_execz .LBB24_446
; %bb.426:
	s_movk_i32 s0, 0x80
	v_cmp_eq_u16_e32 vcc, s0, v4
	s_mov_b64 s[0:1], -1
	s_and_saveexec_b64 s[4:5], vcc
; %bb.427:
	s_xor_b64 s[0:1], exec, -1
; %bb.428:
	s_or_b64 exec, exec, s[4:5]
	s_and_b64 s[0:1], s[0:1], exec
	s_or_saveexec_b64 s[2:3], s[2:3]
	v_mov_b32_e32 v3, 0x7e00
	s_xor_b64 exec, exec, s[2:3]
	s_cbranch_execnz .LBB24_447
.LBB24_429:
	s_or_b64 exec, exec, s[2:3]
	s_and_saveexec_b64 s[2:3], s[0:1]
	s_cbranch_execz .LBB24_431
.LBB24_430:
	v_lshlrev_b32_e32 v3, 24, v4
	v_and_b32_e32 v4, 0xffff, v4
	v_and_b32_e32 v5, 7, v4
	v_ffbh_u32_e32 v7, v5
	v_min_u32_e32 v7, 32, v7
	v_subrev_u32_e32 v8, 28, v7
	v_bfe_u32 v6, v4, 3, 4
	v_lshlrev_b32_e32 v4, v8, v4
	v_sub_u32_e32 v7, 29, v7
	v_and_b32_e32 v4, 7, v4
	v_cmp_eq_u32_e32 vcc, 0, v6
	v_cndmask_b32_e32 v6, v6, v7, vcc
	v_cndmask_b32_e32 v4, v5, v4, vcc
	v_mov_b32_e32 v5, 0x3b800000
	v_lshlrev_b32_e32 v4, 20, v4
	v_and_b32_e32 v3, 0x80000000, v3
	v_lshl_add_u32 v5, v6, 23, v5
	v_or3_b32 v3, v3, v5, v4
	v_cvt_f16_f32_e32 v3, v3
.LBB24_431:
	s_or_b64 exec, exec, s[2:3]
.LBB24_432:
	s_mov_b64 s[0:1], -1
.LBB24_433:
	s_mov_b64 s[2:3], 0
.LBB24_434:
	s_and_b64 vcc, exec, s[2:3]
	s_cbranch_vccz .LBB24_469
; %bb.435:
	s_cmp_gt_i32 s24, 22
	s_cbranch_scc0 .LBB24_445
; %bb.436:
	s_cmp_lt_i32 s24, 24
	s_cbranch_scc1 .LBB24_448
; %bb.437:
	s_cmp_gt_i32 s24, 24
	s_cbranch_scc0 .LBB24_449
; %bb.438:
	global_load_ubyte v4, v[0:1], off
	s_movk_i32 s0, 0x7f
	s_waitcnt vmcnt(0)
	v_cmp_lt_i16_e32 vcc, s0, v4
	s_mov_b64 s[0:1], 0
	s_and_saveexec_b64 s[2:3], vcc
	s_xor_b64 s[2:3], exec, s[2:3]
	s_cbranch_execz .LBB24_461
; %bb.439:
	s_movk_i32 s0, 0x80
	v_cmp_eq_u16_e32 vcc, s0, v4
	s_mov_b64 s[0:1], -1
	s_and_saveexec_b64 s[4:5], vcc
; %bb.440:
	s_xor_b64 s[0:1], exec, -1
; %bb.441:
	s_or_b64 exec, exec, s[4:5]
	s_and_b64 s[0:1], s[0:1], exec
	s_or_saveexec_b64 s[2:3], s[2:3]
	v_mov_b32_e32 v3, 0x7e00
	s_xor_b64 exec, exec, s[2:3]
	s_cbranch_execnz .LBB24_462
.LBB24_442:
	s_or_b64 exec, exec, s[2:3]
	s_and_saveexec_b64 s[2:3], s[0:1]
	s_cbranch_execz .LBB24_444
.LBB24_443:
	v_lshlrev_b32_e32 v3, 24, v4
	v_and_b32_e32 v4, 0xffff, v4
	v_and_b32_e32 v5, 3, v4
	v_ffbh_u32_e32 v7, v5
	v_min_u32_e32 v7, 32, v7
	v_subrev_u32_e32 v8, 29, v7
	v_bfe_u32 v6, v4, 2, 5
	v_lshlrev_b32_e32 v4, v8, v4
	v_sub_u32_e32 v7, 30, v7
	v_and_b32_e32 v4, 3, v4
	v_cmp_eq_u32_e32 vcc, 0, v6
	v_cndmask_b32_e32 v6, v6, v7, vcc
	v_cndmask_b32_e32 v4, v5, v4, vcc
	v_mov_b32_e32 v5, 0x37800000
	v_lshlrev_b32_e32 v4, 21, v4
	v_and_b32_e32 v3, 0x80000000, v3
	v_lshl_add_u32 v5, v6, 23, v5
	v_or3_b32 v3, v3, v5, v4
	v_cvt_f16_f32_e32 v3, v3
.LBB24_444:
	s_or_b64 exec, exec, s[2:3]
	s_mov_b64 s[0:1], 0
	s_branch .LBB24_450
.LBB24_445:
	s_mov_b64 s[2:3], -1
                                        ; implicit-def: $vgpr3
	s_branch .LBB24_456
.LBB24_446:
	s_or_saveexec_b64 s[2:3], s[2:3]
	v_mov_b32_e32 v3, 0x7e00
	s_xor_b64 exec, exec, s[2:3]
	s_cbranch_execz .LBB24_429
.LBB24_447:
	v_cmp_ne_u16_e32 vcc, 0, v4
	s_andn2_b64 s[0:1], s[0:1], exec
	s_and_b64 s[4:5], vcc, exec
	s_or_b64 s[0:1], s[0:1], s[4:5]
	v_mov_b32_e32 v3, v4
	s_or_b64 exec, exec, s[2:3]
	s_and_saveexec_b64 s[2:3], s[0:1]
	s_cbranch_execnz .LBB24_430
	s_branch .LBB24_431
.LBB24_448:
	s_mov_b64 s[0:1], -1
                                        ; implicit-def: $vgpr3
	s_branch .LBB24_453
.LBB24_449:
	s_mov_b64 s[0:1], -1
                                        ; implicit-def: $vgpr3
.LBB24_450:
	s_and_b64 vcc, exec, s[0:1]
	s_cbranch_vccz .LBB24_452
; %bb.451:
	global_load_ubyte v3, v[0:1], off
	s_mov_b32 s0, 0x7f800000
	s_waitcnt vmcnt(0)
	v_lshlrev_b32_e32 v3, 24, v3
	v_and_b32_e32 v4, 0x7f000000, v3
	v_ffbh_u32_e32 v5, v4
	v_min_u32_e32 v5, 32, v5
	v_sub_u32_e64 v5, v5, 4 clamp
	v_lshlrev_b32_e32 v7, v5, v4
	v_lshlrev_b32_e32 v5, 23, v5
	v_lshrrev_b32_e32 v7, 4, v7
	v_add_u32_e32 v6, 0x1000000, v4
	v_sub_u32_e32 v5, v7, v5
	v_ashrrev_i32_e32 v6, 8, v6
	v_add_u32_e32 v5, 0x3c000000, v5
	v_and_or_b32 v5, v6, s0, v5
	v_cmp_ne_u32_e32 vcc, 0, v4
	v_cndmask_b32_e32 v4, 0, v5, vcc
	s_brev_b32 s0, 1
	v_and_or_b32 v3, v3, s0, v4
	v_cvt_f16_f32_e32 v3, v3
.LBB24_452:
	s_mov_b64 s[0:1], 0
.LBB24_453:
	s_andn2_b64 vcc, exec, s[0:1]
	s_cbranch_vccnz .LBB24_455
; %bb.454:
	global_load_ubyte v3, v[0:1], off
	s_movk_i32 s0, 0x7f00
	s_brev_b32 s1, 16
	s_waitcnt vmcnt(0)
	v_lshlrev_b16_e32 v4, 8, v3
	v_lshlrev_b32_e32 v3, 25, v3
	v_lshrrev_b32_e32 v5, 4, v3
	v_and_or_b32 v6, v4, s0, 0.5
	v_or_b32_e32 v5, 0x70000000, v5
	v_add_f32_e32 v6, -0.5, v6
	v_mul_f32_e32 v5, 0x7800000, v5
	v_cmp_gt_u32_e32 vcc, s1, v3
	v_bfe_i32 v4, v4, 0, 16
	v_cndmask_b32_e32 v3, v5, v6, vcc
	s_brev_b32 s0, 1
	v_and_or_b32 v3, v4, s0, v3
	v_cvt_f16_f32_e32 v3, v3
.LBB24_455:
	s_mov_b64 s[2:3], 0
	s_mov_b64 s[0:1], -1
.LBB24_456:
	s_andn2_b64 vcc, exec, s[2:3]
	s_cbranch_vccnz .LBB24_469
; %bb.457:
	s_cmp_gt_i32 s24, 14
	s_cbranch_scc0 .LBB24_460
; %bb.458:
	s_cmp_eq_u32 s24, 15
	s_cbranch_scc0 .LBB24_463
; %bb.459:
	global_load_ushort v3, v[0:1], off
	s_mov_b64 s[0:1], -1
	s_mov_b64 s[22:23], 0
	s_waitcnt vmcnt(0)
	v_lshlrev_b32_e32 v3, 16, v3
	v_cvt_f16_f32_e32 v3, v3
	s_branch .LBB24_464
.LBB24_460:
	s_mov_b64 s[2:3], -1
                                        ; implicit-def: $vgpr3
	s_branch .LBB24_465
.LBB24_461:
	s_or_saveexec_b64 s[2:3], s[2:3]
	v_mov_b32_e32 v3, 0x7e00
	s_xor_b64 exec, exec, s[2:3]
	s_cbranch_execz .LBB24_442
.LBB24_462:
	v_cmp_ne_u16_e32 vcc, 0, v4
	s_andn2_b64 s[0:1], s[0:1], exec
	s_and_b64 s[4:5], vcc, exec
	s_or_b64 s[0:1], s[0:1], s[4:5]
	v_mov_b32_e32 v3, v4
	s_or_b64 exec, exec, s[2:3]
	s_and_saveexec_b64 s[2:3], s[0:1]
	s_cbranch_execnz .LBB24_443
	s_branch .LBB24_444
.LBB24_463:
	s_mov_b64 s[22:23], -1
                                        ; implicit-def: $vgpr3
.LBB24_464:
	s_mov_b64 s[2:3], 0
.LBB24_465:
	s_and_b64 vcc, exec, s[2:3]
	s_cbranch_vccz .LBB24_469
; %bb.466:
	s_cmp_eq_u32 s24, 11
	s_cbranch_scc0 .LBB24_468
; %bb.467:
	global_load_ubyte v3, v[0:1], off
	v_mov_b32_e32 v4, 0x3c00
	s_mov_b64 s[0:1], -1
	s_mov_b64 s[22:23], 0
	s_waitcnt vmcnt(0)
	v_cmp_ne_u16_e32 vcc, 0, v3
	v_cndmask_b32_e32 v3, 0, v4, vcc
	s_branch .LBB24_469
.LBB24_468:
	s_mov_b64 s[22:23], -1
                                        ; implicit-def: $vgpr3
.LBB24_469:
	s_branch .LBB24_268
.LBB24_470:
	s_cmp_lt_i32 s24, 5
	s_cbranch_scc1 .LBB24_475
; %bb.471:
	s_cmp_lt_i32 s24, 8
	s_cbranch_scc1 .LBB24_476
; %bb.472:
	s_cmp_lt_i32 s24, 9
	s_cbranch_scc1 .LBB24_477
; %bb.473:
	s_cmp_gt_i32 s24, 9
	s_cbranch_scc0 .LBB24_478
; %bb.474:
	global_load_dwordx2 v[3:4], v[0:1], off
	s_movk_i32 s0, 0x1ff
	s_movk_i32 s1, 0xffe
	v_mov_b32_e32 v5, 0x7c00
	v_mov_b32_e32 v6, 0x7e00
	s_movk_i32 s2, 0x40f
	s_mov_b32 s3, 0x8000
	s_waitcnt vmcnt(0)
	v_and_or_b32 v3, v4, s0, v3
	v_cmp_ne_u32_e32 vcc, 0, v3
	v_lshrrev_b32_e32 v7, 8, v4
	v_bfe_u32 v8, v4, 20, 11
	v_cndmask_b32_e64 v3, 0, 1, vcc
	v_sub_u32_e32 v9, 0x3f1, v8
	v_and_or_b32 v3, v7, s1, v3
	v_add_u32_e32 v8, 0xfffffc10, v8
	v_med3_i32 v7, v9, 0, 13
	v_or_b32_e32 v9, 0x1000, v3
	v_cmp_ne_u32_e32 vcc, 0, v3
	v_lshl_or_b32 v10, v8, 12, v3
	v_cndmask_b32_e32 v3, v5, v6, vcc
	v_lshrrev_b32_e32 v6, v7, v9
	v_lshlrev_b32_e32 v7, v7, v6
	v_cmp_ne_u32_e32 vcc, v7, v9
	v_cndmask_b32_e64 v7, 0, 1, vcc
	v_or_b32_e32 v6, v6, v7
	v_cmp_gt_i32_e32 vcc, 1, v8
	v_cndmask_b32_e32 v6, v10, v6, vcc
	v_and_b32_e32 v7, 7, v6
	v_cmp_lt_i32_e32 vcc, 5, v7
	v_cndmask_b32_e64 v9, 0, 1, vcc
	v_cmp_eq_u32_e32 vcc, 3, v7
	v_cndmask_b32_e64 v7, 0, 1, vcc
	v_lshrrev_b32_e32 v6, 2, v6
	v_or_b32_e32 v7, v7, v9
	v_add_u32_e32 v6, v6, v7
	v_cmp_gt_i32_e32 vcc, 31, v8
	v_cndmask_b32_e32 v5, v5, v6, vcc
	v_cmp_eq_u32_e32 vcc, s2, v8
	v_lshrrev_b32_e32 v4, 16, v4
	v_cndmask_b32_e32 v3, v5, v3, vcc
	v_and_or_b32 v3, v4, s3, v3
	s_mov_b64 s[0:1], 0
	s_branch .LBB24_479
.LBB24_475:
	s_mov_b64 s[0:1], -1
                                        ; implicit-def: $vgpr3
	s_branch .LBB24_497
.LBB24_476:
	s_mov_b64 s[0:1], -1
                                        ; implicit-def: $vgpr3
	s_branch .LBB24_485
.LBB24_477:
	s_mov_b64 s[0:1], -1
                                        ; implicit-def: $vgpr3
	s_branch .LBB24_482
.LBB24_478:
	s_mov_b64 s[0:1], -1
                                        ; implicit-def: $vgpr3
.LBB24_479:
	s_andn2_b64 vcc, exec, s[0:1]
	s_cbranch_vccnz .LBB24_481
; %bb.480:
	global_load_dword v3, v[0:1], off
	s_waitcnt vmcnt(0)
	v_cvt_f16_f32_e32 v3, v3
.LBB24_481:
	s_mov_b64 s[0:1], 0
.LBB24_482:
	s_andn2_b64 vcc, exec, s[0:1]
	s_cbranch_vccnz .LBB24_484
; %bb.483:
	global_load_dword v3, v[0:1], off
.LBB24_484:
	s_mov_b64 s[0:1], 0
.LBB24_485:
	s_andn2_b64 vcc, exec, s[0:1]
	s_cbranch_vccnz .LBB24_496
; %bb.486:
	s_cmp_lt_i32 s24, 6
	s_cbranch_scc1 .LBB24_489
; %bb.487:
	s_cmp_gt_i32 s24, 6
	s_cbranch_scc0 .LBB24_490
; %bb.488:
	global_load_dwordx2 v[3:4], v[0:1], off
	s_movk_i32 s0, 0x1ff
	s_movk_i32 s1, 0xffe
	v_mov_b32_e32 v5, 0x7c00
	v_mov_b32_e32 v6, 0x7e00
	s_movk_i32 s2, 0x40f
	s_mov_b32 s3, 0x8000
	s_waitcnt vmcnt(0)
	v_and_or_b32 v3, v4, s0, v3
	v_cmp_ne_u32_e32 vcc, 0, v3
	v_lshrrev_b32_e32 v7, 8, v4
	v_bfe_u32 v8, v4, 20, 11
	v_cndmask_b32_e64 v3, 0, 1, vcc
	v_sub_u32_e32 v9, 0x3f1, v8
	v_and_or_b32 v3, v7, s1, v3
	v_add_u32_e32 v8, 0xfffffc10, v8
	v_med3_i32 v7, v9, 0, 13
	v_or_b32_e32 v9, 0x1000, v3
	v_cmp_ne_u32_e32 vcc, 0, v3
	v_lshl_or_b32 v10, v8, 12, v3
	v_cndmask_b32_e32 v3, v5, v6, vcc
	v_lshrrev_b32_e32 v6, v7, v9
	v_lshlrev_b32_e32 v7, v7, v6
	v_cmp_ne_u32_e32 vcc, v7, v9
	v_cndmask_b32_e64 v7, 0, 1, vcc
	v_or_b32_e32 v6, v6, v7
	v_cmp_gt_i32_e32 vcc, 1, v8
	v_cndmask_b32_e32 v6, v10, v6, vcc
	v_and_b32_e32 v7, 7, v6
	v_cmp_lt_i32_e32 vcc, 5, v7
	v_cndmask_b32_e64 v9, 0, 1, vcc
	v_cmp_eq_u32_e32 vcc, 3, v7
	v_cndmask_b32_e64 v7, 0, 1, vcc
	v_lshrrev_b32_e32 v6, 2, v6
	v_or_b32_e32 v7, v7, v9
	v_add_u32_e32 v6, v6, v7
	v_cmp_gt_i32_e32 vcc, 31, v8
	v_cndmask_b32_e32 v5, v5, v6, vcc
	v_cmp_eq_u32_e32 vcc, s2, v8
	v_lshrrev_b32_e32 v4, 16, v4
	v_cndmask_b32_e32 v3, v5, v3, vcc
	v_and_or_b32 v3, v4, s3, v3
	s_mov_b64 s[0:1], 0
	s_branch .LBB24_491
.LBB24_489:
	s_mov_b64 s[0:1], -1
                                        ; implicit-def: $vgpr3
	s_branch .LBB24_494
.LBB24_490:
	s_mov_b64 s[0:1], -1
                                        ; implicit-def: $vgpr3
.LBB24_491:
	s_andn2_b64 vcc, exec, s[0:1]
	s_cbranch_vccnz .LBB24_493
; %bb.492:
	global_load_dword v3, v[0:1], off
	s_waitcnt vmcnt(0)
	v_cvt_f16_f32_e32 v3, v3
.LBB24_493:
	s_mov_b64 s[0:1], 0
.LBB24_494:
	s_andn2_b64 vcc, exec, s[0:1]
	s_cbranch_vccnz .LBB24_496
; %bb.495:
	global_load_ushort v3, v[0:1], off
.LBB24_496:
	s_mov_b64 s[0:1], 0
.LBB24_497:
	s_andn2_b64 vcc, exec, s[0:1]
	s_cbranch_vccnz .LBB24_517
; %bb.498:
	s_cmp_lt_i32 s24, 2
	s_cbranch_scc1 .LBB24_502
; %bb.499:
	s_cmp_lt_i32 s24, 3
	s_cbranch_scc1 .LBB24_503
; %bb.500:
	s_cmp_gt_i32 s24, 3
	s_cbranch_scc0 .LBB24_504
; %bb.501:
	global_load_dwordx2 v[3:4], v[0:1], off
	s_mov_b64 s[0:1], 0
	s_waitcnt vmcnt(0)
	v_xor_b32_e32 v6, v3, v4
	v_ffbh_i32_e32 v5, v4
	v_ashrrev_i32_e32 v6, 31, v6
	v_add_u32_e32 v5, -1, v5
	v_add_u32_e32 v6, 32, v6
	v_min_u32_e32 v5, v5, v6
	v_lshlrev_b64 v[3:4], v5, v[3:4]
	v_min_u32_e32 v3, 1, v3
	v_or_b32_e32 v3, v4, v3
	v_cvt_f32_i32_e32 v3, v3
	v_sub_u32_e32 v4, 32, v5
	v_ldexp_f32 v3, v3, v4
	v_cvt_f16_f32_e32 v3, v3
	s_branch .LBB24_505
.LBB24_502:
	s_mov_b64 s[0:1], -1
                                        ; implicit-def: $vgpr3
	s_branch .LBB24_511
.LBB24_503:
	s_mov_b64 s[0:1], -1
                                        ; implicit-def: $vgpr3
	s_branch .LBB24_508
.LBB24_504:
	s_mov_b64 s[0:1], -1
                                        ; implicit-def: $vgpr3
.LBB24_505:
	s_andn2_b64 vcc, exec, s[0:1]
	s_cbranch_vccnz .LBB24_507
; %bb.506:
	global_load_dword v3, v[0:1], off
	s_waitcnt vmcnt(0)
	v_cvt_f32_i32_e32 v3, v3
	v_cvt_f16_f32_e32 v3, v3
.LBB24_507:
	s_mov_b64 s[0:1], 0
.LBB24_508:
	s_andn2_b64 vcc, exec, s[0:1]
	s_cbranch_vccnz .LBB24_510
; %bb.509:
	global_load_ushort v3, v[0:1], off
	s_waitcnt vmcnt(0)
	v_cvt_f16_i16_e32 v3, v3
.LBB24_510:
	s_mov_b64 s[0:1], 0
.LBB24_511:
	s_andn2_b64 vcc, exec, s[0:1]
	s_cbranch_vccnz .LBB24_517
; %bb.512:
	s_cmp_gt_i32 s24, 0
	s_cbranch_scc0 .LBB24_514
; %bb.513:
	global_load_sbyte v3, v[0:1], off
	s_mov_b64 s[0:1], 0
	s_waitcnt vmcnt(0)
	v_cvt_f16_i16_e32 v3, v3
	s_branch .LBB24_515
.LBB24_514:
	s_mov_b64 s[0:1], -1
                                        ; implicit-def: $vgpr3
.LBB24_515:
	s_andn2_b64 vcc, exec, s[0:1]
	s_cbranch_vccnz .LBB24_517
; %bb.516:
	global_load_ubyte v0, v[0:1], off
	s_waitcnt vmcnt(0)
	v_cvt_f16_u16_e32 v3, v0
.LBB24_517:
	s_branch .LBB24_269
.LBB24_518:
	s_mov_b64 s[2:3], 0
                                        ; implicit-def: $vgpr2
	s_mov_b64 s[0:1], s[16:17]
.LBB24_519:
	s_andn2_b64 s[4:5], s[16:17], exec
	s_and_b64 s[0:1], s[0:1], exec
	s_or_b64 s[24:25], s[4:5], s[0:1]
	s_andn2_b64 s[0:1], s[18:19], exec
	s_and_b64 s[4:5], s[22:23], exec
	s_or_b64 s[22:23], s[0:1], s[4:5]
	s_orn2_b64 s[0:1], s[2:3], exec
.LBB24_520:
	s_or_b64 exec, exec, s[26:27]
	s_mov_b64 s[2:3], 0
	s_mov_b64 s[4:5], 0
	;; [unrolled: 1-line block ×3, first 2 shown]
                                        ; implicit-def: $vgpr0_vgpr1
                                        ; implicit-def: $vgpr4
	s_and_saveexec_b64 s[26:27], s[0:1]
	s_cbranch_execz .LBB24_869
; %bb.521:
	v_cmp_gt_i32_e32 vcc, s38, v2
	s_mov_b64 s[34:35], -1
	s_mov_b64 s[0:1], s[22:23]
	s_mov_b64 s[2:3], s[24:25]
	s_and_saveexec_b64 s[28:29], vcc
	s_cbranch_execz .LBB24_783
; %bb.522:
	v_mul_lo_u32 v0, v2, s13
	v_mov_b32_e32 v1, s11
	s_and_b32 s34, 0xffff, s42
	s_cmp_lt_i32 s34, 11
	s_waitcnt vmcnt(0)
	v_ashrrev_i32_e32 v3, 31, v0
	v_add_co_u32_e32 v0, vcc, s10, v0
	v_addc_co_u32_e32 v1, vcc, v1, v3, vcc
	s_cbranch_scc1 .LBB24_529
; %bb.523:
	s_cmp_gt_i32 s34, 25
	s_cbranch_scc0 .LBB24_530
; %bb.524:
	s_cmp_gt_i32 s34, 28
	s_cbranch_scc0 .LBB24_531
	;; [unrolled: 3-line block ×4, first 2 shown]
; %bb.527:
	s_cmp_eq_u32 s34, 46
	s_mov_b64 s[2:3], 0
	s_cbranch_scc0 .LBB24_538
; %bb.528:
	global_load_dword v3, v[0:1], off
	s_mov_b64 s[0:1], -1
	s_mov_b64 s[30:31], 0
	s_waitcnt vmcnt(0)
	v_lshlrev_b32_e32 v3, 16, v3
	v_cvt_f16_f32_e32 v3, v3
	s_branch .LBB24_539
.LBB24_529:
	s_mov_b64 s[2:3], -1
	s_mov_b64 s[0:1], 0
                                        ; implicit-def: $vgpr3
	s_mov_b64 s[30:31], s[22:23]
	s_branch .LBB24_604
.LBB24_530:
	s_mov_b64 s[2:3], -1
	s_mov_b64 s[0:1], 0
	s_mov_b64 s[30:31], s[22:23]
                                        ; implicit-def: $vgpr3
	s_branch .LBB24_568
.LBB24_531:
	s_mov_b64 s[2:3], -1
	s_mov_b64 s[0:1], 0
	s_mov_b64 s[30:31], s[22:23]
                                        ; implicit-def: $vgpr3
	s_branch .LBB24_549
.LBB24_532:
	s_mov_b64 s[2:3], -1
	s_mov_b64 s[0:1], 0
	s_mov_b64 s[30:31], s[22:23]
                                        ; implicit-def: $vgpr3
	s_branch .LBB24_544
.LBB24_533:
	s_andn2_saveexec_b64 s[24:25], s[24:25]
	s_cbranch_execz .LBB24_318
.LBB24_534:
	s_mov_b32 s30, 0x46000000
	v_add_f32_e64 v5, |v4|, s30
	v_and_b32_e32 v5, 0xff, v5
	v_cmp_ne_u32_e32 vcc, 0, v5
	s_andn2_b64 s[4:5], s[4:5], exec
	s_and_b64 s[30:31], vcc, exec
	s_or_b64 s[4:5], s[4:5], s[30:31]
	s_or_b64 exec, exec, s[24:25]
	v_mov_b32_e32 v6, 0
	s_and_saveexec_b64 s[24:25], s[4:5]
	s_cbranch_execnz .LBB24_319
	s_branch .LBB24_320
.LBB24_535:
	s_mov_b64 s[2:3], -1
	s_mov_b64 s[0:1], 0
	s_mov_b64 s[30:31], s[22:23]
                                        ; implicit-def: $vgpr3
	s_branch .LBB24_539
.LBB24_536:
	s_andn2_saveexec_b64 s[24:25], s[24:25]
	s_cbranch_execz .LBB24_331
.LBB24_537:
	s_mov_b32 s30, 0x42800000
	v_add_f32_e64 v5, |v4|, s30
	v_and_b32_e32 v5, 0xff, v5
	v_cmp_ne_u32_e32 vcc, 0, v5
	s_andn2_b64 s[4:5], s[4:5], exec
	s_and_b64 s[30:31], vcc, exec
	s_or_b64 s[4:5], s[4:5], s[30:31]
	s_or_b64 exec, exec, s[24:25]
	v_mov_b32_e32 v6, 0
	s_and_saveexec_b64 s[24:25], s[4:5]
	s_cbranch_execnz .LBB24_332
	s_branch .LBB24_333
.LBB24_538:
	s_mov_b64 s[30:31], -1
                                        ; implicit-def: $vgpr3
	s_mov_b64 s[0:1], 0
.LBB24_539:
	s_and_b64 vcc, exec, s[2:3]
	s_cbranch_vccz .LBB24_543
; %bb.540:
	s_cmp_eq_u32 s34, 44
	s_cbranch_scc0 .LBB24_542
; %bb.541:
	global_load_ubyte v3, v[0:1], off
	s_movk_i32 s2, 0xff
	v_mov_b32_e32 v5, 0x7e00
	s_mov_b64 s[0:1], -1
	s_mov_b64 s[30:31], 0
	s_waitcnt vmcnt(0)
	v_lshlrev_b32_e32 v4, 23, v3
	v_cvt_f16_f32_e32 v4, v4
	v_cmp_ne_u32_e32 vcc, s2, v3
	v_cndmask_b32_e32 v4, v5, v4, vcc
	v_cmp_ne_u32_e32 vcc, 0, v3
	v_cndmask_b32_e32 v3, 0, v4, vcc
	s_branch .LBB24_543
.LBB24_542:
	s_mov_b64 s[30:31], -1
                                        ; implicit-def: $vgpr3
.LBB24_543:
	s_mov_b64 s[2:3], 0
.LBB24_544:
	s_and_b64 vcc, exec, s[2:3]
	s_cbranch_vccz .LBB24_548
; %bb.545:
	s_cmp_eq_u32 s34, 29
	s_cbranch_scc0 .LBB24_547
; %bb.546:
	global_load_dwordx2 v[3:4], v[0:1], off
	s_mov_b64 s[0:1], -1
	s_mov_b64 s[30:31], 0
	s_mov_b64 s[2:3], 0
	s_waitcnt vmcnt(0)
	v_ffbh_u32_e32 v5, v4
	v_min_u32_e32 v5, 32, v5
	v_lshlrev_b64 v[3:4], v5, v[3:4]
	v_min_u32_e32 v3, 1, v3
	v_or_b32_e32 v3, v4, v3
	v_cvt_f32_u32_e32 v3, v3
	v_sub_u32_e32 v4, 32, v5
	v_ldexp_f32 v3, v3, v4
	v_cvt_f16_f32_e32 v3, v3
	s_branch .LBB24_549
.LBB24_547:
	s_mov_b64 s[30:31], -1
                                        ; implicit-def: $vgpr3
.LBB24_548:
	s_mov_b64 s[2:3], 0
.LBB24_549:
	s_and_b64 vcc, exec, s[2:3]
	s_cbranch_vccz .LBB24_567
; %bb.550:
	s_cmp_lt_i32 s34, 27
	s_cbranch_scc1 .LBB24_553
; %bb.551:
	s_cmp_gt_i32 s34, 27
	s_cbranch_scc0 .LBB24_554
; %bb.552:
	global_load_dword v3, v[0:1], off
	s_mov_b64 s[0:1], 0
	s_waitcnt vmcnt(0)
	v_cvt_f32_u32_e32 v3, v3
	v_cvt_f16_f32_e32 v3, v3
	s_branch .LBB24_555
.LBB24_553:
	s_mov_b64 s[0:1], -1
                                        ; implicit-def: $vgpr3
	s_branch .LBB24_558
.LBB24_554:
	s_mov_b64 s[0:1], -1
                                        ; implicit-def: $vgpr3
.LBB24_555:
	s_andn2_b64 vcc, exec, s[0:1]
	s_cbranch_vccnz .LBB24_557
; %bb.556:
	global_load_ushort v3, v[0:1], off
	s_waitcnt vmcnt(0)
	v_cvt_f16_u16_e32 v3, v3
.LBB24_557:
	s_mov_b64 s[0:1], 0
.LBB24_558:
	s_andn2_b64 vcc, exec, s[0:1]
	s_cbranch_vccnz .LBB24_566
; %bb.559:
	global_load_ubyte v4, v[0:1], off
	s_movk_i32 s0, 0x7f
	s_waitcnt vmcnt(0)
	v_cmp_lt_i16_e32 vcc, s0, v4
	s_mov_b64 s[0:1], 0
	s_and_saveexec_b64 s[2:3], vcc
	s_xor_b64 s[2:3], exec, s[2:3]
	s_cbranch_execz .LBB24_580
; %bb.560:
	s_movk_i32 s0, 0x80
	v_cmp_eq_u16_e32 vcc, s0, v4
	s_mov_b64 s[0:1], -1
	s_and_saveexec_b64 s[4:5], vcc
; %bb.561:
	s_xor_b64 s[0:1], exec, -1
; %bb.562:
	s_or_b64 exec, exec, s[4:5]
	s_and_b64 s[0:1], s[0:1], exec
	s_or_saveexec_b64 s[2:3], s[2:3]
	v_mov_b32_e32 v3, 0x7e00
	s_xor_b64 exec, exec, s[2:3]
	s_cbranch_execnz .LBB24_581
.LBB24_563:
	s_or_b64 exec, exec, s[2:3]
	s_and_saveexec_b64 s[2:3], s[0:1]
	s_cbranch_execz .LBB24_565
.LBB24_564:
	v_lshlrev_b32_e32 v3, 24, v4
	v_and_b32_e32 v4, 0xffff, v4
	v_and_b32_e32 v5, 7, v4
	v_ffbh_u32_e32 v7, v5
	v_min_u32_e32 v7, 32, v7
	v_subrev_u32_e32 v8, 28, v7
	v_bfe_u32 v6, v4, 3, 4
	v_lshlrev_b32_e32 v4, v8, v4
	v_sub_u32_e32 v7, 29, v7
	v_and_b32_e32 v4, 7, v4
	v_cmp_eq_u32_e32 vcc, 0, v6
	v_cndmask_b32_e32 v6, v6, v7, vcc
	v_cndmask_b32_e32 v4, v5, v4, vcc
	v_mov_b32_e32 v5, 0x3b800000
	v_lshlrev_b32_e32 v4, 20, v4
	v_and_b32_e32 v3, 0x80000000, v3
	v_lshl_add_u32 v5, v6, 23, v5
	v_or3_b32 v3, v3, v5, v4
	v_cvt_f16_f32_e32 v3, v3
.LBB24_565:
	s_or_b64 exec, exec, s[2:3]
.LBB24_566:
	s_mov_b64 s[0:1], -1
.LBB24_567:
	s_mov_b64 s[2:3], 0
.LBB24_568:
	s_and_b64 vcc, exec, s[2:3]
	s_cbranch_vccz .LBB24_603
; %bb.569:
	s_cmp_gt_i32 s34, 22
	s_cbranch_scc0 .LBB24_579
; %bb.570:
	s_cmp_lt_i32 s34, 24
	s_cbranch_scc1 .LBB24_582
; %bb.571:
	s_cmp_gt_i32 s34, 24
	s_cbranch_scc0 .LBB24_583
; %bb.572:
	global_load_ubyte v4, v[0:1], off
	s_movk_i32 s0, 0x7f
	s_waitcnt vmcnt(0)
	v_cmp_lt_i16_e32 vcc, s0, v4
	s_mov_b64 s[0:1], 0
	s_and_saveexec_b64 s[2:3], vcc
	s_xor_b64 s[2:3], exec, s[2:3]
	s_cbranch_execz .LBB24_595
; %bb.573:
	s_movk_i32 s0, 0x80
	v_cmp_eq_u16_e32 vcc, s0, v4
	s_mov_b64 s[0:1], -1
	s_and_saveexec_b64 s[4:5], vcc
; %bb.574:
	s_xor_b64 s[0:1], exec, -1
; %bb.575:
	s_or_b64 exec, exec, s[4:5]
	s_and_b64 s[0:1], s[0:1], exec
	s_or_saveexec_b64 s[2:3], s[2:3]
	v_mov_b32_e32 v3, 0x7e00
	s_xor_b64 exec, exec, s[2:3]
	s_cbranch_execnz .LBB24_596
.LBB24_576:
	s_or_b64 exec, exec, s[2:3]
	s_and_saveexec_b64 s[2:3], s[0:1]
	s_cbranch_execz .LBB24_578
.LBB24_577:
	v_lshlrev_b32_e32 v3, 24, v4
	v_and_b32_e32 v4, 0xffff, v4
	v_and_b32_e32 v5, 3, v4
	v_ffbh_u32_e32 v7, v5
	v_min_u32_e32 v7, 32, v7
	v_subrev_u32_e32 v8, 29, v7
	v_bfe_u32 v6, v4, 2, 5
	v_lshlrev_b32_e32 v4, v8, v4
	v_sub_u32_e32 v7, 30, v7
	v_and_b32_e32 v4, 3, v4
	v_cmp_eq_u32_e32 vcc, 0, v6
	v_cndmask_b32_e32 v6, v6, v7, vcc
	v_cndmask_b32_e32 v4, v5, v4, vcc
	v_mov_b32_e32 v5, 0x37800000
	v_lshlrev_b32_e32 v4, 21, v4
	v_and_b32_e32 v3, 0x80000000, v3
	v_lshl_add_u32 v5, v6, 23, v5
	v_or3_b32 v3, v3, v5, v4
	v_cvt_f16_f32_e32 v3, v3
.LBB24_578:
	s_or_b64 exec, exec, s[2:3]
	s_mov_b64 s[0:1], 0
	s_branch .LBB24_584
.LBB24_579:
	s_mov_b64 s[2:3], -1
                                        ; implicit-def: $vgpr3
	s_branch .LBB24_590
.LBB24_580:
	s_or_saveexec_b64 s[2:3], s[2:3]
	v_mov_b32_e32 v3, 0x7e00
	s_xor_b64 exec, exec, s[2:3]
	s_cbranch_execz .LBB24_563
.LBB24_581:
	v_cmp_ne_u16_e32 vcc, 0, v4
	s_andn2_b64 s[0:1], s[0:1], exec
	s_and_b64 s[4:5], vcc, exec
	s_or_b64 s[0:1], s[0:1], s[4:5]
	v_mov_b32_e32 v3, v4
	s_or_b64 exec, exec, s[2:3]
	s_and_saveexec_b64 s[2:3], s[0:1]
	s_cbranch_execnz .LBB24_564
	s_branch .LBB24_565
.LBB24_582:
	s_mov_b64 s[0:1], -1
                                        ; implicit-def: $vgpr3
	s_branch .LBB24_587
.LBB24_583:
	s_mov_b64 s[0:1], -1
                                        ; implicit-def: $vgpr3
.LBB24_584:
	s_and_b64 vcc, exec, s[0:1]
	s_cbranch_vccz .LBB24_586
; %bb.585:
	global_load_ubyte v3, v[0:1], off
	s_mov_b32 s0, 0x7f800000
	s_waitcnt vmcnt(0)
	v_lshlrev_b32_e32 v3, 24, v3
	v_and_b32_e32 v4, 0x7f000000, v3
	v_ffbh_u32_e32 v5, v4
	v_min_u32_e32 v5, 32, v5
	v_sub_u32_e64 v5, v5, 4 clamp
	v_lshlrev_b32_e32 v7, v5, v4
	v_lshlrev_b32_e32 v5, 23, v5
	v_lshrrev_b32_e32 v7, 4, v7
	v_add_u32_e32 v6, 0x1000000, v4
	v_sub_u32_e32 v5, v7, v5
	v_ashrrev_i32_e32 v6, 8, v6
	v_add_u32_e32 v5, 0x3c000000, v5
	v_and_or_b32 v5, v6, s0, v5
	v_cmp_ne_u32_e32 vcc, 0, v4
	v_cndmask_b32_e32 v4, 0, v5, vcc
	s_brev_b32 s0, 1
	v_and_or_b32 v3, v3, s0, v4
	v_cvt_f16_f32_e32 v3, v3
.LBB24_586:
	s_mov_b64 s[0:1], 0
.LBB24_587:
	s_andn2_b64 vcc, exec, s[0:1]
	s_cbranch_vccnz .LBB24_589
; %bb.588:
	global_load_ubyte v3, v[0:1], off
	s_movk_i32 s0, 0x7f00
	s_brev_b32 s1, 16
	s_waitcnt vmcnt(0)
	v_lshlrev_b16_e32 v4, 8, v3
	v_lshlrev_b32_e32 v3, 25, v3
	v_lshrrev_b32_e32 v5, 4, v3
	v_and_or_b32 v6, v4, s0, 0.5
	v_or_b32_e32 v5, 0x70000000, v5
	v_add_f32_e32 v6, -0.5, v6
	v_mul_f32_e32 v5, 0x7800000, v5
	v_cmp_gt_u32_e32 vcc, s1, v3
	v_bfe_i32 v4, v4, 0, 16
	v_cndmask_b32_e32 v3, v5, v6, vcc
	s_brev_b32 s0, 1
	v_and_or_b32 v3, v4, s0, v3
	v_cvt_f16_f32_e32 v3, v3
.LBB24_589:
	s_mov_b64 s[2:3], 0
	s_mov_b64 s[0:1], -1
.LBB24_590:
	s_andn2_b64 vcc, exec, s[2:3]
	s_cbranch_vccnz .LBB24_603
; %bb.591:
	s_cmp_gt_i32 s34, 14
	s_cbranch_scc0 .LBB24_594
; %bb.592:
	s_cmp_eq_u32 s34, 15
	s_cbranch_scc0 .LBB24_597
; %bb.593:
	global_load_ushort v3, v[0:1], off
	s_mov_b64 s[0:1], -1
	s_mov_b64 s[30:31], 0
	s_waitcnt vmcnt(0)
	v_lshlrev_b32_e32 v3, 16, v3
	v_cvt_f16_f32_e32 v3, v3
	s_branch .LBB24_598
.LBB24_594:
	s_mov_b64 s[2:3], -1
                                        ; implicit-def: $vgpr3
	s_branch .LBB24_599
.LBB24_595:
	s_or_saveexec_b64 s[2:3], s[2:3]
	v_mov_b32_e32 v3, 0x7e00
	s_xor_b64 exec, exec, s[2:3]
	s_cbranch_execz .LBB24_576
.LBB24_596:
	v_cmp_ne_u16_e32 vcc, 0, v4
	s_andn2_b64 s[0:1], s[0:1], exec
	s_and_b64 s[4:5], vcc, exec
	s_or_b64 s[0:1], s[0:1], s[4:5]
	v_mov_b32_e32 v3, v4
	s_or_b64 exec, exec, s[2:3]
	s_and_saveexec_b64 s[2:3], s[0:1]
	s_cbranch_execnz .LBB24_577
	s_branch .LBB24_578
.LBB24_597:
	s_mov_b64 s[30:31], -1
                                        ; implicit-def: $vgpr3
.LBB24_598:
	s_mov_b64 s[2:3], 0
.LBB24_599:
	s_and_b64 vcc, exec, s[2:3]
	s_cbranch_vccz .LBB24_603
; %bb.600:
	s_cmp_eq_u32 s34, 11
	s_cbranch_scc0 .LBB24_602
; %bb.601:
	global_load_ubyte v3, v[0:1], off
	v_mov_b32_e32 v4, 0x3c00
	s_mov_b64 s[0:1], -1
	s_mov_b64 s[30:31], 0
	s_waitcnt vmcnt(0)
	v_cmp_ne_u16_e32 vcc, 0, v3
	v_cndmask_b32_e32 v3, 0, v4, vcc
	s_branch .LBB24_603
.LBB24_602:
	s_mov_b64 s[30:31], -1
                                        ; implicit-def: $vgpr3
.LBB24_603:
	s_mov_b64 s[2:3], 0
.LBB24_604:
	s_and_b64 vcc, exec, s[2:3]
	s_cbranch_vccz .LBB24_653
; %bb.605:
	s_cmp_lt_i32 s34, 5
	s_cbranch_scc1 .LBB24_610
; %bb.606:
	s_cmp_lt_i32 s34, 8
	s_cbranch_scc1 .LBB24_611
	;; [unrolled: 3-line block ×3, first 2 shown]
; %bb.608:
	s_cmp_gt_i32 s34, 9
	s_cbranch_scc0 .LBB24_613
; %bb.609:
	global_load_dwordx2 v[3:4], v[0:1], off
	s_movk_i32 s0, 0x1ff
	s_movk_i32 s1, 0xffe
	v_mov_b32_e32 v5, 0x7c00
	v_mov_b32_e32 v6, 0x7e00
	s_movk_i32 s2, 0x40f
	s_mov_b32 s3, 0x8000
	s_waitcnt vmcnt(0)
	v_and_or_b32 v3, v4, s0, v3
	v_cmp_ne_u32_e32 vcc, 0, v3
	v_lshrrev_b32_e32 v7, 8, v4
	v_bfe_u32 v8, v4, 20, 11
	v_cndmask_b32_e64 v3, 0, 1, vcc
	v_sub_u32_e32 v9, 0x3f1, v8
	v_and_or_b32 v3, v7, s1, v3
	v_add_u32_e32 v8, 0xfffffc10, v8
	v_med3_i32 v7, v9, 0, 13
	v_or_b32_e32 v9, 0x1000, v3
	v_cmp_ne_u32_e32 vcc, 0, v3
	v_lshl_or_b32 v10, v8, 12, v3
	v_cndmask_b32_e32 v3, v5, v6, vcc
	v_lshrrev_b32_e32 v6, v7, v9
	v_lshlrev_b32_e32 v7, v7, v6
	v_cmp_ne_u32_e32 vcc, v7, v9
	v_cndmask_b32_e64 v7, 0, 1, vcc
	v_or_b32_e32 v6, v6, v7
	v_cmp_gt_i32_e32 vcc, 1, v8
	v_cndmask_b32_e32 v6, v10, v6, vcc
	v_and_b32_e32 v7, 7, v6
	v_cmp_lt_i32_e32 vcc, 5, v7
	v_cndmask_b32_e64 v9, 0, 1, vcc
	v_cmp_eq_u32_e32 vcc, 3, v7
	v_cndmask_b32_e64 v7, 0, 1, vcc
	v_lshrrev_b32_e32 v6, 2, v6
	v_or_b32_e32 v7, v7, v9
	v_add_u32_e32 v6, v6, v7
	v_cmp_gt_i32_e32 vcc, 31, v8
	v_cndmask_b32_e32 v5, v5, v6, vcc
	v_cmp_eq_u32_e32 vcc, s2, v8
	v_lshrrev_b32_e32 v4, 16, v4
	v_cndmask_b32_e32 v3, v5, v3, vcc
	v_and_or_b32 v3, v4, s3, v3
	s_mov_b64 s[0:1], 0
	s_branch .LBB24_614
.LBB24_610:
	s_mov_b64 s[0:1], -1
                                        ; implicit-def: $vgpr3
	s_branch .LBB24_632
.LBB24_611:
	s_mov_b64 s[0:1], -1
                                        ; implicit-def: $vgpr3
	s_branch .LBB24_620
.LBB24_612:
	s_mov_b64 s[0:1], -1
                                        ; implicit-def: $vgpr3
	s_branch .LBB24_617
.LBB24_613:
	s_mov_b64 s[0:1], -1
                                        ; implicit-def: $vgpr3
.LBB24_614:
	s_andn2_b64 vcc, exec, s[0:1]
	s_cbranch_vccnz .LBB24_616
; %bb.615:
	global_load_dword v3, v[0:1], off
	s_waitcnt vmcnt(0)
	v_cvt_f16_f32_e32 v3, v3
.LBB24_616:
	s_mov_b64 s[0:1], 0
.LBB24_617:
	s_andn2_b64 vcc, exec, s[0:1]
	s_cbranch_vccnz .LBB24_619
; %bb.618:
	global_load_dword v3, v[0:1], off
.LBB24_619:
	s_mov_b64 s[0:1], 0
.LBB24_620:
	s_andn2_b64 vcc, exec, s[0:1]
	s_cbranch_vccnz .LBB24_631
; %bb.621:
	s_cmp_lt_i32 s34, 6
	s_cbranch_scc1 .LBB24_624
; %bb.622:
	s_cmp_gt_i32 s34, 6
	s_cbranch_scc0 .LBB24_625
; %bb.623:
	global_load_dwordx2 v[3:4], v[0:1], off
	s_movk_i32 s0, 0x1ff
	s_movk_i32 s1, 0xffe
	v_mov_b32_e32 v5, 0x7c00
	v_mov_b32_e32 v6, 0x7e00
	s_movk_i32 s2, 0x40f
	s_mov_b32 s3, 0x8000
	s_waitcnt vmcnt(0)
	v_and_or_b32 v3, v4, s0, v3
	v_cmp_ne_u32_e32 vcc, 0, v3
	v_lshrrev_b32_e32 v7, 8, v4
	v_bfe_u32 v8, v4, 20, 11
	v_cndmask_b32_e64 v3, 0, 1, vcc
	v_sub_u32_e32 v9, 0x3f1, v8
	v_and_or_b32 v3, v7, s1, v3
	v_add_u32_e32 v8, 0xfffffc10, v8
	v_med3_i32 v7, v9, 0, 13
	v_or_b32_e32 v9, 0x1000, v3
	v_cmp_ne_u32_e32 vcc, 0, v3
	v_lshl_or_b32 v10, v8, 12, v3
	v_cndmask_b32_e32 v3, v5, v6, vcc
	v_lshrrev_b32_e32 v6, v7, v9
	v_lshlrev_b32_e32 v7, v7, v6
	v_cmp_ne_u32_e32 vcc, v7, v9
	v_cndmask_b32_e64 v7, 0, 1, vcc
	v_or_b32_e32 v6, v6, v7
	v_cmp_gt_i32_e32 vcc, 1, v8
	v_cndmask_b32_e32 v6, v10, v6, vcc
	v_and_b32_e32 v7, 7, v6
	v_cmp_lt_i32_e32 vcc, 5, v7
	v_cndmask_b32_e64 v9, 0, 1, vcc
	v_cmp_eq_u32_e32 vcc, 3, v7
	v_cndmask_b32_e64 v7, 0, 1, vcc
	v_lshrrev_b32_e32 v6, 2, v6
	v_or_b32_e32 v7, v7, v9
	v_add_u32_e32 v6, v6, v7
	v_cmp_gt_i32_e32 vcc, 31, v8
	v_cndmask_b32_e32 v5, v5, v6, vcc
	v_cmp_eq_u32_e32 vcc, s2, v8
	v_lshrrev_b32_e32 v4, 16, v4
	v_cndmask_b32_e32 v3, v5, v3, vcc
	v_and_or_b32 v3, v4, s3, v3
	s_mov_b64 s[0:1], 0
	s_branch .LBB24_626
.LBB24_624:
	s_mov_b64 s[0:1], -1
                                        ; implicit-def: $vgpr3
	s_branch .LBB24_629
.LBB24_625:
	s_mov_b64 s[0:1], -1
                                        ; implicit-def: $vgpr3
.LBB24_626:
	s_andn2_b64 vcc, exec, s[0:1]
	s_cbranch_vccnz .LBB24_628
; %bb.627:
	global_load_dword v3, v[0:1], off
	s_waitcnt vmcnt(0)
	v_cvt_f16_f32_e32 v3, v3
.LBB24_628:
	s_mov_b64 s[0:1], 0
.LBB24_629:
	s_andn2_b64 vcc, exec, s[0:1]
	s_cbranch_vccnz .LBB24_631
; %bb.630:
	global_load_ushort v3, v[0:1], off
.LBB24_631:
	s_mov_b64 s[0:1], 0
.LBB24_632:
	s_andn2_b64 vcc, exec, s[0:1]
	s_cbranch_vccnz .LBB24_652
; %bb.633:
	s_cmp_lt_i32 s34, 2
	s_cbranch_scc1 .LBB24_637
; %bb.634:
	s_cmp_lt_i32 s34, 3
	s_cbranch_scc1 .LBB24_638
; %bb.635:
	s_cmp_gt_i32 s34, 3
	s_cbranch_scc0 .LBB24_639
; %bb.636:
	global_load_dwordx2 v[3:4], v[0:1], off
	s_mov_b64 s[0:1], 0
	s_waitcnt vmcnt(0)
	v_xor_b32_e32 v6, v3, v4
	v_ffbh_i32_e32 v5, v4
	v_ashrrev_i32_e32 v6, 31, v6
	v_add_u32_e32 v5, -1, v5
	v_add_u32_e32 v6, 32, v6
	v_min_u32_e32 v5, v5, v6
	v_lshlrev_b64 v[3:4], v5, v[3:4]
	v_min_u32_e32 v3, 1, v3
	v_or_b32_e32 v3, v4, v3
	v_cvt_f32_i32_e32 v3, v3
	v_sub_u32_e32 v4, 32, v5
	v_ldexp_f32 v3, v3, v4
	v_cvt_f16_f32_e32 v3, v3
	s_branch .LBB24_640
.LBB24_637:
	s_mov_b64 s[0:1], -1
                                        ; implicit-def: $vgpr3
	s_branch .LBB24_646
.LBB24_638:
	s_mov_b64 s[0:1], -1
                                        ; implicit-def: $vgpr3
	s_branch .LBB24_643
.LBB24_639:
	s_mov_b64 s[0:1], -1
                                        ; implicit-def: $vgpr3
.LBB24_640:
	s_andn2_b64 vcc, exec, s[0:1]
	s_cbranch_vccnz .LBB24_642
; %bb.641:
	global_load_dword v3, v[0:1], off
	s_waitcnt vmcnt(0)
	v_cvt_f32_i32_e32 v3, v3
	v_cvt_f16_f32_e32 v3, v3
.LBB24_642:
	s_mov_b64 s[0:1], 0
.LBB24_643:
	s_andn2_b64 vcc, exec, s[0:1]
	s_cbranch_vccnz .LBB24_645
; %bb.644:
	global_load_ushort v3, v[0:1], off
	s_waitcnt vmcnt(0)
	v_cvt_f16_i16_e32 v3, v3
.LBB24_645:
	s_mov_b64 s[0:1], 0
.LBB24_646:
	s_andn2_b64 vcc, exec, s[0:1]
	s_cbranch_vccnz .LBB24_652
; %bb.647:
	s_cmp_gt_i32 s34, 0
	s_cbranch_scc0 .LBB24_649
; %bb.648:
	global_load_sbyte v3, v[0:1], off
	s_mov_b64 s[0:1], 0
	s_waitcnt vmcnt(0)
	v_cvt_f16_i16_e32 v3, v3
	s_branch .LBB24_650
.LBB24_649:
	s_mov_b64 s[0:1], -1
                                        ; implicit-def: $vgpr3
.LBB24_650:
	s_andn2_b64 vcc, exec, s[0:1]
	s_cbranch_vccnz .LBB24_652
; %bb.651:
	global_load_ubyte v0, v[0:1], off
	s_waitcnt vmcnt(0)
	v_cvt_f16_u16_e32 v3, v0
.LBB24_652:
	s_mov_b64 s[0:1], -1
.LBB24_653:
	s_andn2_b64 vcc, exec, s[0:1]
	s_cbranch_vccnz .LBB24_665
; %bb.654:
	s_waitcnt vmcnt(0)
	v_cvt_f32_f16_e32 v0, v3
	s_brev_b32 s0, 18
                                        ; implicit-def: $vgpr3
                                        ; implicit-def: $vgpr4
	v_and_b32_e32 v1, 0x7fffffff, v0
	v_cmp_nlt_f32_e64 s[0:1], |v0|, s0
	s_and_saveexec_b64 s[2:3], s[0:1]
	s_xor_b64 s[34:35], exec, s[2:3]
	s_cbranch_execz .LBB24_656
; %bb.655:
	v_and_b32_e32 v3, 0x7fffff, v1
	v_or_b32_e32 v12, 0x800000, v3
	s_mov_b32 s0, 0xfe5163ab
	v_mad_u64_u32 v[3:4], s[0:1], v12, s0, 0
	v_mov_b32_e32 v5, 0
	s_mov_b32 s0, 0x3c439041
	v_mad_u64_u32 v[6:7], s[0:1], v12, s0, v[4:5]
	s_mov_b32 s0, 0xdb629599
	v_not_b32_e32 v11, 63
	v_mov_b32_e32 v4, v7
	v_mad_u64_u32 v[7:8], s[0:1], v12, s0, v[4:5]
	s_mov_b32 s0, 0xf534ddc0
	v_not_b32_e32 v14, 31
	v_mov_b32_e32 v4, v8
	v_mad_u64_u32 v[8:9], s[0:1], v12, s0, v[4:5]
	v_lshrrev_b32_e32 v4, 23, v1
	v_add_u32_e32 v13, 0xffffff88, v4
	v_mov_b32_e32 v4, v9
	s_mov_b32 s0, 0xfc2757d1
	v_mad_u64_u32 v[9:10], s[0:1], v12, s0, v[4:5]
	v_cmp_lt_u32_e32 vcc, 63, v13
	v_cndmask_b32_e32 v4, 0, v11, vcc
	v_add_u32_e32 v13, v4, v13
	v_mov_b32_e32 v4, v10
	s_mov_b32 s0, 0x4e441529
	v_mad_u64_u32 v[10:11], s[0:1], v12, s0, v[4:5]
	v_cmp_lt_u32_e64 s[0:1], 31, v13
	v_cndmask_b32_e64 v4, 0, v14, s[0:1]
	v_add_u32_e32 v13, v4, v13
	v_mov_b32_e32 v4, v11
	s_mov_b32 s2, 0xa2f9836e
	v_mad_u64_u32 v[4:5], s[2:3], v12, s2, v[4:5]
	v_cmp_lt_u32_e64 s[2:3], 31, v13
	v_cndmask_b32_e64 v11, 0, v14, s[2:3]
	v_cndmask_b32_e32 v12, v10, v8, vcc
	v_cndmask_b32_e32 v4, v4, v9, vcc
	;; [unrolled: 1-line block ×3, first 2 shown]
	v_add_u32_e32 v11, v11, v13
	v_cndmask_b32_e64 v13, v4, v12, s[0:1]
	v_cndmask_b32_e64 v4, v5, v4, s[0:1]
	v_cndmask_b32_e32 v5, v9, v7, vcc
	v_cndmask_b32_e64 v9, v12, v5, s[0:1]
	v_cndmask_b32_e64 v4, v4, v13, s[2:3]
	;; [unrolled: 1-line block ×3, first 2 shown]
	v_sub_u32_e32 v12, 32, v11
	v_alignbit_b32 v13, v4, v10, v12
	v_cmp_eq_u32_e64 s[4:5], 0, v11
	v_cndmask_b32_e64 v11, v13, v4, s[4:5]
	v_cndmask_b32_e32 v4, v8, v6, vcc
	v_cndmask_b32_e64 v5, v5, v4, s[0:1]
	v_cndmask_b32_e64 v6, v9, v5, s[2:3]
	v_alignbit_b32 v8, v10, v6, v12
	v_cndmask_b32_e32 v3, v7, v3, vcc
	v_cndmask_b32_e64 v8, v8, v10, s[4:5]
	v_bfe_u32 v13, v11, 29, 1
	v_cndmask_b32_e64 v3, v4, v3, s[0:1]
	v_alignbit_b32 v9, v11, v8, 30
	v_sub_u32_e32 v14, 0, v13
	v_cndmask_b32_e64 v3, v5, v3, s[2:3]
	v_xor_b32_e32 v9, v9, v14
	v_alignbit_b32 v4, v6, v3, v12
	v_cndmask_b32_e64 v4, v4, v6, s[4:5]
	v_ffbh_u32_e32 v6, v9
	v_alignbit_b32 v5, v8, v4, 30
	v_min_u32_e32 v6, 32, v6
	v_alignbit_b32 v3, v4, v3, 30
	v_xor_b32_e32 v5, v5, v14
	v_sub_u32_e32 v7, 31, v6
	v_xor_b32_e32 v3, v3, v14
	v_alignbit_b32 v8, v9, v5, v7
	v_alignbit_b32 v3, v5, v3, v7
	;; [unrolled: 1-line block ×3, first 2 shown]
	v_ffbh_u32_e32 v5, v4
	v_min_u32_e32 v5, 32, v5
	v_lshrrev_b32_e32 v10, 29, v11
	v_not_b32_e32 v7, v5
	v_alignbit_b32 v3, v4, v3, v7
	v_lshlrev_b32_e32 v4, 31, v10
	v_or_b32_e32 v7, 0x33000000, v4
	v_add_lshl_u32 v5, v5, v6, 23
	v_lshrrev_b32_e32 v3, 9, v3
	v_sub_u32_e32 v5, v7, v5
	v_or_b32_e32 v4, 0.5, v4
	v_lshlrev_b32_e32 v6, 23, v6
	v_or_b32_e32 v3, v5, v3
	v_lshrrev_b32_e32 v5, 9, v8
	v_sub_u32_e32 v4, v4, v6
	v_or_b32_e32 v4, v5, v4
	s_mov_b32 s0, 0x3fc90fda
	v_mul_f32_e32 v5, 0x3fc90fda, v4
	v_fma_f32 v6, v4, s0, -v5
	v_fmac_f32_e32 v6, 0x33a22168, v4
	v_fmac_f32_e32 v6, 0x3fc90fda, v3
	v_lshrrev_b32_e32 v3, 30, v11
	v_add_f32_e32 v4, v5, v6
	v_add_u32_e32 v3, v13, v3
.LBB24_656:
	s_andn2_saveexec_b64 s[0:1], s[34:35]
	s_cbranch_execz .LBB24_658
; %bb.657:
	s_mov_b32 s2, 0x3f22f983
	v_mul_f32_e64 v3, |v0|, s2
	v_rndne_f32_e32 v5, v3
	s_mov_b32 s2, 0xbfc90fda
	v_cvt_i32_f32_e32 v3, v5
	v_fma_f32 v4, v5, s2, |v0|
	v_fmac_f32_e32 v4, 0xb3a22168, v5
	v_fmac_f32_e32 v4, 0xa7c234c4, v5
.LBB24_658:
	s_or_b64 exec, exec, s[0:1]
	v_mul_f32_e32 v5, v4, v4
	v_mov_b32_e32 v6, 0x3c0881c4
	v_fmac_f32_e32 v6, 0xb94c1982, v5
	v_mov_b32_e32 v7, 0xbe2aaa9d
	v_fmac_f32_e32 v7, v5, v6
	v_mul_f32_e32 v6, v5, v7
	v_fmac_f32_e32 v4, v4, v6
	v_mov_b32_e32 v6, 0xbab64f3b
	v_fmac_f32_e32 v6, 0x37d75334, v5
	v_mov_b32_e32 v7, 0x3d2aabf7
	;; [unrolled: 2-line block ×3, first 2 shown]
	v_fmac_f32_e32 v6, v5, v7
	v_fma_f32 v5, v5, v6, 1.0
	v_and_b32_e32 v6, 1, v3
	v_lshlrev_b32_e32 v3, 30, v3
	v_cmp_eq_u32_e32 vcc, 0, v6
	v_and_b32_e32 v3, 0x80000000, v3
	v_xor_b32_e32 v1, v1, v0
	v_cndmask_b32_e32 v4, v5, v4, vcc
	v_xor_b32_e32 v1, v1, v3
	s_movk_i32 s0, 0x1f8
	v_xor_b32_e32 v1, v1, v4
	v_mov_b32_e32 v3, 0x7fc00000
	v_mul_lo_u32 v4, v2, s12
	v_cmp_class_f32_e64 vcc, v0, s0
	v_cndmask_b32_e32 v0, v3, v1, vcc
	v_cvt_f16_f32_e32 v3, v0
	v_ashrrev_i32_e32 v1, 31, v4
	v_mov_b32_e32 v5, s9
	s_and_b32 s36, s33, 0xff
	v_add_co_u32_e32 v0, vcc, s8, v4
	s_cmp_lt_i32 s36, 11
	v_addc_co_u32_e32 v1, vcc, v5, v1, vcc
	s_cbranch_scc1 .LBB24_666
; %bb.659:
	s_and_b32 s37, 0xffff, s36
	s_cmp_gt_i32 s37, 25
	s_cbranch_scc0 .LBB24_667
; %bb.660:
	s_cmp_gt_i32 s37, 28
	s_cbranch_scc0 .LBB24_668
; %bb.661:
	;; [unrolled: 3-line block ×4, first 2 shown]
	s_mov_b64 s[4:5], 0
	s_mov_b64 s[0:1], -1
	s_cmp_eq_u32 s37, 46
	s_mov_b64 s[2:3], 0
	s_cbranch_scc0 .LBB24_671
; %bb.664:
	v_cvt_f32_f16_e32 v4, v3
	s_movk_i32 s0, 0x7fff
	v_cmp_o_f16_e32 vcc, v3, v3
	v_mov_b32_e32 v5, 0x7fc0
	v_bfe_u32 v6, v4, 16, 1
	v_add3_u32 v4, v4, v6, s0
	v_cndmask_b32_sdwa v4, v5, v4, vcc dst_sel:DWORD dst_unused:UNUSED_PAD src0_sel:DWORD src1_sel:WORD_1
	global_store_dword v[0:1], v4, off
	s_mov_b64 s[2:3], -1
	s_mov_b64 s[0:1], 0
	s_branch .LBB24_671
.LBB24_665:
	s_mov_b64 s[4:5], 0
                                        ; implicit-def: $vgpr2
	s_mov_b64 s[0:1], s[24:25]
	s_branch .LBB24_782
.LBB24_666:
	s_mov_b64 s[4:5], -1
	s_mov_b64 s[2:3], 0
	s_mov_b64 s[0:1], s[24:25]
	s_branch .LBB24_740
.LBB24_667:
	s_mov_b64 s[4:5], -1
	s_mov_b64 s[2:3], 0
	s_mov_b64 s[0:1], s[24:25]
	s_branch .LBB24_698
.LBB24_668:
	s_mov_b64 s[4:5], -1
	s_mov_b64 s[2:3], 0
	s_mov_b64 s[0:1], s[24:25]
	s_branch .LBB24_681
.LBB24_669:
	s_mov_b64 s[4:5], -1
	s_mov_b64 s[2:3], 0
	s_mov_b64 s[0:1], s[24:25]
	s_branch .LBB24_677
.LBB24_670:
	s_mov_b64 s[4:5], -1
	s_mov_b64 s[2:3], 0
	s_mov_b64 s[0:1], s[24:25]
.LBB24_671:
	s_and_b64 vcc, exec, s[4:5]
	s_cbranch_vccz .LBB24_676
; %bb.672:
	s_cmp_eq_u32 s37, 44
	s_mov_b64 s[0:1], -1
	s_cbranch_scc0 .LBB24_676
; %bb.673:
	v_cvt_f32_f16_e32 v4, v3
	s_movk_i32 s0, 0xff
	v_mov_b32_e32 v6, 0xff
	v_bfe_u32 v5, v4, 23, 8
	v_cmp_ne_u32_e32 vcc, s0, v5
	s_and_saveexec_b64 s[2:3], vcc
; %bb.674:
	s_mov_b32 s0, 0x3fffff
	v_lshrrev_b32_e32 v6, 23, v4
	v_and_b32_e32 v7, 0x400000, v4
	v_and_or_b32 v4, v4, s0, v5
	v_cmp_ne_u32_e32 vcc, 0, v7
	v_cmp_ne_u32_e64 s[0:1], 0, v4
	s_and_b64 s[0:1], vcc, s[0:1]
	v_cndmask_b32_e64 v4, 0, 1, s[0:1]
	v_add_u32_e32 v6, v6, v4
; %bb.675:
	s_or_b64 exec, exec, s[2:3]
	s_mov_b64 s[2:3], -1
	s_mov_b64 s[0:1], 0
	global_store_byte v[0:1], v6, off
.LBB24_676:
	s_mov_b64 s[4:5], 0
.LBB24_677:
	s_and_b64 vcc, exec, s[4:5]
	s_cbranch_vccz .LBB24_680
; %bb.678:
	s_cmp_eq_u32 s37, 29
	s_mov_b64 s[0:1], -1
	s_cbranch_scc0 .LBB24_680
; %bb.679:
	v_cvt_f32_f16_e32 v4, v3
	v_mov_b32_e32 v5, 0
	s_mov_b64 s[2:3], -1
	s_mov_b64 s[0:1], 0
	v_cvt_u32_f32_e32 v4, v4
	s_mov_b64 s[4:5], 0
	global_store_dwordx2 v[0:1], v[4:5], off
	s_branch .LBB24_681
.LBB24_680:
	s_mov_b64 s[4:5], 0
.LBB24_681:
	s_and_b64 vcc, exec, s[4:5]
	s_cbranch_vccz .LBB24_697
; %bb.682:
	s_cmp_lt_i32 s37, 27
	s_mov_b64 s[2:3], -1
	s_cbranch_scc1 .LBB24_688
; %bb.683:
	s_cmp_gt_i32 s37, 27
	s_cbranch_scc0 .LBB24_685
; %bb.684:
	v_cvt_f32_f16_e32 v4, v3
	s_mov_b64 s[2:3], 0
	v_cvt_u32_f32_e32 v4, v4
	global_store_dword v[0:1], v4, off
.LBB24_685:
	s_andn2_b64 vcc, exec, s[2:3]
	s_cbranch_vccnz .LBB24_687
; %bb.686:
	v_cvt_u16_f16_e32 v4, v3
	global_store_short v[0:1], v4, off
.LBB24_687:
	s_mov_b64 s[2:3], 0
.LBB24_688:
	s_andn2_b64 vcc, exec, s[2:3]
	s_cbranch_vccnz .LBB24_696
; %bb.689:
	v_cvt_f32_f16_e32 v4, v3
	s_mov_b32 s2, 0x43800000
	v_mov_b32_e32 v6, 0x80
	v_and_b32_e32 v5, 0x7fffffff, v4
	v_cmp_gt_u32_e32 vcc, s2, v5
	s_and_saveexec_b64 s[2:3], vcc
	s_cbranch_execz .LBB24_695
; %bb.690:
	s_mov_b32 s4, 0x3bffffff
	v_cmp_lt_u32_e32 vcc, s4, v5
	s_mov_b64 s[4:5], 0
                                        ; implicit-def: $vgpr5
	s_and_saveexec_b64 s[34:35], vcc
	s_xor_b64 s[34:35], exec, s[34:35]
	s_cbranch_execz .LBB24_796
; %bb.691:
	v_bfe_u32 v5, v4, 20, 1
	s_mov_b32 s39, 0x487ffff
	v_add3_u32 v5, v4, v5, s39
	s_mov_b64 s[4:5], exec
	v_lshrrev_b32_e32 v5, 20, v5
	s_andn2_saveexec_b64 s[34:35], s[34:35]
	s_cbranch_execnz .LBB24_797
.LBB24_692:
	s_or_b64 exec, exec, s[34:35]
	v_mov_b32_e32 v6, 0
	s_and_saveexec_b64 s[34:35], s[4:5]
.LBB24_693:
	v_lshrrev_b32_e32 v4, 24, v4
	s_movk_i32 s4, 0x80
	v_and_or_b32 v6, v4, s4, v5
.LBB24_694:
	s_or_b64 exec, exec, s[34:35]
.LBB24_695:
	s_or_b64 exec, exec, s[2:3]
	global_store_byte v[0:1], v6, off
.LBB24_696:
	s_mov_b64 s[2:3], -1
.LBB24_697:
	s_mov_b64 s[4:5], 0
.LBB24_698:
	s_and_b64 vcc, exec, s[4:5]
	s_cbranch_vccz .LBB24_739
; %bb.699:
	s_cmp_gt_i32 s37, 22
	s_mov_b64 s[4:5], -1
	s_cbranch_scc0 .LBB24_731
; %bb.700:
	s_cmp_lt_i32 s37, 24
	s_mov_b64 s[2:3], -1
	s_cbranch_scc1 .LBB24_720
; %bb.701:
	s_cmp_gt_i32 s37, 24
	s_cbranch_scc0 .LBB24_709
; %bb.702:
	v_cvt_f32_f16_e32 v4, v3
	s_mov_b32 s2, 0x47800000
	v_mov_b32_e32 v6, 0x80
	v_and_b32_e32 v5, 0x7fffffff, v4
	v_cmp_gt_u32_e32 vcc, s2, v5
	s_and_saveexec_b64 s[2:3], vcc
	s_cbranch_execz .LBB24_708
; %bb.703:
	s_mov_b32 s4, 0x37ffffff
	v_cmp_lt_u32_e32 vcc, s4, v5
	s_mov_b64 s[4:5], 0
                                        ; implicit-def: $vgpr5
	s_and_saveexec_b64 s[34:35], vcc
	s_xor_b64 s[34:35], exec, s[34:35]
	s_cbranch_execz .LBB24_799
; %bb.704:
	v_bfe_u32 v5, v4, 21, 1
	s_mov_b32 s39, 0x88fffff
	v_add3_u32 v5, v4, v5, s39
	s_mov_b64 s[4:5], exec
	v_lshrrev_b32_e32 v5, 21, v5
	s_andn2_saveexec_b64 s[34:35], s[34:35]
	s_cbranch_execnz .LBB24_800
.LBB24_705:
	s_or_b64 exec, exec, s[34:35]
	v_mov_b32_e32 v6, 0
	s_and_saveexec_b64 s[34:35], s[4:5]
.LBB24_706:
	v_lshrrev_b32_e32 v4, 24, v4
	s_movk_i32 s4, 0x80
	v_and_or_b32 v6, v4, s4, v5
.LBB24_707:
	s_or_b64 exec, exec, s[34:35]
.LBB24_708:
	s_or_b64 exec, exec, s[2:3]
	s_mov_b64 s[2:3], 0
	global_store_byte v[0:1], v6, off
.LBB24_709:
	s_and_b64 vcc, exec, s[2:3]
	s_cbranch_vccz .LBB24_719
; %bb.710:
	v_cvt_f32_f16_e32 v4, v3
	s_mov_b32 s2, 0x43f00000
                                        ; implicit-def: $vgpr5
	v_and_b32_e32 v6, 0x7fffffff, v4
	v_cmp_gt_u32_e32 vcc, s2, v6
	s_and_saveexec_b64 s[2:3], vcc
	s_xor_b64 s[2:3], exec, s[2:3]
	s_cbranch_execz .LBB24_716
; %bb.711:
	s_mov_b32 s4, 0x3c7fffff
	v_cmp_lt_u32_e32 vcc, s4, v6
                                        ; implicit-def: $vgpr5
	s_and_saveexec_b64 s[4:5], vcc
	s_xor_b64 s[4:5], exec, s[4:5]
; %bb.712:
	v_bfe_u32 v5, v4, 20, 1
	s_mov_b32 s34, 0x407ffff
	v_add3_u32 v5, v4, v5, s34
	v_lshrrev_b32_e32 v6, 20, v5
	v_and_b32_e32 v5, 0xff00000, v5
	s_mov_b32 s34, 0x7f00000
	v_mov_b32_e32 v7, 0x7e
	v_cmp_ne_u32_e32 vcc, s34, v5
	v_cndmask_b32_e32 v5, v7, v6, vcc
; %bb.713:
	s_andn2_saveexec_b64 s[4:5], s[4:5]
; %bb.714:
	s_mov_b32 s34, 0x46800000
	v_add_f32_e64 v5, |v4|, s34
; %bb.715:
	s_or_b64 exec, exec, s[4:5]
                                        ; implicit-def: $vgpr6
.LBB24_716:
	s_andn2_saveexec_b64 s[2:3], s[2:3]
; %bb.717:
	s_mov_b32 s4, 0x7f800000
	v_mov_b32_e32 v5, 0x7e
	v_mov_b32_e32 v7, 0x7f
	v_cmp_lt_u32_e32 vcc, s4, v6
	v_cndmask_b32_e32 v5, v5, v7, vcc
; %bb.718:
	s_or_b64 exec, exec, s[2:3]
	v_lshrrev_b32_e32 v4, 24, v4
	s_movk_i32 s2, 0x80
	v_and_or_b32 v4, v4, s2, v5
	global_store_byte v[0:1], v4, off
.LBB24_719:
	s_mov_b64 s[2:3], 0
.LBB24_720:
	s_andn2_b64 vcc, exec, s[2:3]
	s_cbranch_vccnz .LBB24_730
; %bb.721:
	v_cvt_f32_f16_e32 v4, v3
	s_mov_b32 s2, 0x47800000
                                        ; implicit-def: $vgpr5
	v_and_b32_e32 v6, 0x7fffffff, v4
	v_cmp_gt_u32_e32 vcc, s2, v6
	s_and_saveexec_b64 s[2:3], vcc
	s_xor_b64 s[2:3], exec, s[2:3]
	s_cbranch_execz .LBB24_727
; %bb.722:
	s_mov_b32 s4, 0x387fffff
	v_cmp_lt_u32_e32 vcc, s4, v6
                                        ; implicit-def: $vgpr5
	s_and_saveexec_b64 s[4:5], vcc
	s_xor_b64 s[4:5], exec, s[4:5]
; %bb.723:
	v_bfe_u32 v5, v4, 21, 1
	s_mov_b32 s34, 0x80fffff
	v_add3_u32 v5, v4, v5, s34
	v_lshrrev_b32_e32 v5, 21, v5
; %bb.724:
	s_andn2_saveexec_b64 s[4:5], s[4:5]
; %bb.725:
	s_mov_b32 s34, 0x43000000
	v_add_f32_e64 v5, |v4|, s34
; %bb.726:
	s_or_b64 exec, exec, s[4:5]
                                        ; implicit-def: $vgpr6
.LBB24_727:
	s_andn2_saveexec_b64 s[2:3], s[2:3]
; %bb.728:
	s_mov_b32 s4, 0x7f800000
	v_mov_b32_e32 v5, 0x7c
	v_mov_b32_e32 v7, 0x7f
	v_cmp_lt_u32_e32 vcc, s4, v6
	v_cndmask_b32_e32 v5, v5, v7, vcc
; %bb.729:
	s_or_b64 exec, exec, s[2:3]
	v_lshrrev_b32_e32 v4, 24, v4
	s_movk_i32 s2, 0x80
	v_and_or_b32 v4, v4, s2, v5
	global_store_byte v[0:1], v4, off
.LBB24_730:
	s_mov_b64 s[4:5], 0
	s_mov_b64 s[2:3], -1
.LBB24_731:
	s_andn2_b64 vcc, exec, s[4:5]
	s_cbranch_vccnz .LBB24_739
; %bb.732:
	s_cmp_gt_i32 s37, 14
	s_mov_b64 s[4:5], -1
	s_cbranch_scc0 .LBB24_736
; %bb.733:
	s_cmp_eq_u32 s37, 15
	s_mov_b64 s[0:1], -1
	s_cbranch_scc0 .LBB24_735
; %bb.734:
	v_cvt_f32_f16_e32 v4, v3
	s_movk_i32 s0, 0x7fff
	v_cmp_o_f16_e32 vcc, v3, v3
	v_mov_b32_e32 v5, 0x7fc0
	v_bfe_u32 v6, v4, 16, 1
	v_add3_u32 v4, v4, v6, s0
	v_cndmask_b32_sdwa v4, v5, v4, vcc dst_sel:DWORD dst_unused:UNUSED_PAD src0_sel:DWORD src1_sel:WORD_1
	global_store_short v[0:1], v4, off
	s_mov_b64 s[2:3], -1
	s_mov_b64 s[0:1], 0
.LBB24_735:
	s_mov_b64 s[4:5], 0
.LBB24_736:
	s_and_b64 vcc, exec, s[4:5]
	s_cbranch_vccz .LBB24_739
; %bb.737:
	s_cmp_eq_u32 s37, 11
	s_mov_b64 s[0:1], -1
	s_cbranch_scc0 .LBB24_739
; %bb.738:
	v_cmp_neq_f16_e32 vcc, 0, v3
	v_cndmask_b32_e64 v4, 0, 1, vcc
	s_mov_b64 s[2:3], -1
	s_mov_b64 s[0:1], 0
	global_store_byte v[0:1], v4, off
.LBB24_739:
	s_mov_b64 s[4:5], 0
.LBB24_740:
	s_and_b64 vcc, exec, s[4:5]
	s_cbranch_vccz .LBB24_779
; %bb.741:
	s_and_b32 s4, 0xffff, s36
	s_cmp_lt_i32 s4, 5
	s_mov_b64 s[2:3], -1
	s_cbranch_scc1 .LBB24_762
; %bb.742:
	s_cmp_lt_i32 s4, 8
	s_cbranch_scc1 .LBB24_752
; %bb.743:
	s_cmp_lt_i32 s4, 9
	s_cbranch_scc1 .LBB24_749
; %bb.744:
	s_cmp_gt_i32 s4, 9
	s_cbranch_scc0 .LBB24_746
; %bb.745:
	v_cvt_f32_f16_e32 v4, v3
	v_mov_b32_e32 v6, 0
	v_mov_b32_e32 v7, v6
	s_mov_b64 s[2:3], 0
	v_cvt_f64_f32_e32 v[4:5], v4
	global_store_dwordx4 v[0:1], v[4:7], off
.LBB24_746:
	s_andn2_b64 vcc, exec, s[2:3]
	s_cbranch_vccnz .LBB24_748
; %bb.747:
	v_cvt_f32_f16_e32 v4, v3
	v_mov_b32_e32 v5, 0
	global_store_dwordx2 v[0:1], v[4:5], off
.LBB24_748:
	s_mov_b64 s[2:3], 0
.LBB24_749:
	s_andn2_b64 vcc, exec, s[2:3]
	s_cbranch_vccnz .LBB24_751
; %bb.750:
	global_store_dword v[0:1], v3, off
.LBB24_751:
	s_mov_b64 s[2:3], 0
.LBB24_752:
	s_andn2_b64 vcc, exec, s[2:3]
	s_cbranch_vccnz .LBB24_761
; %bb.753:
	s_cmp_lt_i32 s4, 6
	s_mov_b64 s[2:3], -1
	s_cbranch_scc1 .LBB24_759
; %bb.754:
	s_cmp_gt_i32 s4, 6
	s_cbranch_scc0 .LBB24_756
; %bb.755:
	v_cvt_f32_f16_e32 v4, v3
	s_mov_b64 s[2:3], 0
	v_cvt_f64_f32_e32 v[4:5], v4
	global_store_dwordx2 v[0:1], v[4:5], off
.LBB24_756:
	s_andn2_b64 vcc, exec, s[2:3]
	s_cbranch_vccnz .LBB24_758
; %bb.757:
	v_cvt_f32_f16_e32 v4, v3
	global_store_dword v[0:1], v4, off
.LBB24_758:
	s_mov_b64 s[2:3], 0
.LBB24_759:
	s_andn2_b64 vcc, exec, s[2:3]
	s_cbranch_vccnz .LBB24_761
; %bb.760:
	global_store_short v[0:1], v3, off
.LBB24_761:
	s_mov_b64 s[2:3], 0
.LBB24_762:
	s_andn2_b64 vcc, exec, s[2:3]
	s_cbranch_vccnz .LBB24_778
; %bb.763:
	s_cmp_lt_i32 s4, 2
	s_mov_b64 s[2:3], -1
	s_cbranch_scc1 .LBB24_773
; %bb.764:
	s_cmp_lt_i32 s4, 3
	s_cbranch_scc1 .LBB24_770
; %bb.765:
	s_cmp_gt_i32 s4, 3
	s_cbranch_scc0 .LBB24_767
; %bb.766:
	v_cvt_f32_f16_e32 v4, v3
	s_mov_b64 s[2:3], 0
	v_cvt_i32_f32_e32 v4, v4
	v_ashrrev_i32_e32 v5, 31, v4
	global_store_dwordx2 v[0:1], v[4:5], off
.LBB24_767:
	s_andn2_b64 vcc, exec, s[2:3]
	s_cbranch_vccnz .LBB24_769
; %bb.768:
	v_cvt_f32_f16_e32 v4, v3
	v_cvt_i32_f32_e32 v4, v4
	global_store_dword v[0:1], v4, off
.LBB24_769:
	s_mov_b64 s[2:3], 0
.LBB24_770:
	s_andn2_b64 vcc, exec, s[2:3]
	s_cbranch_vccnz .LBB24_772
; %bb.771:
	v_cvt_i16_f16_e32 v4, v3
	global_store_short v[0:1], v4, off
.LBB24_772:
	s_mov_b64 s[2:3], 0
.LBB24_773:
	s_andn2_b64 vcc, exec, s[2:3]
	s_cbranch_vccnz .LBB24_778
; %bb.774:
	s_cmp_gt_i32 s4, 0
	s_mov_b64 s[2:3], -1
	s_cbranch_scc0 .LBB24_776
; %bb.775:
	v_cvt_i16_f16_e32 v4, v3
	s_mov_b64 s[2:3], 0
	global_store_byte v[0:1], v4, off
.LBB24_776:
	s_andn2_b64 vcc, exec, s[2:3]
	s_cbranch_vccnz .LBB24_778
; %bb.777:
	v_cvt_f32_f16_e32 v3, v3
	v_cvt_i32_f32_e32 v3, v3
	global_store_byte v[0:1], v3, off
.LBB24_778:
	s_mov_b64 s[2:3], -1
.LBB24_779:
	s_andn2_b64 vcc, exec, s[2:3]
	s_cbranch_vccnz .LBB24_781
; %bb.780:
	v_add_u32_e32 v2, 0x80, v2
	s_mov_b64 s[4:5], -1
	s_branch .LBB24_782
.LBB24_781:
	s_mov_b64 s[4:5], 0
                                        ; implicit-def: $vgpr2
.LBB24_782:
	s_andn2_b64 s[2:3], s[24:25], exec
	s_and_b64 s[0:1], s[0:1], exec
	s_or_b64 s[2:3], s[2:3], s[0:1]
	s_andn2_b64 s[0:1], s[22:23], exec
	s_and_b64 s[30:31], s[30:31], exec
	s_or_b64 s[0:1], s[0:1], s[30:31]
	s_orn2_b64 s[34:35], s[4:5], exec
.LBB24_783:
	s_or_b64 exec, exec, s[28:29]
	s_mov_b64 s[30:31], 0
	s_mov_b64 s[36:37], 0
	;; [unrolled: 1-line block ×3, first 2 shown]
                                        ; implicit-def: $vgpr0_vgpr1
                                        ; implicit-def: $vgpr4
	s_and_saveexec_b64 s[4:5], s[34:35]
	s_cbranch_execz .LBB24_868
; %bb.784:
	v_cmp_gt_i32_e32 vcc, s38, v2
	s_mov_b64 s[34:35], 0
	s_mov_b64 s[38:39], s[0:1]
	;; [unrolled: 1-line block ×3, first 2 shown]
                                        ; implicit-def: $vgpr0_vgpr1
                                        ; implicit-def: $vgpr4
	s_and_saveexec_b64 s[28:29], vcc
	s_cbranch_execz .LBB24_867
; %bb.785:
	v_mul_lo_u32 v0, v2, s13
	v_mov_b32_e32 v1, s11
	s_and_b32 s43, 0xffff, s42
	s_cmp_lt_i32 s43, 11
	s_waitcnt vmcnt(0)
	v_ashrrev_i32_e32 v3, 31, v0
	v_add_co_u32_e32 v0, vcc, s10, v0
	v_addc_co_u32_e32 v1, vcc, v1, v3, vcc
	s_cbranch_scc1 .LBB24_792
; %bb.786:
	s_cmp_gt_i32 s43, 25
	s_cbranch_scc0 .LBB24_793
; %bb.787:
	s_cmp_gt_i32 s43, 28
	s_cbranch_scc0 .LBB24_794
	;; [unrolled: 3-line block ×4, first 2 shown]
; %bb.790:
	s_cmp_eq_u32 s43, 46
	s_mov_b64 s[38:39], 0
	s_cbranch_scc0 .LBB24_801
; %bb.791:
	global_load_dword v3, v[0:1], off
	s_mov_b64 s[36:37], -1
	s_waitcnt vmcnt(0)
	v_lshlrev_b32_e32 v3, 16, v3
	v_cvt_f16_f32_e32 v4, v3
	s_branch .LBB24_803
.LBB24_792:
	s_mov_b64 s[38:39], -1
                                        ; implicit-def: $vgpr4
	s_mov_b64 s[30:31], s[0:1]
	s_branch .LBB24_866
.LBB24_793:
	s_mov_b64 s[38:39], -1
	s_mov_b64 s[30:31], s[0:1]
                                        ; implicit-def: $vgpr4
	s_branch .LBB24_832
.LBB24_794:
	s_mov_b64 s[38:39], -1
	s_mov_b64 s[30:31], s[0:1]
                                        ; implicit-def: $vgpr4
	s_branch .LBB24_813
.LBB24_795:
	s_mov_b64 s[38:39], -1
	s_mov_b64 s[30:31], s[0:1]
                                        ; implicit-def: $vgpr4
	s_branch .LBB24_808
.LBB24_796:
	s_andn2_saveexec_b64 s[34:35], s[34:35]
	s_cbranch_execz .LBB24_692
.LBB24_797:
	s_mov_b32 s39, 0x46000000
	v_add_f32_e64 v5, |v4|, s39
	v_and_b32_e32 v5, 0xff, v5
	v_cmp_ne_u32_e32 vcc, 0, v5
	s_andn2_b64 s[4:5], s[4:5], exec
	s_and_b64 s[40:41], vcc, exec
	s_or_b64 s[4:5], s[4:5], s[40:41]
	s_or_b64 exec, exec, s[34:35]
	v_mov_b32_e32 v6, 0
	s_and_saveexec_b64 s[34:35], s[4:5]
	s_cbranch_execnz .LBB24_693
	s_branch .LBB24_694
.LBB24_798:
	s_mov_b64 s[38:39], -1
	s_mov_b64 s[30:31], s[0:1]
	s_branch .LBB24_802
.LBB24_799:
	s_andn2_saveexec_b64 s[34:35], s[34:35]
	s_cbranch_execz .LBB24_705
.LBB24_800:
	s_mov_b32 s39, 0x42800000
	v_add_f32_e64 v5, |v4|, s39
	v_and_b32_e32 v5, 0xff, v5
	v_cmp_ne_u32_e32 vcc, 0, v5
	s_andn2_b64 s[4:5], s[4:5], exec
	s_and_b64 s[40:41], vcc, exec
	s_or_b64 s[4:5], s[4:5], s[40:41]
	s_or_b64 exec, exec, s[34:35]
	v_mov_b32_e32 v6, 0
	s_and_saveexec_b64 s[34:35], s[4:5]
	s_cbranch_execnz .LBB24_706
	s_branch .LBB24_707
.LBB24_801:
	s_mov_b64 s[30:31], -1
.LBB24_802:
                                        ; implicit-def: $vgpr4
.LBB24_803:
	s_and_b64 vcc, exec, s[38:39]
	s_cbranch_vccz .LBB24_807
; %bb.804:
	s_cmp_eq_u32 s43, 44
	s_cbranch_scc0 .LBB24_806
; %bb.805:
	global_load_ubyte v3, v[0:1], off
	s_movk_i32 s36, 0xff
	v_mov_b32_e32 v5, 0x7e00
	s_mov_b64 s[30:31], 0
	s_waitcnt vmcnt(0)
	v_lshlrev_b32_e32 v4, 23, v3
	v_cvt_f16_f32_e32 v4, v4
	v_cmp_ne_u32_e32 vcc, s36, v3
	s_mov_b64 s[36:37], -1
	v_cndmask_b32_e32 v4, v5, v4, vcc
	v_cmp_ne_u32_e32 vcc, 0, v3
	v_cndmask_b32_e32 v4, 0, v4, vcc
	s_branch .LBB24_807
.LBB24_806:
	s_mov_b64 s[30:31], -1
                                        ; implicit-def: $vgpr4
.LBB24_807:
	s_mov_b64 s[38:39], 0
.LBB24_808:
	s_and_b64 vcc, exec, s[38:39]
	s_cbranch_vccz .LBB24_812
; %bb.809:
	s_cmp_eq_u32 s43, 29
	s_cbranch_scc0 .LBB24_811
; %bb.810:
	global_load_dwordx2 v[3:4], v[0:1], off
	s_mov_b64 s[30:31], 0
	s_mov_b64 s[36:37], -1
	s_mov_b64 s[38:39], 0
	s_waitcnt vmcnt(0)
	v_ffbh_u32_e32 v5, v4
	v_min_u32_e32 v5, 32, v5
	v_lshlrev_b64 v[3:4], v5, v[3:4]
	v_min_u32_e32 v3, 1, v3
	v_or_b32_e32 v3, v4, v3
	v_cvt_f32_u32_e32 v3, v3
	v_sub_u32_e32 v4, 32, v5
	v_ldexp_f32 v3, v3, v4
	v_cvt_f16_f32_e32 v4, v3
	s_branch .LBB24_813
.LBB24_811:
	s_mov_b64 s[30:31], -1
                                        ; implicit-def: $vgpr4
.LBB24_812:
	s_mov_b64 s[38:39], 0
.LBB24_813:
	s_and_b64 vcc, exec, s[38:39]
	s_cbranch_vccz .LBB24_831
; %bb.814:
	s_cmp_lt_i32 s43, 27
	s_cbranch_scc1 .LBB24_817
; %bb.815:
	s_cmp_gt_i32 s43, 27
	s_cbranch_scc0 .LBB24_818
; %bb.816:
	global_load_dword v3, v[0:1], off
	s_mov_b64 s[36:37], 0
	s_waitcnt vmcnt(0)
	v_cvt_f32_u32_e32 v3, v3
	v_cvt_f16_f32_e32 v4, v3
	s_branch .LBB24_819
.LBB24_817:
	s_mov_b64 s[36:37], -1
                                        ; implicit-def: $vgpr4
	s_branch .LBB24_822
.LBB24_818:
	s_mov_b64 s[36:37], -1
                                        ; implicit-def: $vgpr4
.LBB24_819:
	s_andn2_b64 vcc, exec, s[36:37]
	s_cbranch_vccnz .LBB24_821
; %bb.820:
	global_load_ushort v3, v[0:1], off
	s_waitcnt vmcnt(0)
	v_cvt_f16_u16_e32 v4, v3
.LBB24_821:
	s_mov_b64 s[36:37], 0
.LBB24_822:
	s_andn2_b64 vcc, exec, s[36:37]
	s_cbranch_vccnz .LBB24_830
; %bb.823:
	global_load_ubyte v3, v[0:1], off
	s_movk_i32 s36, 0x7f
	s_waitcnt vmcnt(0)
	v_cmp_lt_i16_e32 vcc, s36, v3
	s_mov_b64 s[36:37], 0
	s_and_saveexec_b64 s[38:39], vcc
	s_xor_b64 s[38:39], exec, s[38:39]
	s_cbranch_execz .LBB24_844
; %bb.824:
	s_movk_i32 s36, 0x80
	v_cmp_eq_u16_e32 vcc, s36, v3
	s_mov_b64 s[36:37], -1
	s_and_saveexec_b64 s[40:41], vcc
; %bb.825:
	s_xor_b64 s[36:37], exec, -1
; %bb.826:
	s_or_b64 exec, exec, s[40:41]
	s_and_b64 s[36:37], s[36:37], exec
	s_or_saveexec_b64 s[38:39], s[38:39]
	v_mov_b32_e32 v4, 0x7e00
	s_xor_b64 exec, exec, s[38:39]
	s_cbranch_execnz .LBB24_845
.LBB24_827:
	s_or_b64 exec, exec, s[38:39]
	s_and_saveexec_b64 s[38:39], s[36:37]
	s_cbranch_execz .LBB24_829
.LBB24_828:
	v_lshlrev_b32_e32 v4, 24, v3
	v_and_b32_e32 v3, 0xffff, v3
	v_and_b32_e32 v5, 7, v3
	v_ffbh_u32_e32 v7, v5
	v_min_u32_e32 v7, 32, v7
	v_subrev_u32_e32 v8, 28, v7
	v_bfe_u32 v6, v3, 3, 4
	v_lshlrev_b32_e32 v3, v8, v3
	v_sub_u32_e32 v7, 29, v7
	v_and_b32_e32 v3, 7, v3
	v_cmp_eq_u32_e32 vcc, 0, v6
	v_cndmask_b32_e32 v6, v6, v7, vcc
	v_cndmask_b32_e32 v3, v5, v3, vcc
	v_mov_b32_e32 v5, 0x3b800000
	v_lshlrev_b32_e32 v3, 20, v3
	v_and_b32_e32 v4, 0x80000000, v4
	v_lshl_add_u32 v5, v6, 23, v5
	v_or3_b32 v3, v4, v5, v3
	v_cvt_f16_f32_e32 v4, v3
.LBB24_829:
	s_or_b64 exec, exec, s[38:39]
.LBB24_830:
	s_mov_b64 s[36:37], -1
.LBB24_831:
	s_mov_b64 s[38:39], 0
.LBB24_832:
	s_and_b64 vcc, exec, s[38:39]
	s_cbranch_vccz .LBB24_865
; %bb.833:
	s_cmp_gt_i32 s43, 22
	s_cbranch_scc0 .LBB24_843
; %bb.834:
	s_cmp_lt_i32 s43, 24
	s_cbranch_scc1 .LBB24_846
; %bb.835:
	s_cmp_gt_i32 s43, 24
	s_cbranch_scc0 .LBB24_847
; %bb.836:
	global_load_ubyte v3, v[0:1], off
	s_movk_i32 s34, 0x7f
	s_waitcnt vmcnt(0)
	v_cmp_lt_i16_e32 vcc, s34, v3
	s_mov_b64 s[34:35], 0
	s_and_saveexec_b64 s[36:37], vcc
	s_xor_b64 s[36:37], exec, s[36:37]
	s_cbranch_execz .LBB24_859
; %bb.837:
	s_movk_i32 s34, 0x80
	v_cmp_eq_u16_e32 vcc, s34, v3
	s_mov_b64 s[34:35], -1
	s_and_saveexec_b64 s[38:39], vcc
; %bb.838:
	s_xor_b64 s[34:35], exec, -1
; %bb.839:
	s_or_b64 exec, exec, s[38:39]
	s_and_b64 s[34:35], s[34:35], exec
	s_or_saveexec_b64 s[36:37], s[36:37]
	v_mov_b32_e32 v4, 0x7e00
	s_xor_b64 exec, exec, s[36:37]
	s_cbranch_execnz .LBB24_860
.LBB24_840:
	s_or_b64 exec, exec, s[36:37]
	s_and_saveexec_b64 s[36:37], s[34:35]
	s_cbranch_execz .LBB24_842
.LBB24_841:
	v_lshlrev_b32_e32 v4, 24, v3
	v_and_b32_e32 v3, 0xffff, v3
	v_and_b32_e32 v5, 3, v3
	v_ffbh_u32_e32 v7, v5
	v_min_u32_e32 v7, 32, v7
	v_subrev_u32_e32 v8, 29, v7
	v_bfe_u32 v6, v3, 2, 5
	v_lshlrev_b32_e32 v3, v8, v3
	v_sub_u32_e32 v7, 30, v7
	v_and_b32_e32 v3, 3, v3
	v_cmp_eq_u32_e32 vcc, 0, v6
	v_cndmask_b32_e32 v6, v6, v7, vcc
	v_cndmask_b32_e32 v3, v5, v3, vcc
	v_mov_b32_e32 v5, 0x37800000
	v_lshlrev_b32_e32 v3, 21, v3
	v_and_b32_e32 v4, 0x80000000, v4
	v_lshl_add_u32 v5, v6, 23, v5
	v_or3_b32 v3, v4, v5, v3
	v_cvt_f16_f32_e32 v4, v3
.LBB24_842:
	s_or_b64 exec, exec, s[36:37]
	s_mov_b64 s[34:35], 0
	s_branch .LBB24_848
.LBB24_843:
	s_mov_b64 s[34:35], -1
                                        ; implicit-def: $vgpr4
	s_branch .LBB24_854
.LBB24_844:
	s_or_saveexec_b64 s[38:39], s[38:39]
	v_mov_b32_e32 v4, 0x7e00
	s_xor_b64 exec, exec, s[38:39]
	s_cbranch_execz .LBB24_827
.LBB24_845:
	v_cmp_ne_u16_e32 vcc, 0, v3
	s_andn2_b64 s[36:37], s[36:37], exec
	s_and_b64 s[40:41], vcc, exec
	s_or_b64 s[36:37], s[36:37], s[40:41]
	v_mov_b32_e32 v4, v3
	s_or_b64 exec, exec, s[38:39]
	s_and_saveexec_b64 s[38:39], s[36:37]
	s_cbranch_execnz .LBB24_828
	s_branch .LBB24_829
.LBB24_846:
	s_mov_b64 s[34:35], -1
                                        ; implicit-def: $vgpr4
	s_branch .LBB24_851
.LBB24_847:
	s_mov_b64 s[34:35], -1
                                        ; implicit-def: $vgpr4
.LBB24_848:
	s_and_b64 vcc, exec, s[34:35]
	s_cbranch_vccz .LBB24_850
; %bb.849:
	global_load_ubyte v3, v[0:1], off
	s_mov_b32 s34, 0x7f800000
	s_waitcnt vmcnt(0)
	v_lshlrev_b32_e32 v3, 24, v3
	v_and_b32_e32 v4, 0x7f000000, v3
	v_ffbh_u32_e32 v5, v4
	v_min_u32_e32 v5, 32, v5
	v_sub_u32_e64 v5, v5, 4 clamp
	v_lshlrev_b32_e32 v7, v5, v4
	v_lshlrev_b32_e32 v5, 23, v5
	v_lshrrev_b32_e32 v7, 4, v7
	v_add_u32_e32 v6, 0x1000000, v4
	v_sub_u32_e32 v5, v7, v5
	v_ashrrev_i32_e32 v6, 8, v6
	v_add_u32_e32 v5, 0x3c000000, v5
	v_and_or_b32 v5, v6, s34, v5
	v_cmp_ne_u32_e32 vcc, 0, v4
	v_cndmask_b32_e32 v4, 0, v5, vcc
	s_brev_b32 s34, 1
	v_and_or_b32 v3, v3, s34, v4
	v_cvt_f16_f32_e32 v4, v3
.LBB24_850:
	s_mov_b64 s[34:35], 0
.LBB24_851:
	s_andn2_b64 vcc, exec, s[34:35]
	s_cbranch_vccnz .LBB24_853
; %bb.852:
	global_load_ubyte v3, v[0:1], off
	s_movk_i32 s34, 0x7f00
	s_brev_b32 s35, 16
	s_waitcnt vmcnt(0)
	v_lshlrev_b16_e32 v4, 8, v3
	v_lshlrev_b32_e32 v3, 25, v3
	v_lshrrev_b32_e32 v5, 4, v3
	v_and_or_b32 v6, v4, s34, 0.5
	v_or_b32_e32 v5, 0x70000000, v5
	v_add_f32_e32 v6, -0.5, v6
	v_mul_f32_e32 v5, 0x7800000, v5
	v_cmp_gt_u32_e32 vcc, s35, v3
	v_bfe_i32 v4, v4, 0, 16
	v_cndmask_b32_e32 v3, v5, v6, vcc
	s_brev_b32 s34, 1
	v_and_or_b32 v3, v4, s34, v3
	v_cvt_f16_f32_e32 v4, v3
.LBB24_853:
	s_mov_b64 s[34:35], 0
	s_mov_b64 s[36:37], -1
.LBB24_854:
	s_andn2_b64 vcc, exec, s[34:35]
	s_mov_b64 s[34:35], 0
	s_cbranch_vccnz .LBB24_865
; %bb.855:
	s_cmp_gt_i32 s43, 14
	s_cbranch_scc0 .LBB24_858
; %bb.856:
	s_cmp_eq_u32 s43, 15
	s_cbranch_scc0 .LBB24_861
; %bb.857:
	global_load_ushort v3, v[0:1], off
	s_mov_b64 s[30:31], 0
	s_mov_b64 s[36:37], -1
	s_waitcnt vmcnt(0)
	v_lshlrev_b32_e32 v3, 16, v3
	v_cvt_f16_f32_e32 v4, v3
	s_branch .LBB24_862
.LBB24_858:
	s_mov_b64 s[38:39], -1
                                        ; implicit-def: $vgpr4
	s_branch .LBB24_863
.LBB24_859:
	s_or_saveexec_b64 s[36:37], s[36:37]
	v_mov_b32_e32 v4, 0x7e00
	s_xor_b64 exec, exec, s[36:37]
	s_cbranch_execz .LBB24_840
.LBB24_860:
	v_cmp_ne_u16_e32 vcc, 0, v3
	s_andn2_b64 s[34:35], s[34:35], exec
	s_and_b64 s[38:39], vcc, exec
	s_or_b64 s[34:35], s[34:35], s[38:39]
	v_mov_b32_e32 v4, v3
	s_or_b64 exec, exec, s[36:37]
	s_and_saveexec_b64 s[36:37], s[34:35]
	s_cbranch_execnz .LBB24_841
	s_branch .LBB24_842
.LBB24_861:
	s_mov_b64 s[30:31], -1
                                        ; implicit-def: $vgpr4
.LBB24_862:
	s_mov_b64 s[38:39], 0
.LBB24_863:
	s_and_b64 vcc, exec, s[38:39]
	s_cbranch_vccz .LBB24_865
; %bb.864:
	s_cmp_lg_u32 s43, 11
	s_cselect_b64 s[38:39], -1, 0
	s_andn2_b64 s[30:31], s[30:31], exec
	s_and_b64 s[38:39], s[38:39], exec
	s_mov_b64 s[34:35], -1
	s_or_b64 s[30:31], s[30:31], s[38:39]
.LBB24_865:
	s_mov_b64 s[38:39], 0
.LBB24_866:
	s_and_b64 s[40:41], s[36:37], exec
	s_and_b64 s[36:37], s[38:39], exec
	s_andn2_b64 s[38:39], s[0:1], exec
	s_and_b64 s[30:31], s[30:31], exec
	s_and_b64 s[34:35], s[34:35], exec
	s_or_b64 s[38:39], s[38:39], s[30:31]
.LBB24_867:
	s_or_b64 exec, exec, s[28:29]
	s_and_b64 s[30:31], s[34:35], exec
	s_andn2_b64 s[0:1], s[0:1], exec
	s_and_b64 s[34:35], s[38:39], exec
	s_and_b64 s[28:29], s[40:41], exec
	;; [unrolled: 1-line block ×3, first 2 shown]
	s_or_b64 s[0:1], s[0:1], s[34:35]
.LBB24_868:
	s_or_b64 exec, exec, s[4:5]
	s_andn2_b64 s[4:5], s[24:25], exec
	s_and_b64 s[2:3], s[2:3], exec
	s_andn2_b64 s[22:23], s[22:23], exec
	s_and_b64 s[0:1], s[0:1], exec
	s_or_b64 s[24:25], s[4:5], s[2:3]
	s_and_b64 s[28:29], s[28:29], exec
	s_and_b64 s[4:5], s[36:37], exec
	;; [unrolled: 1-line block ×3, first 2 shown]
	s_or_b64 s[22:23], s[22:23], s[0:1]
.LBB24_869:
	s_or_b64 exec, exec, s[26:27]
	s_andn2_b64 s[0:1], s[16:17], exec
	s_and_b64 s[16:17], s[24:25], exec
	s_and_b64 s[24:25], s[2:3], exec
	s_andn2_b64 s[2:3], s[18:19], exec
	s_and_b64 s[18:19], s[22:23], exec
	s_or_b64 s[16:17], s[0:1], s[16:17]
	s_and_b64 s[0:1], s[28:29], exec
	s_and_b64 s[4:5], s[4:5], exec
	s_or_b64 s[18:19], s[2:3], s[18:19]
	s_or_b64 exec, exec, s[20:21]
	s_mov_b64 s[20:21], 0
	s_and_saveexec_b64 s[2:3], s[18:19]
	s_cbranch_execz .LBB24_265
.LBB24_870:
	s_mov_b64 s[20:21], exec
	s_andn2_b64 s[24:25], s[24:25], exec
	s_trap 2
	s_or_b64 exec, exec, s[2:3]
	s_and_saveexec_b64 s[2:3], s[24:25]
	s_xor_b64 s[2:3], exec, s[2:3]
	s_cbranch_execnz .LBB24_266
.LBB24_871:
	s_or_b64 exec, exec, s[2:3]
	s_and_saveexec_b64 s[2:3], s[4:5]
	s_cbranch_execz .LBB24_917
.LBB24_872:
	s_sext_i32_i16 s4, s42
	s_cmp_lt_i32 s4, 5
	s_cbranch_scc1 .LBB24_877
; %bb.873:
	s_cmp_lt_i32 s4, 8
	s_cbranch_scc1 .LBB24_878
; %bb.874:
	;; [unrolled: 3-line block ×3, first 2 shown]
	s_cmp_gt_i32 s4, 9
	s_cbranch_scc0 .LBB24_880
; %bb.876:
	global_load_dwordx2 v[3:4], v[0:1], off
	s_movk_i32 s4, 0x1ff
	s_movk_i32 s5, 0xffe
	v_mov_b32_e32 v5, 0x7c00
	v_mov_b32_e32 v6, 0x7e00
	s_movk_i32 s18, 0x40f
	s_mov_b32 s19, 0x8000
	s_waitcnt vmcnt(0)
	v_and_or_b32 v3, v4, s4, v3
	v_cmp_ne_u32_e32 vcc, 0, v3
	v_lshrrev_b32_e32 v7, 8, v4
	v_bfe_u32 v8, v4, 20, 11
	v_cndmask_b32_e64 v3, 0, 1, vcc
	v_sub_u32_e32 v9, 0x3f1, v8
	v_and_or_b32 v3, v7, s5, v3
	v_add_u32_e32 v8, 0xfffffc10, v8
	v_med3_i32 v7, v9, 0, 13
	v_or_b32_e32 v9, 0x1000, v3
	v_cmp_ne_u32_e32 vcc, 0, v3
	v_lshl_or_b32 v10, v8, 12, v3
	v_cndmask_b32_e32 v3, v5, v6, vcc
	v_lshrrev_b32_e32 v6, v7, v9
	v_lshlrev_b32_e32 v7, v7, v6
	v_cmp_ne_u32_e32 vcc, v7, v9
	v_cndmask_b32_e64 v7, 0, 1, vcc
	v_or_b32_e32 v6, v6, v7
	v_cmp_gt_i32_e32 vcc, 1, v8
	v_cndmask_b32_e32 v6, v10, v6, vcc
	v_and_b32_e32 v7, 7, v6
	v_cmp_lt_i32_e32 vcc, 5, v7
	v_cndmask_b32_e64 v9, 0, 1, vcc
	v_cmp_eq_u32_e32 vcc, 3, v7
	v_cndmask_b32_e64 v7, 0, 1, vcc
	v_lshrrev_b32_e32 v6, 2, v6
	v_or_b32_e32 v7, v7, v9
	v_add_u32_e32 v6, v6, v7
	v_cmp_gt_i32_e32 vcc, 31, v8
	v_cndmask_b32_e32 v5, v5, v6, vcc
	v_cmp_eq_u32_e32 vcc, s18, v8
	v_lshrrev_b32_e32 v4, 16, v4
	v_cndmask_b32_e32 v3, v5, v3, vcc
	v_and_or_b32 v4, v4, s19, v3
	s_mov_b64 s[4:5], 0
	s_branch .LBB24_881
.LBB24_877:
                                        ; implicit-def: $vgpr4
	s_branch .LBB24_898
.LBB24_878:
                                        ; implicit-def: $vgpr4
	s_branch .LBB24_887
.LBB24_879:
	s_mov_b64 s[4:5], -1
                                        ; implicit-def: $vgpr4
	s_branch .LBB24_884
.LBB24_880:
	s_mov_b64 s[4:5], -1
                                        ; implicit-def: $vgpr4
.LBB24_881:
	s_andn2_b64 vcc, exec, s[4:5]
	s_cbranch_vccnz .LBB24_883
; %bb.882:
	global_load_dword v3, v[0:1], off
	s_waitcnt vmcnt(0)
	v_cvt_f16_f32_e32 v4, v3
.LBB24_883:
	s_mov_b64 s[4:5], 0
.LBB24_884:
	s_andn2_b64 vcc, exec, s[4:5]
	s_cbranch_vccnz .LBB24_886
; %bb.885:
	global_load_dword v4, v[0:1], off
.LBB24_886:
	s_cbranch_execnz .LBB24_897
.LBB24_887:
	s_sext_i32_i16 s4, s42
	s_cmp_lt_i32 s4, 6
	s_cbranch_scc1 .LBB24_890
; %bb.888:
	s_cmp_gt_i32 s4, 6
	s_cbranch_scc0 .LBB24_891
; %bb.889:
	global_load_dwordx2 v[3:4], v[0:1], off
	s_movk_i32 s4, 0x1ff
	s_movk_i32 s5, 0xffe
	v_mov_b32_e32 v5, 0x7c00
	v_mov_b32_e32 v6, 0x7e00
	s_movk_i32 s18, 0x40f
	s_mov_b32 s19, 0x8000
	s_waitcnt vmcnt(0)
	v_and_or_b32 v3, v4, s4, v3
	v_cmp_ne_u32_e32 vcc, 0, v3
	v_lshrrev_b32_e32 v7, 8, v4
	v_bfe_u32 v8, v4, 20, 11
	v_cndmask_b32_e64 v3, 0, 1, vcc
	v_sub_u32_e32 v9, 0x3f1, v8
	v_and_or_b32 v3, v7, s5, v3
	v_add_u32_e32 v8, 0xfffffc10, v8
	v_med3_i32 v7, v9, 0, 13
	v_or_b32_e32 v9, 0x1000, v3
	v_cmp_ne_u32_e32 vcc, 0, v3
	v_lshl_or_b32 v10, v8, 12, v3
	v_cndmask_b32_e32 v3, v5, v6, vcc
	v_lshrrev_b32_e32 v6, v7, v9
	v_lshlrev_b32_e32 v7, v7, v6
	v_cmp_ne_u32_e32 vcc, v7, v9
	v_cndmask_b32_e64 v7, 0, 1, vcc
	v_or_b32_e32 v6, v6, v7
	v_cmp_gt_i32_e32 vcc, 1, v8
	v_cndmask_b32_e32 v6, v10, v6, vcc
	v_and_b32_e32 v7, 7, v6
	v_cmp_lt_i32_e32 vcc, 5, v7
	v_cndmask_b32_e64 v9, 0, 1, vcc
	v_cmp_eq_u32_e32 vcc, 3, v7
	v_cndmask_b32_e64 v7, 0, 1, vcc
	v_lshrrev_b32_e32 v6, 2, v6
	v_or_b32_e32 v7, v7, v9
	v_add_u32_e32 v6, v6, v7
	v_cmp_gt_i32_e32 vcc, 31, v8
	v_cndmask_b32_e32 v5, v5, v6, vcc
	v_cmp_eq_u32_e32 vcc, s18, v8
	v_lshrrev_b32_e32 v4, 16, v4
	v_cndmask_b32_e32 v3, v5, v3, vcc
	v_and_or_b32 v4, v4, s19, v3
	s_mov_b64 s[4:5], 0
	s_branch .LBB24_892
.LBB24_890:
	s_mov_b64 s[4:5], -1
                                        ; implicit-def: $vgpr4
	s_branch .LBB24_895
.LBB24_891:
	s_mov_b64 s[4:5], -1
                                        ; implicit-def: $vgpr4
.LBB24_892:
	s_andn2_b64 vcc, exec, s[4:5]
	s_cbranch_vccnz .LBB24_894
; %bb.893:
	global_load_dword v3, v[0:1], off
	s_waitcnt vmcnt(0)
	v_cvt_f16_f32_e32 v4, v3
.LBB24_894:
	s_mov_b64 s[4:5], 0
.LBB24_895:
	s_andn2_b64 vcc, exec, s[4:5]
	s_cbranch_vccnz .LBB24_897
; %bb.896:
	global_load_ushort v4, v[0:1], off
.LBB24_897:
	s_cbranch_execnz .LBB24_916
.LBB24_898:
	s_sext_i32_i16 s4, s42
	s_cmp_lt_i32 s4, 2
	s_cbranch_scc1 .LBB24_902
; %bb.899:
	s_cmp_lt_i32 s4, 3
	s_cbranch_scc1 .LBB24_903
; %bb.900:
	s_cmp_gt_i32 s4, 3
	s_cbranch_scc0 .LBB24_904
; %bb.901:
	global_load_dwordx2 v[3:4], v[0:1], off
	s_mov_b64 s[4:5], 0
	s_waitcnt vmcnt(0)
	v_xor_b32_e32 v6, v3, v4
	v_ffbh_i32_e32 v5, v4
	v_ashrrev_i32_e32 v6, 31, v6
	v_add_u32_e32 v5, -1, v5
	v_add_u32_e32 v6, 32, v6
	v_min_u32_e32 v5, v5, v6
	v_lshlrev_b64 v[3:4], v5, v[3:4]
	v_min_u32_e32 v3, 1, v3
	v_or_b32_e32 v3, v4, v3
	v_cvt_f32_i32_e32 v3, v3
	v_sub_u32_e32 v4, 32, v5
	v_ldexp_f32 v3, v3, v4
	v_cvt_f16_f32_e32 v4, v3
	s_branch .LBB24_905
.LBB24_902:
                                        ; implicit-def: $vgpr4
	s_branch .LBB24_911
.LBB24_903:
	s_mov_b64 s[4:5], -1
                                        ; implicit-def: $vgpr4
	s_branch .LBB24_908
.LBB24_904:
	s_mov_b64 s[4:5], -1
                                        ; implicit-def: $vgpr4
.LBB24_905:
	s_andn2_b64 vcc, exec, s[4:5]
	s_cbranch_vccnz .LBB24_907
; %bb.906:
	global_load_dword v3, v[0:1], off
	s_waitcnt vmcnt(0)
	v_cvt_f32_i32_e32 v3, v3
	v_cvt_f16_f32_e32 v4, v3
.LBB24_907:
	s_mov_b64 s[4:5], 0
.LBB24_908:
	s_andn2_b64 vcc, exec, s[4:5]
	s_cbranch_vccnz .LBB24_910
; %bb.909:
	global_load_ushort v3, v[0:1], off
	s_waitcnt vmcnt(0)
	v_cvt_f16_i16_e32 v4, v3
.LBB24_910:
	s_cbranch_execnz .LBB24_916
.LBB24_911:
	s_sext_i32_i16 s4, s42
	s_cmp_gt_i32 s4, 0
	s_cbranch_scc0 .LBB24_913
; %bb.912:
	global_load_sbyte v3, v[0:1], off
	s_mov_b64 s[4:5], 0
	s_waitcnt vmcnt(0)
	v_cvt_f16_i16_e32 v4, v3
	s_branch .LBB24_914
.LBB24_913:
	s_mov_b64 s[4:5], -1
                                        ; implicit-def: $vgpr4
.LBB24_914:
	s_andn2_b64 vcc, exec, s[4:5]
	s_cbranch_vccnz .LBB24_916
; %bb.915:
	global_load_ubyte v0, v[0:1], off
	s_waitcnt vmcnt(0)
	v_cvt_f16_u16_e32 v4, v0
.LBB24_916:
	s_or_b64 s[0:1], s[0:1], exec
.LBB24_917:
	s_or_b64 exec, exec, s[2:3]
	s_mov_b64 s[4:5], 0
	s_mov_b64 s[2:3], 0
                                        ; implicit-def: $sgpr26
                                        ; implicit-def: $vgpr0_vgpr1
                                        ; implicit-def: $vgpr3
	s_and_saveexec_b64 s[18:19], s[0:1]
	s_cbranch_execz .LBB24_939
; %bb.918:
	s_waitcnt vmcnt(0)
	v_cvt_f32_f16_e32 v0, v4
	s_brev_b32 s0, 18
                                        ; implicit-def: $vgpr3
                                        ; implicit-def: $vgpr4
	v_and_b32_e32 v1, 0x7fffffff, v0
	v_cmp_nlt_f32_e64 s[0:1], |v0|, s0
	s_and_saveexec_b64 s[2:3], s[0:1]
	s_xor_b64 s[22:23], exec, s[2:3]
	s_cbranch_execz .LBB24_920
; %bb.919:
	v_and_b32_e32 v3, 0x7fffff, v1
	v_or_b32_e32 v12, 0x800000, v3
	s_mov_b32 s0, 0xfe5163ab
	v_mad_u64_u32 v[3:4], s[0:1], v12, s0, 0
	v_mov_b32_e32 v5, 0
	s_mov_b32 s0, 0x3c439041
	v_mad_u64_u32 v[6:7], s[0:1], v12, s0, v[4:5]
	s_mov_b32 s0, 0xdb629599
	v_not_b32_e32 v11, 63
	v_mov_b32_e32 v4, v7
	v_mad_u64_u32 v[7:8], s[0:1], v12, s0, v[4:5]
	s_mov_b32 s0, 0xf534ddc0
	v_not_b32_e32 v14, 31
	v_mov_b32_e32 v4, v8
	v_mad_u64_u32 v[8:9], s[0:1], v12, s0, v[4:5]
	v_lshrrev_b32_e32 v4, 23, v1
	v_add_u32_e32 v13, 0xffffff88, v4
	v_mov_b32_e32 v4, v9
	s_mov_b32 s0, 0xfc2757d1
	v_mad_u64_u32 v[9:10], s[0:1], v12, s0, v[4:5]
	v_cmp_lt_u32_e32 vcc, 63, v13
	v_cndmask_b32_e32 v4, 0, v11, vcc
	v_add_u32_e32 v13, v4, v13
	v_mov_b32_e32 v4, v10
	s_mov_b32 s0, 0x4e441529
	v_mad_u64_u32 v[10:11], s[0:1], v12, s0, v[4:5]
	v_cmp_lt_u32_e64 s[0:1], 31, v13
	v_cndmask_b32_e64 v4, 0, v14, s[0:1]
	v_add_u32_e32 v13, v4, v13
	v_mov_b32_e32 v4, v11
	s_mov_b32 s2, 0xa2f9836e
	v_mad_u64_u32 v[4:5], s[2:3], v12, s2, v[4:5]
	v_cmp_lt_u32_e64 s[2:3], 31, v13
	v_cndmask_b32_e64 v11, 0, v14, s[2:3]
	v_cndmask_b32_e32 v12, v10, v8, vcc
	v_cndmask_b32_e32 v4, v4, v9, vcc
	;; [unrolled: 1-line block ×3, first 2 shown]
	v_add_u32_e32 v11, v11, v13
	v_cndmask_b32_e64 v13, v4, v12, s[0:1]
	v_cndmask_b32_e64 v4, v5, v4, s[0:1]
	v_cndmask_b32_e32 v5, v9, v7, vcc
	v_cndmask_b32_e64 v9, v12, v5, s[0:1]
	v_cndmask_b32_e64 v4, v4, v13, s[2:3]
	v_cndmask_b32_e64 v10, v13, v9, s[2:3]
	v_sub_u32_e32 v12, 32, v11
	v_alignbit_b32 v13, v4, v10, v12
	v_cmp_eq_u32_e64 s[4:5], 0, v11
	v_cndmask_b32_e64 v11, v13, v4, s[4:5]
	v_cndmask_b32_e32 v4, v8, v6, vcc
	v_cndmask_b32_e64 v5, v5, v4, s[0:1]
	v_cndmask_b32_e64 v6, v9, v5, s[2:3]
	v_alignbit_b32 v8, v10, v6, v12
	v_cndmask_b32_e32 v3, v7, v3, vcc
	v_cndmask_b32_e64 v8, v8, v10, s[4:5]
	v_bfe_u32 v13, v11, 29, 1
	v_cndmask_b32_e64 v3, v4, v3, s[0:1]
	v_alignbit_b32 v9, v11, v8, 30
	v_sub_u32_e32 v14, 0, v13
	v_cndmask_b32_e64 v3, v5, v3, s[2:3]
	v_xor_b32_e32 v9, v9, v14
	v_alignbit_b32 v4, v6, v3, v12
	v_cndmask_b32_e64 v4, v4, v6, s[4:5]
	v_ffbh_u32_e32 v6, v9
	v_alignbit_b32 v5, v8, v4, 30
	v_min_u32_e32 v6, 32, v6
	v_alignbit_b32 v3, v4, v3, 30
	v_xor_b32_e32 v5, v5, v14
	v_sub_u32_e32 v7, 31, v6
	v_xor_b32_e32 v3, v3, v14
	v_alignbit_b32 v8, v9, v5, v7
	v_alignbit_b32 v3, v5, v3, v7
	;; [unrolled: 1-line block ×3, first 2 shown]
	v_ffbh_u32_e32 v5, v4
	v_min_u32_e32 v5, 32, v5
	v_lshrrev_b32_e32 v10, 29, v11
	v_not_b32_e32 v7, v5
	v_alignbit_b32 v3, v4, v3, v7
	v_lshlrev_b32_e32 v4, 31, v10
	v_or_b32_e32 v7, 0x33000000, v4
	v_add_lshl_u32 v5, v5, v6, 23
	v_lshrrev_b32_e32 v3, 9, v3
	v_sub_u32_e32 v5, v7, v5
	v_or_b32_e32 v4, 0.5, v4
	v_lshlrev_b32_e32 v6, 23, v6
	v_or_b32_e32 v3, v5, v3
	v_lshrrev_b32_e32 v5, 9, v8
	v_sub_u32_e32 v4, v4, v6
	v_or_b32_e32 v4, v5, v4
	s_mov_b32 s0, 0x3fc90fda
	v_mul_f32_e32 v5, 0x3fc90fda, v4
	v_fma_f32 v6, v4, s0, -v5
	v_fmac_f32_e32 v6, 0x33a22168, v4
	v_fmac_f32_e32 v6, 0x3fc90fda, v3
	v_lshrrev_b32_e32 v3, 30, v11
	v_add_f32_e32 v4, v5, v6
	v_add_u32_e32 v3, v13, v3
.LBB24_920:
	s_andn2_saveexec_b64 s[0:1], s[22:23]
	s_cbranch_execz .LBB24_922
; %bb.921:
	s_mov_b32 s2, 0x3f22f983
	v_mul_f32_e64 v3, |v0|, s2
	v_rndne_f32_e32 v5, v3
	s_mov_b32 s2, 0xbfc90fda
	v_cvt_i32_f32_e32 v3, v5
	v_fma_f32 v4, v5, s2, |v0|
	v_fmac_f32_e32 v4, 0xb3a22168, v5
	v_fmac_f32_e32 v4, 0xa7c234c4, v5
.LBB24_922:
	s_or_b64 exec, exec, s[0:1]
	v_mul_f32_e32 v5, v4, v4
	v_mov_b32_e32 v6, 0x3c0881c4
	v_fmac_f32_e32 v6, 0xb94c1982, v5
	v_mov_b32_e32 v7, 0xbe2aaa9d
	v_fmac_f32_e32 v7, v5, v6
	v_mul_f32_e32 v6, v5, v7
	v_fmac_f32_e32 v4, v4, v6
	v_mov_b32_e32 v6, 0xbab64f3b
	v_fmac_f32_e32 v6, 0x37d75334, v5
	v_mov_b32_e32 v7, 0x3d2aabf7
	;; [unrolled: 2-line block ×3, first 2 shown]
	v_fmac_f32_e32 v6, v5, v7
	v_fma_f32 v5, v5, v6, 1.0
	v_and_b32_e32 v6, 1, v3
	v_lshlrev_b32_e32 v3, 30, v3
	v_cmp_eq_u32_e32 vcc, 0, v6
	v_and_b32_e32 v3, 0x80000000, v3
	v_xor_b32_e32 v1, v1, v0
	v_cndmask_b32_e32 v4, v5, v4, vcc
	v_xor_b32_e32 v1, v1, v3
	s_movk_i32 s0, 0x1f8
	v_xor_b32_e32 v1, v1, v4
	v_mov_b32_e32 v3, 0x7fc00000
	v_mul_lo_u32 v2, v2, s12
	v_cmp_class_f32_e64 vcc, v0, s0
	v_cndmask_b32_e32 v0, v3, v1, vcc
	v_cvt_f16_f32_e32 v3, v0
	v_ashrrev_i32_e32 v1, 31, v2
	v_mov_b32_e32 v4, s9
	s_and_b32 s26, s33, 0xff
	v_add_co_u32_e32 v0, vcc, s8, v2
	s_cmp_lt_i32 s26, 11
	v_addc_co_u32_e32 v1, vcc, v4, v1, vcc
	s_cbranch_scc1 .LBB24_942
; %bb.923:
	s_and_b32 s27, 0xffff, s26
	s_mov_b64 s[4:5], -1
	s_cmp_gt_i32 s27, 25
	s_mov_b64 s[0:1], s[16:17]
	s_cbranch_scc0 .LBB24_960
; %bb.924:
	s_mov_b64 s[2:3], -1
	s_cmp_gt_i32 s27, 28
	s_mov_b64 s[0:1], s[16:17]
	s_cbranch_scc0 .LBB24_944
; %bb.925:
	s_cmp_gt_i32 s27, 43
	s_mov_b64 s[0:1], s[16:17]
	s_cbranch_scc0 .LBB24_936
; %bb.926:
	;; [unrolled: 4-line block ×3, first 2 shown]
	s_cmp_eq_u32 s27, 46
	s_mov_b64 s[0:1], -1
	s_cbranch_scc0 .LBB24_929
; %bb.928:
	v_cvt_f32_f16_e32 v2, v3
	s_movk_i32 s0, 0x7fff
	v_cmp_o_f16_e32 vcc, v3, v3
	v_mov_b32_e32 v4, 0x7fc0
	v_bfe_u32 v5, v2, 16, 1
	v_add3_u32 v2, v2, v5, s0
	v_cndmask_b32_sdwa v2, v4, v2, vcc dst_sel:DWORD dst_unused:UNUSED_PAD src0_sel:DWORD src1_sel:WORD_1
	global_store_dword v[0:1], v2, off
	s_mov_b64 s[0:1], 0
.LBB24_929:
	s_mov_b64 s[2:3], 0
.LBB24_930:
	s_and_b64 vcc, exec, s[2:3]
	s_cbranch_vccz .LBB24_935
; %bb.931:
	s_cmp_eq_u32 s27, 44
	s_mov_b64 s[0:1], -1
	s_cbranch_scc0 .LBB24_935
; %bb.932:
	v_cvt_f32_f16_e32 v2, v3
	s_movk_i32 s0, 0xff
	v_mov_b32_e32 v5, 0xff
	v_bfe_u32 v4, v2, 23, 8
	v_cmp_ne_u32_e32 vcc, s0, v4
	s_and_saveexec_b64 s[2:3], vcc
; %bb.933:
	s_mov_b32 s0, 0x3fffff
	v_lshrrev_b32_e32 v5, 23, v2
	v_and_b32_e32 v6, 0x400000, v2
	v_and_or_b32 v2, v2, s0, v4
	v_cmp_ne_u32_e32 vcc, 0, v6
	v_cmp_ne_u32_e64 s[0:1], 0, v2
	s_and_b64 s[0:1], vcc, s[0:1]
	v_cndmask_b32_e64 v2, 0, 1, s[0:1]
	v_add_u32_e32 v5, v5, v2
; %bb.934:
	s_or_b64 exec, exec, s[2:3]
	s_mov_b64 s[0:1], 0
	global_store_byte v[0:1], v5, off
.LBB24_935:
	s_mov_b64 s[2:3], 0
.LBB24_936:
	s_and_b64 vcc, exec, s[2:3]
	s_cbranch_vccz .LBB24_943
; %bb.937:
	s_cmp_eq_u32 s27, 29
	s_mov_b64 s[0:1], -1
	s_cbranch_scc0 .LBB24_943
; %bb.938:
	v_cvt_f32_f16_e32 v2, v3
	v_mov_b32_e32 v5, 0
	s_mov_b64 s[0:1], 0
	s_mov_b64 s[2:3], 0
	v_cvt_u32_f32_e32 v4, v2
	global_store_dwordx2 v[0:1], v[4:5], off
	s_branch .LBB24_944
.LBB24_939:
	s_or_b64 exec, exec, s[18:19]
	s_and_saveexec_b64 s[0:1], s[16:17]
	s_cbranch_execnz .LBB24_1002
.LBB24_940:
	s_or_b64 exec, exec, s[0:1]
	s_and_saveexec_b64 s[0:1], s[4:5]
	s_xor_b64 s[0:1], exec, s[0:1]
	s_cbranch_execz .LBB24_1003
.LBB24_941:
	s_waitcnt vmcnt(0)
	v_cmp_neq_f16_e32 vcc, 0, v3
	v_cndmask_b32_e64 v2, 0, 1, vcc
	global_store_byte v[0:1], v2, off
	s_or_b64 exec, exec, s[0:1]
	s_and_saveexec_b64 s[0:1], s[2:3]
	s_xor_b64 s[0:1], exec, s[0:1]
	s_cbranch_execz .LBB24_1041
	s_branch .LBB24_1004
.LBB24_942:
	s_mov_b64 s[4:5], 0
	s_mov_b64 s[2:3], -1
	s_mov_b64 s[0:1], s[16:17]
	s_branch .LBB24_1001
.LBB24_943:
	s_mov_b64 s[2:3], 0
.LBB24_944:
	s_and_b64 vcc, exec, s[2:3]
	s_cbranch_vccz .LBB24_959
; %bb.945:
	s_cmp_lt_i32 s27, 27
	s_mov_b64 s[2:3], -1
	s_cbranch_scc1 .LBB24_951
; %bb.946:
	s_cmp_gt_i32 s27, 27
	s_cbranch_scc0 .LBB24_948
; %bb.947:
	v_cvt_f32_f16_e32 v2, v3
	s_mov_b64 s[2:3], 0
	v_cvt_u32_f32_e32 v2, v2
	global_store_dword v[0:1], v2, off
.LBB24_948:
	s_andn2_b64 vcc, exec, s[2:3]
	s_cbranch_vccnz .LBB24_950
; %bb.949:
	v_cvt_u16_f16_e32 v2, v3
	global_store_short v[0:1], v2, off
.LBB24_950:
	s_mov_b64 s[2:3], 0
.LBB24_951:
	s_andn2_b64 vcc, exec, s[2:3]
	s_cbranch_vccnz .LBB24_959
; %bb.952:
	v_cvt_f32_f16_e32 v2, v3
	s_mov_b32 s2, 0x43800000
	v_mov_b32_e32 v5, 0x80
	v_and_b32_e32 v4, 0x7fffffff, v2
	v_cmp_gt_u32_e32 vcc, s2, v4
	s_and_saveexec_b64 s[2:3], vcc
	s_cbranch_execz .LBB24_958
; %bb.953:
	s_mov_b32 s4, 0x3bffffff
	v_cmp_lt_u32_e32 vcc, s4, v4
	s_mov_b64 s[4:5], 0
                                        ; implicit-def: $vgpr4
	s_and_saveexec_b64 s[22:23], vcc
	s_xor_b64 s[22:23], exec, s[22:23]
	s_cbranch_execz .LBB24_1056
; %bb.954:
	v_bfe_u32 v4, v2, 20, 1
	s_mov_b32 s24, 0x487ffff
	v_add3_u32 v4, v2, v4, s24
	s_mov_b64 s[4:5], exec
	v_lshrrev_b32_e32 v4, 20, v4
	s_andn2_saveexec_b64 s[22:23], s[22:23]
	s_cbranch_execnz .LBB24_1057
.LBB24_955:
	s_or_b64 exec, exec, s[22:23]
	v_mov_b32_e32 v5, 0
	s_and_saveexec_b64 s[22:23], s[4:5]
.LBB24_956:
	v_lshrrev_b32_e32 v2, 24, v2
	s_movk_i32 s4, 0x80
	v_and_or_b32 v5, v2, s4, v4
.LBB24_957:
	s_or_b64 exec, exec, s[22:23]
.LBB24_958:
	s_or_b64 exec, exec, s[2:3]
	global_store_byte v[0:1], v5, off
.LBB24_959:
	s_mov_b64 s[4:5], 0
.LBB24_960:
	s_mov_b64 s[2:3], 0
	s_and_b64 vcc, exec, s[4:5]
	s_cbranch_vccz .LBB24_1000
; %bb.961:
	s_cmp_gt_i32 s27, 22
	s_mov_b64 s[4:5], -1
	s_cbranch_scc0 .LBB24_993
; %bb.962:
	s_cmp_lt_i32 s27, 24
	s_cbranch_scc1 .LBB24_982
; %bb.963:
	s_cmp_gt_i32 s27, 24
	s_cbranch_scc0 .LBB24_971
; %bb.964:
	v_cvt_f32_f16_e32 v2, v3
	s_mov_b32 s4, 0x47800000
	v_mov_b32_e32 v5, 0x80
	v_and_b32_e32 v4, 0x7fffffff, v2
	v_cmp_gt_u32_e32 vcc, s4, v4
	s_and_saveexec_b64 s[4:5], vcc
	s_cbranch_execz .LBB24_970
; %bb.965:
	s_mov_b32 s22, 0x37ffffff
	v_cmp_lt_u32_e32 vcc, s22, v4
	s_mov_b64 s[22:23], 0
                                        ; implicit-def: $vgpr4
	s_and_saveexec_b64 s[24:25], vcc
	s_xor_b64 s[24:25], exec, s[24:25]
	s_cbranch_execz .LBB24_1185
; %bb.966:
	v_bfe_u32 v4, v2, 21, 1
	s_mov_b32 s28, 0x88fffff
	v_add3_u32 v4, v2, v4, s28
	s_mov_b64 s[22:23], exec
	v_lshrrev_b32_e32 v4, 21, v4
	s_andn2_saveexec_b64 s[24:25], s[24:25]
	s_cbranch_execnz .LBB24_1186
.LBB24_967:
	s_or_b64 exec, exec, s[24:25]
	v_mov_b32_e32 v5, 0
	s_and_saveexec_b64 s[24:25], s[22:23]
.LBB24_968:
	v_lshrrev_b32_e32 v2, 24, v2
	s_movk_i32 s22, 0x80
	v_and_or_b32 v5, v2, s22, v4
.LBB24_969:
	s_or_b64 exec, exec, s[24:25]
.LBB24_970:
	s_or_b64 exec, exec, s[4:5]
	s_mov_b64 s[4:5], 0
	global_store_byte v[0:1], v5, off
.LBB24_971:
	s_and_b64 vcc, exec, s[4:5]
	s_cbranch_vccz .LBB24_981
; %bb.972:
	v_cvt_f32_f16_e32 v2, v3
	s_mov_b32 s4, 0x43f00000
                                        ; implicit-def: $vgpr4
	v_and_b32_e32 v5, 0x7fffffff, v2
	v_cmp_gt_u32_e32 vcc, s4, v5
	s_and_saveexec_b64 s[4:5], vcc
	s_xor_b64 s[4:5], exec, s[4:5]
	s_cbranch_execz .LBB24_978
; %bb.973:
	s_mov_b32 s22, 0x3c7fffff
	v_cmp_lt_u32_e32 vcc, s22, v5
                                        ; implicit-def: $vgpr4
	s_and_saveexec_b64 s[22:23], vcc
	s_xor_b64 s[22:23], exec, s[22:23]
; %bb.974:
	v_bfe_u32 v4, v2, 20, 1
	s_mov_b32 s24, 0x407ffff
	v_add3_u32 v4, v2, v4, s24
	v_lshrrev_b32_e32 v5, 20, v4
	v_and_b32_e32 v4, 0xff00000, v4
	s_mov_b32 s24, 0x7f00000
	v_mov_b32_e32 v6, 0x7e
	v_cmp_ne_u32_e32 vcc, s24, v4
	v_cndmask_b32_e32 v4, v6, v5, vcc
; %bb.975:
	s_andn2_saveexec_b64 s[22:23], s[22:23]
; %bb.976:
	s_mov_b32 s24, 0x46800000
	v_add_f32_e64 v4, |v2|, s24
; %bb.977:
	s_or_b64 exec, exec, s[22:23]
                                        ; implicit-def: $vgpr5
.LBB24_978:
	s_andn2_saveexec_b64 s[4:5], s[4:5]
; %bb.979:
	s_mov_b32 s22, 0x7f800000
	v_mov_b32_e32 v4, 0x7e
	v_mov_b32_e32 v6, 0x7f
	v_cmp_lt_u32_e32 vcc, s22, v5
	v_cndmask_b32_e32 v4, v4, v6, vcc
; %bb.980:
	s_or_b64 exec, exec, s[4:5]
	v_lshrrev_b32_e32 v2, 24, v2
	s_movk_i32 s4, 0x80
	v_and_or_b32 v2, v2, s4, v4
	global_store_byte v[0:1], v2, off
.LBB24_981:
	s_mov_b64 s[4:5], 0
.LBB24_982:
	s_andn2_b64 vcc, exec, s[4:5]
	s_cbranch_vccnz .LBB24_992
; %bb.983:
	v_cvt_f32_f16_e32 v2, v3
	s_mov_b32 s4, 0x47800000
                                        ; implicit-def: $vgpr4
	v_and_b32_e32 v5, 0x7fffffff, v2
	v_cmp_gt_u32_e32 vcc, s4, v5
	s_and_saveexec_b64 s[4:5], vcc
	s_xor_b64 s[4:5], exec, s[4:5]
	s_cbranch_execz .LBB24_989
; %bb.984:
	s_mov_b32 s22, 0x387fffff
	v_cmp_lt_u32_e32 vcc, s22, v5
                                        ; implicit-def: $vgpr4
	s_and_saveexec_b64 s[22:23], vcc
	s_xor_b64 s[22:23], exec, s[22:23]
; %bb.985:
	v_bfe_u32 v4, v2, 21, 1
	s_mov_b32 s24, 0x80fffff
	v_add3_u32 v4, v2, v4, s24
	v_lshrrev_b32_e32 v4, 21, v4
; %bb.986:
	s_andn2_saveexec_b64 s[22:23], s[22:23]
; %bb.987:
	s_mov_b32 s24, 0x43000000
	v_add_f32_e64 v4, |v2|, s24
; %bb.988:
	s_or_b64 exec, exec, s[22:23]
                                        ; implicit-def: $vgpr5
.LBB24_989:
	s_andn2_saveexec_b64 s[4:5], s[4:5]
; %bb.990:
	s_mov_b32 s22, 0x7f800000
	v_mov_b32_e32 v4, 0x7c
	v_mov_b32_e32 v6, 0x7f
	v_cmp_lt_u32_e32 vcc, s22, v5
	v_cndmask_b32_e32 v4, v4, v6, vcc
; %bb.991:
	s_or_b64 exec, exec, s[4:5]
	v_lshrrev_b32_e32 v2, 24, v2
	s_movk_i32 s4, 0x80
	v_and_or_b32 v2, v2, s4, v4
	global_store_byte v[0:1], v2, off
.LBB24_992:
	s_mov_b64 s[4:5], 0
.LBB24_993:
	s_andn2_b64 vcc, exec, s[4:5]
	s_mov_b64 s[4:5], 0
	s_cbranch_vccnz .LBB24_1001
; %bb.994:
	s_cmp_gt_i32 s27, 14
	s_mov_b64 s[22:23], -1
	s_cbranch_scc0 .LBB24_998
; %bb.995:
	s_cmp_eq_u32 s27, 15
	s_mov_b64 s[0:1], -1
	s_cbranch_scc0 .LBB24_997
; %bb.996:
	v_cvt_f32_f16_e32 v2, v3
	s_movk_i32 s0, 0x7fff
	v_cmp_o_f16_e32 vcc, v3, v3
	v_mov_b32_e32 v4, 0x7fc0
	v_bfe_u32 v5, v2, 16, 1
	v_add3_u32 v2, v2, v5, s0
	v_cndmask_b32_sdwa v2, v4, v2, vcc dst_sel:DWORD dst_unused:UNUSED_PAD src0_sel:DWORD src1_sel:WORD_1
	global_store_short v[0:1], v2, off
	s_mov_b64 s[0:1], 0
.LBB24_997:
	s_mov_b64 s[22:23], 0
.LBB24_998:
	s_and_b64 vcc, exec, s[22:23]
	s_cbranch_vccz .LBB24_1001
; %bb.999:
	s_cmp_lg_u32 s27, 11
	s_cselect_b64 s[22:23], -1, 0
	s_andn2_b64 s[0:1], s[0:1], exec
	s_and_b64 s[22:23], s[22:23], exec
	s_mov_b64 s[4:5], -1
	s_or_b64 s[0:1], s[0:1], s[22:23]
	s_branch .LBB24_1001
.LBB24_1000:
	s_mov_b64 s[4:5], 0
.LBB24_1001:
	s_andn2_b64 s[16:17], s[16:17], exec
	s_and_b64 s[0:1], s[0:1], exec
	s_and_b64 s[2:3], s[2:3], exec
	;; [unrolled: 1-line block ×3, first 2 shown]
	s_or_b64 s[16:17], s[16:17], s[0:1]
	s_or_b64 exec, exec, s[18:19]
	s_and_saveexec_b64 s[0:1], s[16:17]
	s_cbranch_execz .LBB24_940
.LBB24_1002:
	s_or_b64 s[20:21], s[20:21], exec
	s_andn2_b64 s[4:5], s[4:5], exec
	s_trap 2
	s_or_b64 exec, exec, s[0:1]
	s_and_saveexec_b64 s[0:1], s[4:5]
	s_xor_b64 s[0:1], exec, s[0:1]
	s_cbranch_execnz .LBB24_941
.LBB24_1003:
	s_or_b64 exec, exec, s[0:1]
	s_and_saveexec_b64 s[0:1], s[2:3]
	s_xor_b64 s[0:1], exec, s[0:1]
	s_cbranch_execz .LBB24_1041
.LBB24_1004:
	s_sext_i32_i16 s4, s26
	s_cmp_lt_i32 s4, 5
	s_mov_b64 s[2:3], -1
	s_cbranch_scc1 .LBB24_1025
; %bb.1005:
	s_cmp_lt_i32 s4, 8
	s_cbranch_scc1 .LBB24_1015
; %bb.1006:
	s_cmp_lt_i32 s4, 9
	s_cbranch_scc1 .LBB24_1012
; %bb.1007:
	s_cmp_gt_i32 s4, 9
	s_cbranch_scc0 .LBB24_1009
; %bb.1008:
	s_waitcnt vmcnt(0)
	v_cvt_f32_f16_e32 v2, v3
	v_mov_b32_e32 v6, 0
	v_mov_b32_e32 v7, v6
	s_mov_b64 s[2:3], 0
	v_cvt_f64_f32_e32 v[4:5], v2
	global_store_dwordx4 v[0:1], v[4:7], off
.LBB24_1009:
	s_andn2_b64 vcc, exec, s[2:3]
	s_cbranch_vccnz .LBB24_1011
; %bb.1010:
	s_waitcnt vmcnt(0)
	v_cvt_f32_f16_e32 v4, v3
	v_mov_b32_e32 v5, 0
	global_store_dwordx2 v[0:1], v[4:5], off
.LBB24_1011:
	s_mov_b64 s[2:3], 0
.LBB24_1012:
	s_andn2_b64 vcc, exec, s[2:3]
	s_cbranch_vccnz .LBB24_1014
; %bb.1013:
	s_waitcnt vmcnt(0)
	v_and_b32_e32 v2, 0xffff, v3
	global_store_dword v[0:1], v2, off
.LBB24_1014:
	s_mov_b64 s[2:3], 0
.LBB24_1015:
	s_andn2_b64 vcc, exec, s[2:3]
	s_cbranch_vccnz .LBB24_1024
; %bb.1016:
	s_sext_i32_i16 s4, s26
	s_cmp_lt_i32 s4, 6
	s_mov_b64 s[2:3], -1
	s_cbranch_scc1 .LBB24_1022
; %bb.1017:
	s_cmp_gt_i32 s4, 6
	s_cbranch_scc0 .LBB24_1019
; %bb.1018:
	s_waitcnt vmcnt(0)
	v_cvt_f32_f16_e32 v2, v3
	s_mov_b64 s[2:3], 0
	v_cvt_f64_f32_e32 v[4:5], v2
	global_store_dwordx2 v[0:1], v[4:5], off
.LBB24_1019:
	s_andn2_b64 vcc, exec, s[2:3]
	s_cbranch_vccnz .LBB24_1021
; %bb.1020:
	s_waitcnt vmcnt(0)
	v_cvt_f32_f16_e32 v2, v3
	global_store_dword v[0:1], v2, off
.LBB24_1021:
	s_mov_b64 s[2:3], 0
.LBB24_1022:
	s_andn2_b64 vcc, exec, s[2:3]
	s_cbranch_vccnz .LBB24_1024
; %bb.1023:
	s_waitcnt vmcnt(0)
	global_store_short v[0:1], v3, off
.LBB24_1024:
	s_mov_b64 s[2:3], 0
.LBB24_1025:
	s_andn2_b64 vcc, exec, s[2:3]
	s_cbranch_vccnz .LBB24_1041
; %bb.1026:
	s_sext_i32_i16 s4, s26
	s_cmp_lt_i32 s4, 2
	s_mov_b64 s[2:3], -1
	s_cbranch_scc1 .LBB24_1036
; %bb.1027:
	s_cmp_lt_i32 s4, 3
	s_cbranch_scc1 .LBB24_1033
; %bb.1028:
	s_cmp_gt_i32 s4, 3
	s_cbranch_scc0 .LBB24_1030
; %bb.1029:
	s_waitcnt vmcnt(0)
	v_cvt_f32_f16_e32 v2, v3
	s_mov_b64 s[2:3], 0
	v_cvt_i32_f32_e32 v4, v2
	v_ashrrev_i32_e32 v5, 31, v4
	global_store_dwordx2 v[0:1], v[4:5], off
.LBB24_1030:
	s_andn2_b64 vcc, exec, s[2:3]
	s_cbranch_vccnz .LBB24_1032
; %bb.1031:
	s_waitcnt vmcnt(0)
	v_cvt_f32_f16_e32 v2, v3
	v_cvt_i32_f32_e32 v2, v2
	global_store_dword v[0:1], v2, off
.LBB24_1032:
	s_mov_b64 s[2:3], 0
.LBB24_1033:
	s_andn2_b64 vcc, exec, s[2:3]
	s_cbranch_vccnz .LBB24_1035
; %bb.1034:
	s_waitcnt vmcnt(0)
	v_cvt_i16_f16_e32 v2, v3
	global_store_short v[0:1], v2, off
.LBB24_1035:
	s_mov_b64 s[2:3], 0
.LBB24_1036:
	s_andn2_b64 vcc, exec, s[2:3]
	s_cbranch_vccnz .LBB24_1041
; %bb.1037:
	s_sext_i32_i16 s2, s26
	s_cmp_gt_i32 s2, 0
	s_mov_b64 s[2:3], -1
	s_cbranch_scc0 .LBB24_1039
; %bb.1038:
	s_waitcnt vmcnt(0)
	v_cvt_i16_f16_e32 v2, v3
	s_mov_b64 s[2:3], 0
	global_store_byte v[0:1], v2, off
.LBB24_1039:
	s_andn2_b64 vcc, exec, s[2:3]
	s_cbranch_vccnz .LBB24_1041
; %bb.1040:
	s_waitcnt vmcnt(0)
	v_cvt_f32_f16_e32 v2, v3
	v_cvt_i32_f32_e32 v2, v2
	global_store_byte v[0:1], v2, off
.LBB24_1041:
	s_or_b64 exec, exec, s[0:1]
	s_and_b64 s[16:17], s[20:21], exec
                                        ; implicit-def: $vgpr2
.LBB24_1042:
	s_or_saveexec_b64 s[6:7], s[6:7]
	s_mov_b64 s[0:1], 0
                                        ; implicit-def: $sgpr20
                                        ; implicit-def: $vgpr0_vgpr1
                                        ; implicit-def: $vgpr3
	s_xor_b64 exec, exec, s[6:7]
	s_cbranch_execz .LBB24_2006
; %bb.1043:
	v_mul_lo_u32 v7, s13, v2
	v_mov_b32_e32 v1, s11
	s_and_b32 s22, 0xffff, s42
	s_cmp_lt_i32 s22, 11
	s_waitcnt vmcnt(0)
	v_ashrrev_i32_e32 v3, 31, v7
	v_add_co_u32_e32 v0, vcc, s10, v7
	v_addc_co_u32_e32 v1, vcc, v1, v3, vcc
	s_cbranch_scc1 .LBB24_1050
; %bb.1044:
	s_cmp_gt_i32 s22, 25
	s_mov_b64 s[2:3], 0
	s_cbranch_scc0 .LBB24_1052
; %bb.1045:
	s_cmp_gt_i32 s22, 28
	s_cbranch_scc0 .LBB24_1053
; %bb.1046:
	s_cmp_gt_i32 s22, 43
	;; [unrolled: 3-line block ×3, first 2 shown]
	s_cbranch_scc0 .LBB24_1055
; %bb.1048:
	s_cmp_eq_u32 s22, 46
	s_cbranch_scc0 .LBB24_1058
; %bb.1049:
	global_load_dword v3, v[0:1], off
	s_mov_b64 s[4:5], -1
	s_waitcnt vmcnt(0)
	v_lshlrev_b32_e32 v3, 16, v3
	v_cvt_f16_f32_e32 v3, v3
	s_branch .LBB24_1059
.LBB24_1050:
	s_mov_b64 s[4:5], 0
                                        ; implicit-def: $vgpr3
	s_mov_b64 s[18:19], s[16:17]
	s_cbranch_execnz .LBB24_1122
.LBB24_1051:
	s_andn2_b64 vcc, exec, s[4:5]
	s_cbranch_vccz .LBB24_1167
	s_branch .LBB24_2004
.LBB24_1052:
	s_mov_b64 s[4:5], 0
                                        ; implicit-def: $vgpr3
	s_cbranch_execnz .LBB24_1087
	s_branch .LBB24_1118
.LBB24_1053:
	s_mov_b64 s[14:15], -1
	s_mov_b64 s[4:5], 0
                                        ; implicit-def: $vgpr3
	s_branch .LBB24_1068
.LBB24_1054:
	s_mov_b64 s[4:5], 0
                                        ; implicit-def: $vgpr3
	s_cbranch_execnz .LBB24_1064
	s_branch .LBB24_1067
.LBB24_1055:
	s_mov_b64 s[14:15], -1
	s_mov_b64 s[4:5], 0
                                        ; implicit-def: $vgpr3
	s_branch .LBB24_1059
.LBB24_1056:
	s_andn2_saveexec_b64 s[22:23], s[22:23]
	s_cbranch_execz .LBB24_955
.LBB24_1057:
	s_mov_b32 s24, 0x46000000
	v_add_f32_e64 v4, |v2|, s24
	v_and_b32_e32 v4, 0xff, v4
	v_cmp_ne_u32_e32 vcc, 0, v4
	s_andn2_b64 s[4:5], s[4:5], exec
	s_and_b64 s[24:25], vcc, exec
	s_or_b64 s[4:5], s[4:5], s[24:25]
	s_or_b64 exec, exec, s[22:23]
	v_mov_b32_e32 v5, 0
	s_and_saveexec_b64 s[22:23], s[4:5]
	s_cbranch_execnz .LBB24_956
	s_branch .LBB24_957
.LBB24_1058:
	s_mov_b64 s[0:1], -1
                                        ; implicit-def: $vgpr3
	s_mov_b64 s[4:5], 0
.LBB24_1059:
	s_and_b64 vcc, exec, s[14:15]
	s_cbranch_vccz .LBB24_1062
; %bb.1060:
	s_cmp_eq_u32 s22, 44
	s_cbranch_scc0 .LBB24_1063
; %bb.1061:
	global_load_ubyte v3, v[0:1], off
	s_movk_i32 s4, 0xff
	v_mov_b32_e32 v5, 0x7e00
	s_mov_b64 s[0:1], 0
	s_waitcnt vmcnt(0)
	v_lshlrev_b32_e32 v4, 23, v3
	v_cvt_f16_f32_e32 v4, v4
	v_cmp_ne_u32_e32 vcc, s4, v3
	s_mov_b64 s[4:5], -1
	v_cndmask_b32_e32 v4, v5, v4, vcc
	v_cmp_ne_u32_e32 vcc, 0, v3
	v_cndmask_b32_e32 v3, 0, v4, vcc
.LBB24_1062:
	s_branch .LBB24_1067
.LBB24_1063:
	s_mov_b64 s[0:1], -1
                                        ; implicit-def: $vgpr3
	s_branch .LBB24_1067
.LBB24_1064:
	s_cmp_eq_u32 s22, 29
	s_cbranch_scc0 .LBB24_1066
; %bb.1065:
	global_load_dwordx2 v[3:4], v[0:1], off
	s_mov_b64 s[0:1], 0
	s_mov_b64 s[4:5], -1
	s_mov_b64 s[14:15], 0
	s_waitcnt vmcnt(0)
	v_ffbh_u32_e32 v5, v4
	v_min_u32_e32 v5, 32, v5
	v_lshlrev_b64 v[3:4], v5, v[3:4]
	v_min_u32_e32 v3, 1, v3
	v_or_b32_e32 v3, v4, v3
	v_cvt_f32_u32_e32 v3, v3
	v_sub_u32_e32 v4, 32, v5
	v_ldexp_f32 v3, v3, v4
	v_cvt_f16_f32_e32 v3, v3
	s_branch .LBB24_1068
.LBB24_1066:
	s_mov_b64 s[0:1], -1
                                        ; implicit-def: $vgpr3
.LBB24_1067:
	s_mov_b64 s[14:15], 0
.LBB24_1068:
	s_and_b64 vcc, exec, s[14:15]
	s_cbranch_vccz .LBB24_1086
; %bb.1069:
	s_cmp_lt_i32 s22, 27
	s_cbranch_scc1 .LBB24_1072
; %bb.1070:
	s_cmp_gt_i32 s22, 27
	s_cbranch_scc0 .LBB24_1073
; %bb.1071:
	global_load_dword v3, v[0:1], off
	s_mov_b64 s[4:5], 0
	s_waitcnt vmcnt(0)
	v_cvt_f32_u32_e32 v3, v3
	v_cvt_f16_f32_e32 v3, v3
	s_branch .LBB24_1074
.LBB24_1072:
	s_mov_b64 s[4:5], -1
                                        ; implicit-def: $vgpr3
	s_branch .LBB24_1077
.LBB24_1073:
	s_mov_b64 s[4:5], -1
                                        ; implicit-def: $vgpr3
.LBB24_1074:
	s_andn2_b64 vcc, exec, s[4:5]
	s_cbranch_vccnz .LBB24_1076
; %bb.1075:
	global_load_ushort v3, v[0:1], off
	s_waitcnt vmcnt(0)
	v_cvt_f16_u16_e32 v3, v3
.LBB24_1076:
	s_mov_b64 s[4:5], 0
.LBB24_1077:
	s_andn2_b64 vcc, exec, s[4:5]
	s_cbranch_vccnz .LBB24_1085
; %bb.1078:
	global_load_ubyte v4, v[0:1], off
	s_movk_i32 s4, 0x7f
	s_waitcnt vmcnt(0)
	v_cmp_lt_i16_e32 vcc, s4, v4
	s_mov_b64 s[4:5], 0
	s_and_saveexec_b64 s[14:15], vcc
	s_xor_b64 s[14:15], exec, s[14:15]
	s_cbranch_execz .LBB24_1098
; %bb.1079:
	s_movk_i32 s4, 0x80
	v_cmp_eq_u16_e32 vcc, s4, v4
	s_mov_b64 s[4:5], -1
	s_and_saveexec_b64 s[18:19], vcc
; %bb.1080:
	s_xor_b64 s[4:5], exec, -1
; %bb.1081:
	s_or_b64 exec, exec, s[18:19]
	s_and_b64 s[4:5], s[4:5], exec
	s_or_saveexec_b64 s[14:15], s[14:15]
	v_mov_b32_e32 v3, 0x7e00
	s_xor_b64 exec, exec, s[14:15]
	s_cbranch_execnz .LBB24_1099
.LBB24_1082:
	s_or_b64 exec, exec, s[14:15]
	s_and_saveexec_b64 s[14:15], s[4:5]
	s_cbranch_execz .LBB24_1084
.LBB24_1083:
	v_lshlrev_b32_e32 v3, 24, v4
	v_and_b32_e32 v4, 0xffff, v4
	v_and_b32_e32 v5, 7, v4
	v_ffbh_u32_e32 v8, v5
	v_min_u32_e32 v8, 32, v8
	v_subrev_u32_e32 v9, 28, v8
	v_bfe_u32 v6, v4, 3, 4
	v_lshlrev_b32_e32 v4, v9, v4
	v_sub_u32_e32 v8, 29, v8
	v_and_b32_e32 v4, 7, v4
	v_cmp_eq_u32_e32 vcc, 0, v6
	v_cndmask_b32_e32 v6, v6, v8, vcc
	v_cndmask_b32_e32 v4, v5, v4, vcc
	v_mov_b32_e32 v5, 0x3b800000
	v_lshlrev_b32_e32 v4, 20, v4
	v_and_b32_e32 v3, 0x80000000, v3
	v_lshl_add_u32 v5, v6, 23, v5
	v_or3_b32 v3, v3, v5, v4
	v_cvt_f16_f32_e32 v3, v3
.LBB24_1084:
	s_or_b64 exec, exec, s[14:15]
.LBB24_1085:
	s_mov_b64 s[4:5], -1
.LBB24_1086:
	s_branch .LBB24_1118
.LBB24_1087:
	s_cmp_gt_i32 s22, 22
	s_cbranch_scc0 .LBB24_1097
; %bb.1088:
	s_cmp_lt_i32 s22, 24
	s_cbranch_scc1 .LBB24_1100
; %bb.1089:
	s_cmp_gt_i32 s22, 24
	s_cbranch_scc0 .LBB24_1101
; %bb.1090:
	global_load_ubyte v4, v[0:1], off
	s_movk_i32 s2, 0x7f
	s_waitcnt vmcnt(0)
	v_cmp_lt_i16_e32 vcc, s2, v4
	s_mov_b64 s[2:3], 0
	s_and_saveexec_b64 s[4:5], vcc
	s_xor_b64 s[4:5], exec, s[4:5]
	s_cbranch_execz .LBB24_1112
; %bb.1091:
	s_movk_i32 s2, 0x80
	v_cmp_eq_u16_e32 vcc, s2, v4
	s_mov_b64 s[2:3], -1
	s_and_saveexec_b64 s[14:15], vcc
; %bb.1092:
	s_xor_b64 s[2:3], exec, -1
; %bb.1093:
	s_or_b64 exec, exec, s[14:15]
	s_and_b64 s[2:3], s[2:3], exec
	s_or_saveexec_b64 s[4:5], s[4:5]
	v_mov_b32_e32 v3, 0x7e00
	s_xor_b64 exec, exec, s[4:5]
	s_cbranch_execnz .LBB24_1113
.LBB24_1094:
	s_or_b64 exec, exec, s[4:5]
	s_and_saveexec_b64 s[4:5], s[2:3]
	s_cbranch_execz .LBB24_1096
.LBB24_1095:
	v_lshlrev_b32_e32 v3, 24, v4
	v_and_b32_e32 v4, 0xffff, v4
	v_and_b32_e32 v5, 3, v4
	v_ffbh_u32_e32 v8, v5
	v_min_u32_e32 v8, 32, v8
	v_subrev_u32_e32 v9, 29, v8
	v_bfe_u32 v6, v4, 2, 5
	v_lshlrev_b32_e32 v4, v9, v4
	v_sub_u32_e32 v8, 30, v8
	v_and_b32_e32 v4, 3, v4
	v_cmp_eq_u32_e32 vcc, 0, v6
	v_cndmask_b32_e32 v6, v6, v8, vcc
	v_cndmask_b32_e32 v4, v5, v4, vcc
	v_mov_b32_e32 v5, 0x37800000
	v_lshlrev_b32_e32 v4, 21, v4
	v_and_b32_e32 v3, 0x80000000, v3
	v_lshl_add_u32 v5, v6, 23, v5
	v_or3_b32 v3, v3, v5, v4
	v_cvt_f16_f32_e32 v3, v3
.LBB24_1096:
	s_or_b64 exec, exec, s[4:5]
	s_mov_b64 s[2:3], 0
	s_branch .LBB24_1102
.LBB24_1097:
                                        ; implicit-def: $vgpr3
	s_mov_b64 s[2:3], 0
	s_branch .LBB24_1108
.LBB24_1098:
	s_or_saveexec_b64 s[14:15], s[14:15]
	v_mov_b32_e32 v3, 0x7e00
	s_xor_b64 exec, exec, s[14:15]
	s_cbranch_execz .LBB24_1082
.LBB24_1099:
	v_cmp_ne_u16_e32 vcc, 0, v4
	s_andn2_b64 s[4:5], s[4:5], exec
	s_and_b64 s[18:19], vcc, exec
	s_or_b64 s[4:5], s[4:5], s[18:19]
	v_mov_b32_e32 v3, v4
	s_or_b64 exec, exec, s[14:15]
	s_and_saveexec_b64 s[14:15], s[4:5]
	s_cbranch_execnz .LBB24_1083
	s_branch .LBB24_1084
.LBB24_1100:
	s_mov_b64 s[2:3], -1
                                        ; implicit-def: $vgpr3
	s_branch .LBB24_1105
.LBB24_1101:
	s_mov_b64 s[2:3], -1
                                        ; implicit-def: $vgpr3
.LBB24_1102:
	s_and_b64 vcc, exec, s[2:3]
	s_cbranch_vccz .LBB24_1104
; %bb.1103:
	global_load_ubyte v3, v[0:1], off
	s_mov_b32 s2, 0x7f800000
	s_waitcnt vmcnt(0)
	v_lshlrev_b32_e32 v3, 24, v3
	v_and_b32_e32 v4, 0x7f000000, v3
	v_ffbh_u32_e32 v5, v4
	v_min_u32_e32 v5, 32, v5
	v_sub_u32_e64 v5, v5, 4 clamp
	v_lshlrev_b32_e32 v8, v5, v4
	v_lshlrev_b32_e32 v5, 23, v5
	v_lshrrev_b32_e32 v8, 4, v8
	v_add_u32_e32 v6, 0x1000000, v4
	v_sub_u32_e32 v5, v8, v5
	v_ashrrev_i32_e32 v6, 8, v6
	v_add_u32_e32 v5, 0x3c000000, v5
	v_and_or_b32 v5, v6, s2, v5
	v_cmp_ne_u32_e32 vcc, 0, v4
	v_cndmask_b32_e32 v4, 0, v5, vcc
	s_brev_b32 s2, 1
	v_and_or_b32 v3, v3, s2, v4
	v_cvt_f16_f32_e32 v3, v3
.LBB24_1104:
	s_mov_b64 s[2:3], 0
.LBB24_1105:
	s_andn2_b64 vcc, exec, s[2:3]
	s_cbranch_vccnz .LBB24_1107
; %bb.1106:
	global_load_ubyte v3, v[0:1], off
	s_movk_i32 s2, 0x7f00
	s_brev_b32 s3, 16
	s_waitcnt vmcnt(0)
	v_lshlrev_b16_e32 v4, 8, v3
	v_lshlrev_b32_e32 v3, 25, v3
	v_lshrrev_b32_e32 v5, 4, v3
	v_and_or_b32 v6, v4, s2, 0.5
	v_or_b32_e32 v5, 0x70000000, v5
	v_add_f32_e32 v6, -0.5, v6
	v_mul_f32_e32 v5, 0x7800000, v5
	v_cmp_gt_u32_e32 vcc, s3, v3
	v_bfe_i32 v4, v4, 0, 16
	v_cndmask_b32_e32 v3, v5, v6, vcc
	s_brev_b32 s2, 1
	v_and_or_b32 v3, v4, s2, v3
	v_cvt_f16_f32_e32 v3, v3
.LBB24_1107:
	s_mov_b64 s[4:5], -1
	s_mov_b64 s[2:3], 0
	s_cbranch_execnz .LBB24_1118
.LBB24_1108:
	s_cmp_gt_i32 s22, 14
	s_cbranch_scc0 .LBB24_1111
; %bb.1109:
	s_cmp_eq_u32 s22, 15
	s_cbranch_scc0 .LBB24_1114
; %bb.1110:
	global_load_ushort v3, v[0:1], off
	s_mov_b64 s[0:1], 0
	s_mov_b64 s[4:5], -1
	s_waitcnt vmcnt(0)
	v_lshlrev_b32_e32 v3, 16, v3
	v_cvt_f16_f32_e32 v3, v3
	s_branch .LBB24_1115
.LBB24_1111:
	s_mov_b64 s[14:15], -1
                                        ; implicit-def: $vgpr3
	s_branch .LBB24_1116
.LBB24_1112:
	s_or_saveexec_b64 s[4:5], s[4:5]
	v_mov_b32_e32 v3, 0x7e00
	s_xor_b64 exec, exec, s[4:5]
	s_cbranch_execz .LBB24_1094
.LBB24_1113:
	v_cmp_ne_u16_e32 vcc, 0, v4
	s_andn2_b64 s[2:3], s[2:3], exec
	s_and_b64 s[14:15], vcc, exec
	s_or_b64 s[2:3], s[2:3], s[14:15]
	v_mov_b32_e32 v3, v4
	s_or_b64 exec, exec, s[4:5]
	s_and_saveexec_b64 s[4:5], s[2:3]
	s_cbranch_execnz .LBB24_1095
	s_branch .LBB24_1096
.LBB24_1114:
	s_mov_b64 s[0:1], -1
                                        ; implicit-def: $vgpr3
.LBB24_1115:
	s_mov_b64 s[14:15], 0
.LBB24_1116:
	s_and_b64 vcc, exec, s[14:15]
	s_cbranch_vccz .LBB24_1118
; %bb.1117:
	s_cmp_lg_u32 s22, 11
	s_mov_b64 s[2:3], -1
	s_cselect_b64 s[0:1], -1, 0
.LBB24_1118:
	s_and_b64 vcc, exec, s[0:1]
	s_mov_b64 s[18:19], s[16:17]
	s_cbranch_vccnz .LBB24_1183
; %bb.1119:
	s_andn2_b64 vcc, exec, s[2:3]
	s_cbranch_vccnz .LBB24_1121
.LBB24_1120:
	global_load_ubyte v3, v[0:1], off
	v_mov_b32_e32 v4, 0x3c00
	s_mov_b64 s[4:5], -1
	s_waitcnt vmcnt(0)
	v_cmp_ne_u16_e32 vcc, 0, v3
	v_cndmask_b32_e32 v3, 0, v4, vcc
.LBB24_1121:
	s_branch .LBB24_1051
.LBB24_1122:
	s_cmp_lt_i32 s22, 5
	s_cbranch_scc1 .LBB24_1127
; %bb.1123:
	s_cmp_lt_i32 s22, 8
	s_cbranch_scc1 .LBB24_1128
; %bb.1124:
	s_cmp_lt_i32 s22, 9
	s_cbranch_scc1 .LBB24_1129
; %bb.1125:
	s_cmp_gt_i32 s22, 9
	s_cbranch_scc0 .LBB24_1130
; %bb.1126:
	global_load_dwordx2 v[3:4], v[0:1], off
	s_movk_i32 s0, 0x1ff
	s_movk_i32 s1, 0xffe
	v_mov_b32_e32 v5, 0x7c00
	v_mov_b32_e32 v6, 0x7e00
	s_movk_i32 s2, 0x40f
	s_mov_b32 s3, 0x8000
	s_waitcnt vmcnt(0)
	v_and_or_b32 v3, v4, s0, v3
	v_cmp_ne_u32_e32 vcc, 0, v3
	v_lshrrev_b32_e32 v8, 8, v4
	v_bfe_u32 v9, v4, 20, 11
	v_cndmask_b32_e64 v3, 0, 1, vcc
	v_sub_u32_e32 v10, 0x3f1, v9
	v_and_or_b32 v3, v8, s1, v3
	v_add_u32_e32 v9, 0xfffffc10, v9
	v_med3_i32 v8, v10, 0, 13
	v_or_b32_e32 v10, 0x1000, v3
	v_cmp_ne_u32_e32 vcc, 0, v3
	v_lshl_or_b32 v11, v9, 12, v3
	v_cndmask_b32_e32 v3, v5, v6, vcc
	v_lshrrev_b32_e32 v6, v8, v10
	v_lshlrev_b32_e32 v8, v8, v6
	v_cmp_ne_u32_e32 vcc, v8, v10
	v_cndmask_b32_e64 v8, 0, 1, vcc
	v_or_b32_e32 v6, v6, v8
	v_cmp_gt_i32_e32 vcc, 1, v9
	v_cndmask_b32_e32 v6, v11, v6, vcc
	v_and_b32_e32 v8, 7, v6
	v_cmp_lt_i32_e32 vcc, 5, v8
	v_cndmask_b32_e64 v10, 0, 1, vcc
	v_cmp_eq_u32_e32 vcc, 3, v8
	v_cndmask_b32_e64 v8, 0, 1, vcc
	v_lshrrev_b32_e32 v6, 2, v6
	v_or_b32_e32 v8, v8, v10
	v_add_u32_e32 v6, v6, v8
	v_cmp_gt_i32_e32 vcc, 31, v9
	v_cndmask_b32_e32 v5, v5, v6, vcc
	v_cmp_eq_u32_e32 vcc, s2, v9
	v_lshrrev_b32_e32 v4, 16, v4
	v_cndmask_b32_e32 v3, v5, v3, vcc
	v_and_or_b32 v3, v4, s3, v3
	s_mov_b64 s[0:1], 0
	s_branch .LBB24_1131
.LBB24_1127:
                                        ; implicit-def: $vgpr3
	s_branch .LBB24_1148
.LBB24_1128:
                                        ; implicit-def: $vgpr3
	s_branch .LBB24_1137
.LBB24_1129:
	s_mov_b64 s[0:1], -1
                                        ; implicit-def: $vgpr3
	s_branch .LBB24_1134
.LBB24_1130:
	s_mov_b64 s[0:1], -1
                                        ; implicit-def: $vgpr3
.LBB24_1131:
	s_andn2_b64 vcc, exec, s[0:1]
	s_cbranch_vccnz .LBB24_1133
; %bb.1132:
	global_load_dword v3, v[0:1], off
	s_waitcnt vmcnt(0)
	v_cvt_f16_f32_e32 v3, v3
.LBB24_1133:
	s_mov_b64 s[0:1], 0
.LBB24_1134:
	s_andn2_b64 vcc, exec, s[0:1]
	s_cbranch_vccnz .LBB24_1136
; %bb.1135:
	global_load_dword v3, v[0:1], off
.LBB24_1136:
	s_cbranch_execnz .LBB24_1147
.LBB24_1137:
	s_cmp_lt_i32 s22, 6
	s_cbranch_scc1 .LBB24_1140
; %bb.1138:
	s_cmp_gt_i32 s22, 6
	s_cbranch_scc0 .LBB24_1141
; %bb.1139:
	global_load_dwordx2 v[3:4], v[0:1], off
	s_movk_i32 s0, 0x1ff
	s_movk_i32 s1, 0xffe
	v_mov_b32_e32 v5, 0x7c00
	v_mov_b32_e32 v6, 0x7e00
	s_movk_i32 s2, 0x40f
	s_mov_b32 s3, 0x8000
	s_waitcnt vmcnt(0)
	v_and_or_b32 v3, v4, s0, v3
	v_cmp_ne_u32_e32 vcc, 0, v3
	v_lshrrev_b32_e32 v8, 8, v4
	v_bfe_u32 v9, v4, 20, 11
	v_cndmask_b32_e64 v3, 0, 1, vcc
	v_sub_u32_e32 v10, 0x3f1, v9
	v_and_or_b32 v3, v8, s1, v3
	v_add_u32_e32 v9, 0xfffffc10, v9
	v_med3_i32 v8, v10, 0, 13
	v_or_b32_e32 v10, 0x1000, v3
	v_cmp_ne_u32_e32 vcc, 0, v3
	v_lshl_or_b32 v11, v9, 12, v3
	v_cndmask_b32_e32 v3, v5, v6, vcc
	v_lshrrev_b32_e32 v6, v8, v10
	v_lshlrev_b32_e32 v8, v8, v6
	v_cmp_ne_u32_e32 vcc, v8, v10
	v_cndmask_b32_e64 v8, 0, 1, vcc
	v_or_b32_e32 v6, v6, v8
	v_cmp_gt_i32_e32 vcc, 1, v9
	v_cndmask_b32_e32 v6, v11, v6, vcc
	v_and_b32_e32 v8, 7, v6
	v_cmp_lt_i32_e32 vcc, 5, v8
	v_cndmask_b32_e64 v10, 0, 1, vcc
	v_cmp_eq_u32_e32 vcc, 3, v8
	v_cndmask_b32_e64 v8, 0, 1, vcc
	v_lshrrev_b32_e32 v6, 2, v6
	v_or_b32_e32 v8, v8, v10
	v_add_u32_e32 v6, v6, v8
	v_cmp_gt_i32_e32 vcc, 31, v9
	v_cndmask_b32_e32 v5, v5, v6, vcc
	v_cmp_eq_u32_e32 vcc, s2, v9
	v_lshrrev_b32_e32 v4, 16, v4
	v_cndmask_b32_e32 v3, v5, v3, vcc
	v_and_or_b32 v3, v4, s3, v3
	s_mov_b64 s[0:1], 0
	s_branch .LBB24_1142
.LBB24_1140:
	s_mov_b64 s[0:1], -1
                                        ; implicit-def: $vgpr3
	s_branch .LBB24_1145
.LBB24_1141:
	s_mov_b64 s[0:1], -1
                                        ; implicit-def: $vgpr3
.LBB24_1142:
	s_andn2_b64 vcc, exec, s[0:1]
	s_cbranch_vccnz .LBB24_1144
; %bb.1143:
	global_load_dword v3, v[0:1], off
	s_waitcnt vmcnt(0)
	v_cvt_f16_f32_e32 v3, v3
.LBB24_1144:
	s_mov_b64 s[0:1], 0
.LBB24_1145:
	s_andn2_b64 vcc, exec, s[0:1]
	s_cbranch_vccnz .LBB24_1147
; %bb.1146:
	global_load_ushort v3, v[0:1], off
.LBB24_1147:
	s_cbranch_execnz .LBB24_1166
.LBB24_1148:
	s_cmp_lt_i32 s22, 2
	s_cbranch_scc1 .LBB24_1152
; %bb.1149:
	s_cmp_lt_i32 s22, 3
	s_cbranch_scc1 .LBB24_1153
; %bb.1150:
	s_cmp_gt_i32 s22, 3
	s_cbranch_scc0 .LBB24_1154
; %bb.1151:
	global_load_dwordx2 v[3:4], v[0:1], off
	s_mov_b64 s[0:1], 0
	s_waitcnt vmcnt(0)
	v_xor_b32_e32 v6, v3, v4
	v_ffbh_i32_e32 v5, v4
	v_ashrrev_i32_e32 v6, 31, v6
	v_add_u32_e32 v5, -1, v5
	v_add_u32_e32 v6, 32, v6
	v_min_u32_e32 v5, v5, v6
	v_lshlrev_b64 v[3:4], v5, v[3:4]
	v_min_u32_e32 v3, 1, v3
	v_or_b32_e32 v3, v4, v3
	v_cvt_f32_i32_e32 v3, v3
	v_sub_u32_e32 v4, 32, v5
	v_ldexp_f32 v3, v3, v4
	v_cvt_f16_f32_e32 v3, v3
	s_branch .LBB24_1155
.LBB24_1152:
                                        ; implicit-def: $vgpr3
	s_branch .LBB24_1161
.LBB24_1153:
	s_mov_b64 s[0:1], -1
                                        ; implicit-def: $vgpr3
	s_branch .LBB24_1158
.LBB24_1154:
	s_mov_b64 s[0:1], -1
                                        ; implicit-def: $vgpr3
.LBB24_1155:
	s_andn2_b64 vcc, exec, s[0:1]
	s_cbranch_vccnz .LBB24_1157
; %bb.1156:
	global_load_dword v3, v[0:1], off
	s_waitcnt vmcnt(0)
	v_cvt_f32_i32_e32 v3, v3
	v_cvt_f16_f32_e32 v3, v3
.LBB24_1157:
	s_mov_b64 s[0:1], 0
.LBB24_1158:
	s_andn2_b64 vcc, exec, s[0:1]
	s_cbranch_vccnz .LBB24_1160
; %bb.1159:
	global_load_ushort v3, v[0:1], off
	s_waitcnt vmcnt(0)
	v_cvt_f16_i16_e32 v3, v3
.LBB24_1160:
	s_cbranch_execnz .LBB24_1166
.LBB24_1161:
	s_cmp_gt_i32 s22, 0
	s_cbranch_scc0 .LBB24_1163
; %bb.1162:
	global_load_sbyte v3, v[0:1], off
	s_mov_b64 s[0:1], 0
	s_waitcnt vmcnt(0)
	v_cvt_f16_i16_e32 v3, v3
	s_branch .LBB24_1164
.LBB24_1163:
	s_mov_b64 s[0:1], -1
                                        ; implicit-def: $vgpr3
.LBB24_1164:
	s_andn2_b64 vcc, exec, s[0:1]
	s_cbranch_vccnz .LBB24_1166
; %bb.1165:
	global_load_ubyte v0, v[0:1], off
	s_waitcnt vmcnt(0)
	v_cvt_f16_u16_e32 v3, v0
.LBB24_1166:
.LBB24_1167:
	s_waitcnt vmcnt(0)
	v_cvt_f32_f16_e32 v3, v3
	s_brev_b32 s0, 18
                                        ; implicit-def: $vgpr5
                                        ; implicit-def: $vgpr6
	v_and_b32_e32 v4, 0x7fffffff, v3
	v_cmp_nlt_f32_e64 s[0:1], |v3|, s0
	s_and_saveexec_b64 s[2:3], s[0:1]
	s_xor_b64 s[14:15], exec, s[2:3]
	s_cbranch_execz .LBB24_1169
; %bb.1168:
	v_and_b32_e32 v0, 0x7fffff, v4
	v_or_b32_e32 v14, 0x800000, v0
	s_mov_b32 s0, 0xfe5163ab
	v_mad_u64_u32 v[0:1], s[0:1], v14, s0, 0
	v_mov_b32_e32 v6, 0
	s_mov_b32 s0, 0x3c439041
	v_mov_b32_e32 v5, v1
	v_mad_u64_u32 v[8:9], s[0:1], v14, s0, v[5:6]
	s_mov_b32 s0, 0xdb629599
	v_lshrrev_b32_e32 v1, 23, v4
	v_mov_b32_e32 v5, v9
	v_mad_u64_u32 v[9:10], s[0:1], v14, s0, v[5:6]
	s_mov_b32 s0, 0xf534ddc0
	v_add_u32_e32 v1, 0xffffff88, v1
	v_mov_b32_e32 v5, v10
	v_mad_u64_u32 v[10:11], s[0:1], v14, s0, v[5:6]
	s_mov_b32 s0, 0xfc2757d1
	v_not_b32_e32 v13, 63
	v_mov_b32_e32 v5, v11
	v_mad_u64_u32 v[11:12], s[0:1], v14, s0, v[5:6]
	v_cmp_lt_u32_e32 vcc, 63, v1
	v_cndmask_b32_e32 v5, 0, v13, vcc
	v_add_u32_e32 v1, v5, v1
	v_mov_b32_e32 v5, v12
	s_mov_b32 s0, 0x4e441529
	v_mad_u64_u32 v[12:13], s[0:1], v14, s0, v[5:6]
	v_not_b32_e32 v15, 31
	v_cmp_lt_u32_e64 s[0:1], 31, v1
	v_cndmask_b32_e64 v5, 0, v15, s[0:1]
	v_add_u32_e32 v1, v5, v1
	v_mov_b32_e32 v5, v13
	s_mov_b32 s2, 0xa2f9836e
	v_mad_u64_u32 v[5:6], s[2:3], v14, s2, v[5:6]
	v_cmp_lt_u32_e64 s[2:3], 31, v1
	v_cndmask_b32_e64 v13, 0, v15, s[2:3]
	v_add_u32_e32 v1, v13, v1
	v_cndmask_b32_e32 v13, v12, v10, vcc
	v_cndmask_b32_e32 v5, v5, v11, vcc
	;; [unrolled: 1-line block ×3, first 2 shown]
	v_cndmask_b32_e64 v14, v5, v13, s[0:1]
	v_cndmask_b32_e64 v5, v6, v5, s[0:1]
	v_cndmask_b32_e32 v6, v11, v9, vcc
	v_cndmask_b32_e64 v11, v13, v6, s[0:1]
	v_cndmask_b32_e64 v5, v5, v14, s[2:3]
	;; [unrolled: 1-line block ×3, first 2 shown]
	v_sub_u32_e32 v13, 32, v1
	v_alignbit_b32 v14, v5, v12, v13
	v_cmp_eq_u32_e64 s[4:5], 0, v1
	v_cndmask_b32_e64 v1, v14, v5, s[4:5]
	v_cndmask_b32_e32 v5, v10, v8, vcc
	v_cndmask_b32_e64 v6, v6, v5, s[0:1]
	v_cndmask_b32_e64 v8, v11, v6, s[2:3]
	v_alignbit_b32 v10, v12, v8, v13
	v_cndmask_b32_e32 v0, v9, v0, vcc
	v_cndmask_b32_e64 v10, v10, v12, s[4:5]
	v_bfe_u32 v14, v1, 29, 1
	v_cndmask_b32_e64 v0, v5, v0, s[0:1]
	v_alignbit_b32 v11, v1, v10, 30
	v_sub_u32_e32 v15, 0, v14
	v_cndmask_b32_e64 v0, v6, v0, s[2:3]
	v_xor_b32_e32 v11, v11, v15
	v_alignbit_b32 v5, v8, v0, v13
	v_cndmask_b32_e64 v5, v5, v8, s[4:5]
	v_ffbh_u32_e32 v8, v11
	v_alignbit_b32 v6, v10, v5, 30
	v_min_u32_e32 v8, 32, v8
	v_alignbit_b32 v0, v5, v0, 30
	v_xor_b32_e32 v6, v6, v15
	v_sub_u32_e32 v9, 31, v8
	v_xor_b32_e32 v0, v0, v15
	v_alignbit_b32 v10, v11, v6, v9
	v_alignbit_b32 v0, v6, v0, v9
	;; [unrolled: 1-line block ×3, first 2 shown]
	v_ffbh_u32_e32 v6, v5
	v_min_u32_e32 v6, 32, v6
	v_lshrrev_b32_e32 v12, 29, v1
	v_not_b32_e32 v9, v6
	v_alignbit_b32 v0, v5, v0, v9
	v_lshlrev_b32_e32 v5, 31, v12
	v_or_b32_e32 v9, 0x33000000, v5
	v_add_lshl_u32 v6, v6, v8, 23
	v_lshrrev_b32_e32 v0, 9, v0
	v_sub_u32_e32 v6, v9, v6
	v_or_b32_e32 v5, 0.5, v5
	v_lshlrev_b32_e32 v8, 23, v8
	v_or_b32_e32 v0, v6, v0
	v_lshrrev_b32_e32 v6, 9, v10
	v_sub_u32_e32 v5, v5, v8
	v_or_b32_e32 v5, v6, v5
	s_mov_b32 s0, 0x3fc90fda
	v_mul_f32_e32 v6, 0x3fc90fda, v5
	v_fma_f32 v8, v5, s0, -v6
	v_fmac_f32_e32 v8, 0x33a22168, v5
	v_fmac_f32_e32 v8, 0x3fc90fda, v0
	v_lshrrev_b32_e32 v0, 30, v1
	v_add_f32_e32 v6, v6, v8
	v_add_u32_e32 v5, v14, v0
.LBB24_1169:
	s_andn2_saveexec_b64 s[0:1], s[14:15]
	s_cbranch_execz .LBB24_1171
; %bb.1170:
	s_mov_b32 s2, 0x3f22f983
	v_mul_f32_e64 v0, |v3|, s2
	v_rndne_f32_e32 v0, v0
	s_mov_b32 s2, 0xbfc90fda
	v_cvt_i32_f32_e32 v5, v0
	v_fma_f32 v6, v0, s2, |v3|
	v_fmac_f32_e32 v6, 0xb3a22168, v0
	v_fmac_f32_e32 v6, 0xa7c234c4, v0
.LBB24_1171:
	s_or_b64 exec, exec, s[0:1]
	s_lshl_b32 s13, s13, 7
	v_add_u32_e32 v11, s13, v7
	v_ashrrev_i32_e32 v1, 31, v11
	v_mov_b32_e32 v7, s11
	v_add_co_u32_e32 v0, vcc, s10, v11
	s_cmp_lt_i32 s22, 11
	v_addc_co_u32_e32 v1, vcc, v7, v1, vcc
	s_cbranch_scc1 .LBB24_1178
; %bb.1172:
	s_cmp_gt_i32 s22, 25
	s_mov_b64 s[2:3], 0
	s_cbranch_scc0 .LBB24_1180
; %bb.1173:
	s_cmp_gt_i32 s22, 28
	s_cbranch_scc0 .LBB24_1181
; %bb.1174:
	s_cmp_gt_i32 s22, 43
	;; [unrolled: 3-line block ×3, first 2 shown]
	s_cbranch_scc0 .LBB24_1184
; %bb.1176:
	s_cmp_eq_u32 s22, 46
	s_mov_b64 s[14:15], 0
	s_cbranch_scc0 .LBB24_1187
; %bb.1177:
	global_load_dword v7, v[0:1], off
	s_mov_b64 s[0:1], 0
	s_mov_b64 s[4:5], -1
	s_waitcnt vmcnt(0)
	v_lshlrev_b32_e32 v7, 16, v7
	v_cvt_f16_f32_e32 v7, v7
	s_branch .LBB24_1188
.LBB24_1178:
	s_mov_b64 s[4:5], 0
                                        ; implicit-def: $vgpr7
	s_cbranch_execnz .LBB24_1253
.LBB24_1179:
	s_andn2_b64 vcc, exec, s[4:5]
	s_cbranch_vccnz .LBB24_2004
	s_branch .LBB24_1300
.LBB24_1180:
	s_mov_b64 s[4:5], 0
	s_mov_b64 s[0:1], 0
                                        ; implicit-def: $vgpr7
	s_cbranch_execnz .LBB24_1217
	s_branch .LBB24_1249
.LBB24_1181:
	s_mov_b64 s[14:15], -1
	s_mov_b64 s[4:5], 0
	s_mov_b64 s[0:1], 0
                                        ; implicit-def: $vgpr7
	s_branch .LBB24_1198
.LBB24_1182:
	s_mov_b64 s[14:15], -1
	s_mov_b64 s[4:5], 0
	s_mov_b64 s[0:1], 0
                                        ; implicit-def: $vgpr7
	s_branch .LBB24_1193
.LBB24_1183:
	s_or_b64 s[18:19], s[16:17], exec
	s_trap 2
	s_cbranch_execz .LBB24_1120
	s_branch .LBB24_1121
.LBB24_1184:
	s_mov_b64 s[14:15], -1
	s_mov_b64 s[4:5], 0
	s_mov_b64 s[0:1], 0
                                        ; implicit-def: $vgpr7
	s_branch .LBB24_1188
.LBB24_1185:
	s_andn2_saveexec_b64 s[24:25], s[24:25]
	s_cbranch_execz .LBB24_967
.LBB24_1186:
	s_mov_b32 s28, 0x42800000
	v_add_f32_e64 v4, |v2|, s28
	v_and_b32_e32 v4, 0xff, v4
	v_cmp_ne_u32_e32 vcc, 0, v4
	s_andn2_b64 s[22:23], s[22:23], exec
	s_and_b64 s[28:29], vcc, exec
	s_or_b64 s[22:23], s[22:23], s[28:29]
	s_or_b64 exec, exec, s[24:25]
	v_mov_b32_e32 v5, 0
	s_and_saveexec_b64 s[24:25], s[22:23]
	s_cbranch_execnz .LBB24_968
	s_branch .LBB24_969
.LBB24_1187:
	s_mov_b64 s[0:1], -1
                                        ; implicit-def: $vgpr7
	s_mov_b64 s[4:5], 0
.LBB24_1188:
	s_and_b64 vcc, exec, s[14:15]
	s_cbranch_vccz .LBB24_1192
; %bb.1189:
	s_cmp_eq_u32 s22, 44
	s_cbranch_scc0 .LBB24_1191
; %bb.1190:
	global_load_ubyte v7, v[0:1], off
	s_movk_i32 s4, 0xff
	v_mov_b32_e32 v9, 0x7e00
	s_mov_b64 s[0:1], 0
	s_waitcnt vmcnt(0)
	v_lshlrev_b32_e32 v8, 23, v7
	v_cvt_f16_f32_e32 v8, v8
	v_cmp_ne_u32_e32 vcc, s4, v7
	s_mov_b64 s[4:5], -1
	v_cndmask_b32_e32 v8, v9, v8, vcc
	v_cmp_ne_u32_e32 vcc, 0, v7
	v_cndmask_b32_e32 v7, 0, v8, vcc
	s_branch .LBB24_1192
.LBB24_1191:
	s_mov_b64 s[0:1], -1
                                        ; implicit-def: $vgpr7
.LBB24_1192:
	s_mov_b64 s[14:15], 0
.LBB24_1193:
	s_and_b64 vcc, exec, s[14:15]
	s_cbranch_vccz .LBB24_1197
; %bb.1194:
	s_cmp_eq_u32 s22, 29
	s_cbranch_scc0 .LBB24_1196
; %bb.1195:
	global_load_dwordx2 v[7:8], v[0:1], off
	s_mov_b64 s[0:1], 0
	s_mov_b64 s[4:5], -1
	s_mov_b64 s[14:15], 0
	s_waitcnt vmcnt(0)
	v_ffbh_u32_e32 v9, v8
	v_min_u32_e32 v9, 32, v9
	v_lshlrev_b64 v[7:8], v9, v[7:8]
	v_min_u32_e32 v7, 1, v7
	v_or_b32_e32 v7, v8, v7
	v_cvt_f32_u32_e32 v7, v7
	v_sub_u32_e32 v8, 32, v9
	v_ldexp_f32 v7, v7, v8
	v_cvt_f16_f32_e32 v7, v7
	s_branch .LBB24_1198
.LBB24_1196:
	s_mov_b64 s[0:1], -1
                                        ; implicit-def: $vgpr7
.LBB24_1197:
	s_mov_b64 s[14:15], 0
.LBB24_1198:
	s_and_b64 vcc, exec, s[14:15]
	s_cbranch_vccz .LBB24_1216
; %bb.1199:
	s_cmp_lt_i32 s22, 27
	s_cbranch_scc1 .LBB24_1202
; %bb.1200:
	s_cmp_gt_i32 s22, 27
	s_cbranch_scc0 .LBB24_1203
; %bb.1201:
	global_load_dword v7, v[0:1], off
	s_mov_b64 s[4:5], 0
	s_waitcnt vmcnt(0)
	v_cvt_f32_u32_e32 v7, v7
	v_cvt_f16_f32_e32 v7, v7
	s_branch .LBB24_1204
.LBB24_1202:
	s_mov_b64 s[4:5], -1
                                        ; implicit-def: $vgpr7
	s_branch .LBB24_1207
.LBB24_1203:
	s_mov_b64 s[4:5], -1
                                        ; implicit-def: $vgpr7
.LBB24_1204:
	s_andn2_b64 vcc, exec, s[4:5]
	s_cbranch_vccnz .LBB24_1206
; %bb.1205:
	global_load_ushort v7, v[0:1], off
	s_waitcnt vmcnt(0)
	v_cvt_f16_u16_e32 v7, v7
.LBB24_1206:
	s_mov_b64 s[4:5], 0
.LBB24_1207:
	s_andn2_b64 vcc, exec, s[4:5]
	s_cbranch_vccnz .LBB24_1215
; %bb.1208:
	global_load_ubyte v8, v[0:1], off
	s_movk_i32 s4, 0x7f
	s_waitcnt vmcnt(0)
	v_cmp_lt_i16_e32 vcc, s4, v8
	s_mov_b64 s[4:5], 0
	s_and_saveexec_b64 s[14:15], vcc
	s_xor_b64 s[14:15], exec, s[14:15]
	s_cbranch_execz .LBB24_1228
; %bb.1209:
	s_movk_i32 s4, 0x80
	v_cmp_eq_u16_e32 vcc, s4, v8
	s_mov_b64 s[4:5], -1
	s_and_saveexec_b64 s[20:21], vcc
; %bb.1210:
	s_xor_b64 s[4:5], exec, -1
; %bb.1211:
	s_or_b64 exec, exec, s[20:21]
	s_and_b64 s[4:5], s[4:5], exec
	s_or_saveexec_b64 s[14:15], s[14:15]
	v_mov_b32_e32 v7, 0x7e00
	s_xor_b64 exec, exec, s[14:15]
	s_cbranch_execnz .LBB24_1229
.LBB24_1212:
	s_or_b64 exec, exec, s[14:15]
	s_and_saveexec_b64 s[14:15], s[4:5]
	s_cbranch_execz .LBB24_1214
.LBB24_1213:
	v_lshlrev_b32_e32 v7, 24, v8
	v_and_b32_e32 v8, 0xffff, v8
	v_and_b32_e32 v9, 7, v8
	v_ffbh_u32_e32 v12, v9
	v_min_u32_e32 v12, 32, v12
	v_subrev_u32_e32 v13, 28, v12
	v_bfe_u32 v10, v8, 3, 4
	v_lshlrev_b32_e32 v8, v13, v8
	v_sub_u32_e32 v12, 29, v12
	v_and_b32_e32 v8, 7, v8
	v_cmp_eq_u32_e32 vcc, 0, v10
	v_cndmask_b32_e32 v10, v10, v12, vcc
	v_cndmask_b32_e32 v8, v9, v8, vcc
	v_mov_b32_e32 v9, 0x3b800000
	v_lshlrev_b32_e32 v8, 20, v8
	v_and_b32_e32 v7, 0x80000000, v7
	v_lshl_add_u32 v9, v10, 23, v9
	v_or3_b32 v7, v7, v9, v8
	v_cvt_f16_f32_e32 v7, v7
.LBB24_1214:
	s_or_b64 exec, exec, s[14:15]
.LBB24_1215:
	s_mov_b64 s[4:5], -1
.LBB24_1216:
	s_branch .LBB24_1249
.LBB24_1217:
	s_cmp_gt_i32 s22, 22
	s_cbranch_scc0 .LBB24_1227
; %bb.1218:
	s_cmp_lt_i32 s22, 24
	s_cbranch_scc1 .LBB24_1230
; %bb.1219:
	s_cmp_gt_i32 s22, 24
	s_cbranch_scc0 .LBB24_1231
; %bb.1220:
	global_load_ubyte v8, v[0:1], off
	s_movk_i32 s2, 0x7f
	s_waitcnt vmcnt(0)
	v_cmp_lt_i16_e32 vcc, s2, v8
	s_mov_b64 s[2:3], 0
	s_and_saveexec_b64 s[4:5], vcc
	s_xor_b64 s[4:5], exec, s[4:5]
	s_cbranch_execz .LBB24_1243
; %bb.1221:
	s_movk_i32 s2, 0x80
	v_cmp_eq_u16_e32 vcc, s2, v8
	s_mov_b64 s[2:3], -1
	s_and_saveexec_b64 s[14:15], vcc
; %bb.1222:
	s_xor_b64 s[2:3], exec, -1
; %bb.1223:
	s_or_b64 exec, exec, s[14:15]
	s_and_b64 s[2:3], s[2:3], exec
	s_or_saveexec_b64 s[4:5], s[4:5]
	v_mov_b32_e32 v7, 0x7e00
	s_xor_b64 exec, exec, s[4:5]
	s_cbranch_execnz .LBB24_1244
.LBB24_1224:
	s_or_b64 exec, exec, s[4:5]
	s_and_saveexec_b64 s[4:5], s[2:3]
	s_cbranch_execz .LBB24_1226
.LBB24_1225:
	v_lshlrev_b32_e32 v7, 24, v8
	v_and_b32_e32 v8, 0xffff, v8
	v_and_b32_e32 v9, 3, v8
	v_ffbh_u32_e32 v12, v9
	v_min_u32_e32 v12, 32, v12
	v_subrev_u32_e32 v13, 29, v12
	v_bfe_u32 v10, v8, 2, 5
	v_lshlrev_b32_e32 v8, v13, v8
	v_sub_u32_e32 v12, 30, v12
	v_and_b32_e32 v8, 3, v8
	v_cmp_eq_u32_e32 vcc, 0, v10
	v_cndmask_b32_e32 v10, v10, v12, vcc
	v_cndmask_b32_e32 v8, v9, v8, vcc
	v_mov_b32_e32 v9, 0x37800000
	v_lshlrev_b32_e32 v8, 21, v8
	v_and_b32_e32 v7, 0x80000000, v7
	v_lshl_add_u32 v9, v10, 23, v9
	v_or3_b32 v7, v7, v9, v8
	v_cvt_f16_f32_e32 v7, v7
.LBB24_1226:
	s_or_b64 exec, exec, s[4:5]
	s_mov_b64 s[2:3], 0
	s_branch .LBB24_1232
.LBB24_1227:
	s_mov_b64 s[2:3], -1
                                        ; implicit-def: $vgpr7
	s_branch .LBB24_1238
.LBB24_1228:
	s_or_saveexec_b64 s[14:15], s[14:15]
	v_mov_b32_e32 v7, 0x7e00
	s_xor_b64 exec, exec, s[14:15]
	s_cbranch_execz .LBB24_1212
.LBB24_1229:
	v_cmp_ne_u16_e32 vcc, 0, v8
	s_andn2_b64 s[4:5], s[4:5], exec
	s_and_b64 s[20:21], vcc, exec
	s_or_b64 s[4:5], s[4:5], s[20:21]
	v_mov_b32_e32 v7, v8
	s_or_b64 exec, exec, s[14:15]
	s_and_saveexec_b64 s[14:15], s[4:5]
	s_cbranch_execnz .LBB24_1213
	s_branch .LBB24_1214
.LBB24_1230:
	s_mov_b64 s[2:3], -1
                                        ; implicit-def: $vgpr7
	s_branch .LBB24_1235
.LBB24_1231:
	s_mov_b64 s[2:3], -1
                                        ; implicit-def: $vgpr7
.LBB24_1232:
	s_and_b64 vcc, exec, s[2:3]
	s_cbranch_vccz .LBB24_1234
; %bb.1233:
	global_load_ubyte v7, v[0:1], off
	s_mov_b32 s2, 0x7f800000
	s_waitcnt vmcnt(0)
	v_lshlrev_b32_e32 v7, 24, v7
	v_and_b32_e32 v8, 0x7f000000, v7
	v_ffbh_u32_e32 v9, v8
	v_min_u32_e32 v9, 32, v9
	v_sub_u32_e64 v9, v9, 4 clamp
	v_lshlrev_b32_e32 v12, v9, v8
	v_lshlrev_b32_e32 v9, 23, v9
	v_lshrrev_b32_e32 v12, 4, v12
	v_add_u32_e32 v10, 0x1000000, v8
	v_sub_u32_e32 v9, v12, v9
	v_ashrrev_i32_e32 v10, 8, v10
	v_add_u32_e32 v9, 0x3c000000, v9
	v_and_or_b32 v9, v10, s2, v9
	v_cmp_ne_u32_e32 vcc, 0, v8
	v_cndmask_b32_e32 v8, 0, v9, vcc
	s_brev_b32 s2, 1
	v_and_or_b32 v7, v7, s2, v8
	v_cvt_f16_f32_e32 v7, v7
.LBB24_1234:
	s_mov_b64 s[2:3], 0
.LBB24_1235:
	s_andn2_b64 vcc, exec, s[2:3]
	s_cbranch_vccnz .LBB24_1237
; %bb.1236:
	global_load_ubyte v7, v[0:1], off
	s_movk_i32 s2, 0x7f00
	s_brev_b32 s3, 16
	s_waitcnt vmcnt(0)
	v_lshlrev_b16_e32 v8, 8, v7
	v_lshlrev_b32_e32 v7, 25, v7
	v_lshrrev_b32_e32 v9, 4, v7
	v_and_or_b32 v10, v8, s2, 0.5
	v_or_b32_e32 v9, 0x70000000, v9
	v_add_f32_e32 v10, -0.5, v10
	v_mul_f32_e32 v9, 0x7800000, v9
	v_cmp_gt_u32_e32 vcc, s3, v7
	v_bfe_i32 v8, v8, 0, 16
	v_cndmask_b32_e32 v7, v9, v10, vcc
	s_brev_b32 s2, 1
	v_and_or_b32 v7, v8, s2, v7
	v_cvt_f16_f32_e32 v7, v7
.LBB24_1237:
	s_mov_b64 s[2:3], 0
	s_mov_b64 s[4:5], -1
.LBB24_1238:
	s_andn2_b64 vcc, exec, s[2:3]
	s_mov_b64 s[2:3], 0
	s_cbranch_vccnz .LBB24_1249
; %bb.1239:
	s_cmp_gt_i32 s22, 14
	s_cbranch_scc0 .LBB24_1242
; %bb.1240:
	s_cmp_eq_u32 s22, 15
	s_cbranch_scc0 .LBB24_1245
; %bb.1241:
	global_load_ushort v7, v[0:1], off
	s_mov_b64 s[0:1], 0
	s_mov_b64 s[4:5], -1
	s_waitcnt vmcnt(0)
	v_lshlrev_b32_e32 v7, 16, v7
	v_cvt_f16_f32_e32 v7, v7
	s_branch .LBB24_1246
.LBB24_1242:
	s_mov_b64 s[14:15], -1
                                        ; implicit-def: $vgpr7
	s_branch .LBB24_1247
.LBB24_1243:
	s_or_saveexec_b64 s[4:5], s[4:5]
	v_mov_b32_e32 v7, 0x7e00
	s_xor_b64 exec, exec, s[4:5]
	s_cbranch_execz .LBB24_1224
.LBB24_1244:
	v_cmp_ne_u16_e32 vcc, 0, v8
	s_andn2_b64 s[2:3], s[2:3], exec
	s_and_b64 s[14:15], vcc, exec
	s_or_b64 s[2:3], s[2:3], s[14:15]
	v_mov_b32_e32 v7, v8
	s_or_b64 exec, exec, s[4:5]
	s_and_saveexec_b64 s[4:5], s[2:3]
	s_cbranch_execnz .LBB24_1225
	s_branch .LBB24_1226
.LBB24_1245:
	s_mov_b64 s[0:1], -1
                                        ; implicit-def: $vgpr7
.LBB24_1246:
	s_mov_b64 s[14:15], 0
.LBB24_1247:
	s_and_b64 vcc, exec, s[14:15]
	s_cbranch_vccz .LBB24_1249
; %bb.1248:
	s_cmp_lg_u32 s22, 11
	s_mov_b64 s[2:3], -1
	s_cselect_b64 s[0:1], -1, 0
.LBB24_1249:
	s_and_b64 vcc, exec, s[0:1]
	s_cbranch_vccnz .LBB24_1316
; %bb.1250:
	s_andn2_b64 vcc, exec, s[2:3]
	s_cbranch_vccnz .LBB24_1252
.LBB24_1251:
	global_load_ubyte v7, v[0:1], off
	v_mov_b32_e32 v8, 0x3c00
	s_mov_b64 s[4:5], -1
	s_waitcnt vmcnt(0)
	v_cmp_ne_u16_e32 vcc, 0, v7
	v_cndmask_b32_e32 v7, 0, v8, vcc
.LBB24_1252:
	s_branch .LBB24_1179
.LBB24_1253:
	s_cmp_lt_i32 s22, 5
	s_cbranch_scc1 .LBB24_1258
; %bb.1254:
	s_cmp_lt_i32 s22, 8
	s_cbranch_scc1 .LBB24_1259
; %bb.1255:
	;; [unrolled: 3-line block ×3, first 2 shown]
	s_cmp_gt_i32 s22, 9
	s_cbranch_scc0 .LBB24_1261
; %bb.1257:
	global_load_dwordx2 v[7:8], v[0:1], off
	s_movk_i32 s0, 0x1ff
	s_movk_i32 s1, 0xffe
	v_mov_b32_e32 v9, 0x7c00
	v_mov_b32_e32 v10, 0x7e00
	s_movk_i32 s2, 0x40f
	s_mov_b32 s3, 0x8000
	s_waitcnt vmcnt(0)
	v_and_or_b32 v7, v8, s0, v7
	v_cmp_ne_u32_e32 vcc, 0, v7
	v_lshrrev_b32_e32 v12, 8, v8
	v_bfe_u32 v13, v8, 20, 11
	v_cndmask_b32_e64 v7, 0, 1, vcc
	v_sub_u32_e32 v14, 0x3f1, v13
	v_and_or_b32 v7, v12, s1, v7
	v_add_u32_e32 v13, 0xfffffc10, v13
	v_med3_i32 v12, v14, 0, 13
	v_or_b32_e32 v14, 0x1000, v7
	v_cmp_ne_u32_e32 vcc, 0, v7
	v_lshl_or_b32 v15, v13, 12, v7
	v_cndmask_b32_e32 v7, v9, v10, vcc
	v_lshrrev_b32_e32 v10, v12, v14
	v_lshlrev_b32_e32 v12, v12, v10
	v_cmp_ne_u32_e32 vcc, v12, v14
	v_cndmask_b32_e64 v12, 0, 1, vcc
	v_or_b32_e32 v10, v10, v12
	v_cmp_gt_i32_e32 vcc, 1, v13
	v_cndmask_b32_e32 v10, v15, v10, vcc
	v_and_b32_e32 v12, 7, v10
	v_cmp_lt_i32_e32 vcc, 5, v12
	v_cndmask_b32_e64 v14, 0, 1, vcc
	v_cmp_eq_u32_e32 vcc, 3, v12
	v_cndmask_b32_e64 v12, 0, 1, vcc
	v_lshrrev_b32_e32 v10, 2, v10
	v_or_b32_e32 v12, v12, v14
	v_add_u32_e32 v10, v10, v12
	v_cmp_gt_i32_e32 vcc, 31, v13
	v_cndmask_b32_e32 v9, v9, v10, vcc
	v_cmp_eq_u32_e32 vcc, s2, v13
	v_lshrrev_b32_e32 v8, 16, v8
	v_cndmask_b32_e32 v7, v9, v7, vcc
	v_and_or_b32 v7, v8, s3, v7
	s_mov_b64 s[0:1], 0
	s_branch .LBB24_1262
.LBB24_1258:
                                        ; implicit-def: $vgpr7
	s_branch .LBB24_1280
.LBB24_1259:
	s_mov_b64 s[0:1], -1
                                        ; implicit-def: $vgpr7
	s_branch .LBB24_1268
.LBB24_1260:
	s_mov_b64 s[0:1], -1
                                        ; implicit-def: $vgpr7
	s_branch .LBB24_1265
.LBB24_1261:
	s_mov_b64 s[0:1], -1
                                        ; implicit-def: $vgpr7
.LBB24_1262:
	s_andn2_b64 vcc, exec, s[0:1]
	s_cbranch_vccnz .LBB24_1264
; %bb.1263:
	global_load_dword v7, v[0:1], off
	s_waitcnt vmcnt(0)
	v_cvt_f16_f32_e32 v7, v7
.LBB24_1264:
	s_mov_b64 s[0:1], 0
.LBB24_1265:
	s_andn2_b64 vcc, exec, s[0:1]
	s_cbranch_vccnz .LBB24_1267
; %bb.1266:
	global_load_dword v7, v[0:1], off
.LBB24_1267:
	s_mov_b64 s[0:1], 0
.LBB24_1268:
	s_andn2_b64 vcc, exec, s[0:1]
	s_cbranch_vccnz .LBB24_1279
; %bb.1269:
	s_cmp_lt_i32 s22, 6
	s_cbranch_scc1 .LBB24_1272
; %bb.1270:
	s_cmp_gt_i32 s22, 6
	s_cbranch_scc0 .LBB24_1273
; %bb.1271:
	global_load_dwordx2 v[7:8], v[0:1], off
	s_movk_i32 s0, 0x1ff
	s_movk_i32 s1, 0xffe
	v_mov_b32_e32 v9, 0x7c00
	v_mov_b32_e32 v10, 0x7e00
	s_movk_i32 s2, 0x40f
	s_mov_b32 s3, 0x8000
	s_waitcnt vmcnt(0)
	v_and_or_b32 v7, v8, s0, v7
	v_cmp_ne_u32_e32 vcc, 0, v7
	v_lshrrev_b32_e32 v12, 8, v8
	v_bfe_u32 v13, v8, 20, 11
	v_cndmask_b32_e64 v7, 0, 1, vcc
	v_sub_u32_e32 v14, 0x3f1, v13
	v_and_or_b32 v7, v12, s1, v7
	v_add_u32_e32 v13, 0xfffffc10, v13
	v_med3_i32 v12, v14, 0, 13
	v_or_b32_e32 v14, 0x1000, v7
	v_cmp_ne_u32_e32 vcc, 0, v7
	v_lshl_or_b32 v15, v13, 12, v7
	v_cndmask_b32_e32 v7, v9, v10, vcc
	v_lshrrev_b32_e32 v10, v12, v14
	v_lshlrev_b32_e32 v12, v12, v10
	v_cmp_ne_u32_e32 vcc, v12, v14
	v_cndmask_b32_e64 v12, 0, 1, vcc
	v_or_b32_e32 v10, v10, v12
	v_cmp_gt_i32_e32 vcc, 1, v13
	v_cndmask_b32_e32 v10, v15, v10, vcc
	v_and_b32_e32 v12, 7, v10
	v_cmp_lt_i32_e32 vcc, 5, v12
	v_cndmask_b32_e64 v14, 0, 1, vcc
	v_cmp_eq_u32_e32 vcc, 3, v12
	v_cndmask_b32_e64 v12, 0, 1, vcc
	v_lshrrev_b32_e32 v10, 2, v10
	v_or_b32_e32 v12, v12, v14
	v_add_u32_e32 v10, v10, v12
	v_cmp_gt_i32_e32 vcc, 31, v13
	v_cndmask_b32_e32 v9, v9, v10, vcc
	v_cmp_eq_u32_e32 vcc, s2, v13
	v_lshrrev_b32_e32 v8, 16, v8
	v_cndmask_b32_e32 v7, v9, v7, vcc
	v_and_or_b32 v7, v8, s3, v7
	s_mov_b64 s[0:1], 0
	s_branch .LBB24_1274
.LBB24_1272:
	s_mov_b64 s[0:1], -1
                                        ; implicit-def: $vgpr7
	s_branch .LBB24_1277
.LBB24_1273:
	s_mov_b64 s[0:1], -1
                                        ; implicit-def: $vgpr7
.LBB24_1274:
	s_andn2_b64 vcc, exec, s[0:1]
	s_cbranch_vccnz .LBB24_1276
; %bb.1275:
	global_load_dword v7, v[0:1], off
	s_waitcnt vmcnt(0)
	v_cvt_f16_f32_e32 v7, v7
.LBB24_1276:
	s_mov_b64 s[0:1], 0
.LBB24_1277:
	s_andn2_b64 vcc, exec, s[0:1]
	s_cbranch_vccnz .LBB24_1279
; %bb.1278:
	global_load_ushort v7, v[0:1], off
.LBB24_1279:
	s_cbranch_execnz .LBB24_1299
.LBB24_1280:
	s_cmp_lt_i32 s22, 2
	s_cbranch_scc1 .LBB24_1284
; %bb.1281:
	s_cmp_lt_i32 s22, 3
	s_cbranch_scc1 .LBB24_1285
; %bb.1282:
	s_cmp_gt_i32 s22, 3
	s_cbranch_scc0 .LBB24_1286
; %bb.1283:
	global_load_dwordx2 v[7:8], v[0:1], off
	s_mov_b64 s[0:1], 0
	s_waitcnt vmcnt(0)
	v_xor_b32_e32 v10, v7, v8
	v_ffbh_i32_e32 v9, v8
	v_ashrrev_i32_e32 v10, 31, v10
	v_add_u32_e32 v9, -1, v9
	v_add_u32_e32 v10, 32, v10
	v_min_u32_e32 v9, v9, v10
	v_lshlrev_b64 v[7:8], v9, v[7:8]
	v_min_u32_e32 v7, 1, v7
	v_or_b32_e32 v7, v8, v7
	v_cvt_f32_i32_e32 v7, v7
	v_sub_u32_e32 v8, 32, v9
	v_ldexp_f32 v7, v7, v8
	v_cvt_f16_f32_e32 v7, v7
	s_branch .LBB24_1287
.LBB24_1284:
	s_mov_b64 s[0:1], -1
                                        ; implicit-def: $vgpr7
	s_branch .LBB24_1293
.LBB24_1285:
	s_mov_b64 s[0:1], -1
                                        ; implicit-def: $vgpr7
	s_branch .LBB24_1290
.LBB24_1286:
	s_mov_b64 s[0:1], -1
                                        ; implicit-def: $vgpr7
.LBB24_1287:
	s_andn2_b64 vcc, exec, s[0:1]
	s_cbranch_vccnz .LBB24_1289
; %bb.1288:
	global_load_dword v7, v[0:1], off
	s_waitcnt vmcnt(0)
	v_cvt_f32_i32_e32 v7, v7
	v_cvt_f16_f32_e32 v7, v7
.LBB24_1289:
	s_mov_b64 s[0:1], 0
.LBB24_1290:
	s_andn2_b64 vcc, exec, s[0:1]
	s_cbranch_vccnz .LBB24_1292
; %bb.1291:
	global_load_ushort v7, v[0:1], off
	s_waitcnt vmcnt(0)
	v_cvt_f16_i16_e32 v7, v7
.LBB24_1292:
	s_mov_b64 s[0:1], 0
.LBB24_1293:
	s_andn2_b64 vcc, exec, s[0:1]
	s_cbranch_vccnz .LBB24_1299
; %bb.1294:
	s_cmp_gt_i32 s22, 0
	s_cbranch_scc0 .LBB24_1296
; %bb.1295:
	global_load_sbyte v7, v[0:1], off
	s_mov_b64 s[0:1], 0
	s_waitcnt vmcnt(0)
	v_cvt_f16_i16_e32 v7, v7
	s_branch .LBB24_1297
.LBB24_1296:
	s_mov_b64 s[0:1], -1
                                        ; implicit-def: $vgpr7
.LBB24_1297:
	s_andn2_b64 vcc, exec, s[0:1]
	s_cbranch_vccnz .LBB24_1299
; %bb.1298:
	global_load_ubyte v0, v[0:1], off
	s_waitcnt vmcnt(0)
	v_cvt_f16_u16_e32 v7, v0
.LBB24_1299:
.LBB24_1300:
	s_waitcnt vmcnt(0)
	v_cvt_f32_f16_e32 v7, v7
	s_brev_b32 s0, 18
                                        ; implicit-def: $vgpr9
                                        ; implicit-def: $vgpr10
	v_and_b32_e32 v8, 0x7fffffff, v7
	v_cmp_nlt_f32_e64 s[0:1], |v7|, s0
	s_and_saveexec_b64 s[2:3], s[0:1]
	s_xor_b64 s[14:15], exec, s[2:3]
	s_cbranch_execz .LBB24_1302
; %bb.1301:
	v_and_b32_e32 v0, 0x7fffff, v8
	v_or_b32_e32 v18, 0x800000, v0
	s_mov_b32 s0, 0xfe5163ab
	v_mad_u64_u32 v[0:1], s[0:1], v18, s0, 0
	v_mov_b32_e32 v10, 0
	s_mov_b32 s0, 0x3c439041
	v_mov_b32_e32 v9, v1
	v_mad_u64_u32 v[12:13], s[0:1], v18, s0, v[9:10]
	s_mov_b32 s0, 0xdb629599
	v_lshrrev_b32_e32 v1, 23, v8
	v_mov_b32_e32 v9, v13
	v_mad_u64_u32 v[13:14], s[0:1], v18, s0, v[9:10]
	s_mov_b32 s0, 0xf534ddc0
	v_add_u32_e32 v1, 0xffffff88, v1
	v_mov_b32_e32 v9, v14
	v_mad_u64_u32 v[14:15], s[0:1], v18, s0, v[9:10]
	s_mov_b32 s0, 0xfc2757d1
	v_not_b32_e32 v17, 63
	v_mov_b32_e32 v9, v15
	v_mad_u64_u32 v[15:16], s[0:1], v18, s0, v[9:10]
	v_cmp_lt_u32_e32 vcc, 63, v1
	v_cndmask_b32_e32 v9, 0, v17, vcc
	v_add_u32_e32 v1, v9, v1
	v_mov_b32_e32 v9, v16
	s_mov_b32 s0, 0x4e441529
	v_mad_u64_u32 v[16:17], s[0:1], v18, s0, v[9:10]
	v_not_b32_e32 v19, 31
	v_cmp_lt_u32_e64 s[0:1], 31, v1
	v_cndmask_b32_e64 v9, 0, v19, s[0:1]
	v_add_u32_e32 v1, v9, v1
	v_mov_b32_e32 v9, v17
	s_mov_b32 s2, 0xa2f9836e
	v_mad_u64_u32 v[9:10], s[2:3], v18, s2, v[9:10]
	v_cmp_lt_u32_e64 s[2:3], 31, v1
	v_cndmask_b32_e64 v17, 0, v19, s[2:3]
	v_add_u32_e32 v1, v17, v1
	v_cndmask_b32_e32 v17, v16, v14, vcc
	v_cndmask_b32_e32 v9, v9, v15, vcc
	;; [unrolled: 1-line block ×3, first 2 shown]
	v_cndmask_b32_e64 v18, v9, v17, s[0:1]
	v_cndmask_b32_e64 v9, v10, v9, s[0:1]
	v_cndmask_b32_e32 v10, v15, v13, vcc
	v_cndmask_b32_e64 v15, v17, v10, s[0:1]
	v_cndmask_b32_e64 v9, v9, v18, s[2:3]
	;; [unrolled: 1-line block ×3, first 2 shown]
	v_sub_u32_e32 v17, 32, v1
	v_alignbit_b32 v18, v9, v16, v17
	v_cmp_eq_u32_e64 s[4:5], 0, v1
	v_cndmask_b32_e64 v1, v18, v9, s[4:5]
	v_cndmask_b32_e32 v9, v14, v12, vcc
	v_cndmask_b32_e64 v10, v10, v9, s[0:1]
	v_cndmask_b32_e64 v12, v15, v10, s[2:3]
	v_alignbit_b32 v14, v16, v12, v17
	v_cndmask_b32_e32 v0, v13, v0, vcc
	v_cndmask_b32_e64 v14, v14, v16, s[4:5]
	v_bfe_u32 v18, v1, 29, 1
	v_cndmask_b32_e64 v0, v9, v0, s[0:1]
	v_alignbit_b32 v15, v1, v14, 30
	v_sub_u32_e32 v19, 0, v18
	v_cndmask_b32_e64 v0, v10, v0, s[2:3]
	v_xor_b32_e32 v15, v15, v19
	v_alignbit_b32 v9, v12, v0, v17
	v_cndmask_b32_e64 v9, v9, v12, s[4:5]
	v_ffbh_u32_e32 v12, v15
	v_alignbit_b32 v10, v14, v9, 30
	v_min_u32_e32 v12, 32, v12
	v_alignbit_b32 v0, v9, v0, 30
	v_xor_b32_e32 v10, v10, v19
	v_sub_u32_e32 v13, 31, v12
	v_xor_b32_e32 v0, v0, v19
	v_alignbit_b32 v14, v15, v10, v13
	v_alignbit_b32 v0, v10, v0, v13
	;; [unrolled: 1-line block ×3, first 2 shown]
	v_ffbh_u32_e32 v10, v9
	v_min_u32_e32 v10, 32, v10
	v_lshrrev_b32_e32 v16, 29, v1
	v_not_b32_e32 v13, v10
	v_alignbit_b32 v0, v9, v0, v13
	v_lshlrev_b32_e32 v9, 31, v16
	v_or_b32_e32 v13, 0x33000000, v9
	v_add_lshl_u32 v10, v10, v12, 23
	v_lshrrev_b32_e32 v0, 9, v0
	v_sub_u32_e32 v10, v13, v10
	v_or_b32_e32 v9, 0.5, v9
	v_lshlrev_b32_e32 v12, 23, v12
	v_or_b32_e32 v0, v10, v0
	v_lshrrev_b32_e32 v10, 9, v14
	v_sub_u32_e32 v9, v9, v12
	v_or_b32_e32 v9, v10, v9
	s_mov_b32 s0, 0x3fc90fda
	v_mul_f32_e32 v10, 0x3fc90fda, v9
	v_fma_f32 v12, v9, s0, -v10
	v_fmac_f32_e32 v12, 0x33a22168, v9
	v_fmac_f32_e32 v12, 0x3fc90fda, v0
	v_lshrrev_b32_e32 v0, 30, v1
	v_add_f32_e32 v10, v10, v12
	v_add_u32_e32 v9, v18, v0
.LBB24_1302:
	s_andn2_saveexec_b64 s[0:1], s[14:15]
	s_cbranch_execz .LBB24_1304
; %bb.1303:
	s_mov_b32 s2, 0x3f22f983
	v_mul_f32_e64 v0, |v7|, s2
	v_rndne_f32_e32 v0, v0
	s_mov_b32 s2, 0xbfc90fda
	v_cvt_i32_f32_e32 v9, v0
	v_fma_f32 v10, v0, s2, |v7|
	v_fmac_f32_e32 v10, 0xb3a22168, v0
	v_fmac_f32_e32 v10, 0xa7c234c4, v0
.LBB24_1304:
	s_or_b64 exec, exec, s[0:1]
	v_add_u32_e32 v15, s13, v11
	v_ashrrev_i32_e32 v1, 31, v15
	v_mov_b32_e32 v11, s11
	v_add_co_u32_e32 v0, vcc, s10, v15
	s_cmp_lt_i32 s22, 11
	v_addc_co_u32_e32 v1, vcc, v11, v1, vcc
	s_cbranch_scc1 .LBB24_1311
; %bb.1305:
	s_cmp_gt_i32 s22, 25
	s_mov_b64 s[2:3], 0
	s_cbranch_scc0 .LBB24_1313
; %bb.1306:
	s_cmp_gt_i32 s22, 28
	s_cbranch_scc0 .LBB24_1314
; %bb.1307:
	s_cmp_gt_i32 s22, 43
	;; [unrolled: 3-line block ×3, first 2 shown]
	s_cbranch_scc0 .LBB24_1317
; %bb.1309:
	s_cmp_eq_u32 s22, 46
	s_mov_b64 s[14:15], 0
	s_cbranch_scc0 .LBB24_1318
; %bb.1310:
	global_load_dword v11, v[0:1], off
	s_mov_b64 s[0:1], 0
	s_mov_b64 s[4:5], -1
	s_waitcnt vmcnt(0)
	v_lshlrev_b32_e32 v11, 16, v11
	v_cvt_f16_f32_e32 v11, v11
	s_branch .LBB24_1319
.LBB24_1311:
	s_mov_b64 s[4:5], 0
                                        ; implicit-def: $vgpr11
	s_cbranch_execnz .LBB24_1385
.LBB24_1312:
	s_andn2_b64 vcc, exec, s[4:5]
	s_cbranch_vccnz .LBB24_2004
	s_branch .LBB24_1433
.LBB24_1313:
	s_mov_b64 s[14:15], -1
	s_mov_b64 s[4:5], 0
	s_mov_b64 s[0:1], 0
                                        ; implicit-def: $vgpr11
	s_branch .LBB24_1348
.LBB24_1314:
	s_mov_b64 s[14:15], -1
	s_mov_b64 s[4:5], 0
	s_mov_b64 s[0:1], 0
                                        ; implicit-def: $vgpr11
	s_branch .LBB24_1329
.LBB24_1315:
	s_mov_b64 s[14:15], -1
	s_mov_b64 s[4:5], 0
	s_mov_b64 s[0:1], 0
                                        ; implicit-def: $vgpr11
	s_branch .LBB24_1324
.LBB24_1316:
	s_trap 2
	s_or_b64 s[18:19], s[18:19], exec
	s_cbranch_execz .LBB24_1251
	s_branch .LBB24_1252
.LBB24_1317:
	s_mov_b64 s[14:15], -1
	s_mov_b64 s[4:5], 0
	s_mov_b64 s[0:1], 0
                                        ; implicit-def: $vgpr11
	s_branch .LBB24_1319
.LBB24_1318:
	s_mov_b64 s[0:1], -1
                                        ; implicit-def: $vgpr11
	s_mov_b64 s[4:5], 0
.LBB24_1319:
	s_and_b64 vcc, exec, s[14:15]
	s_cbranch_vccz .LBB24_1323
; %bb.1320:
	s_cmp_eq_u32 s22, 44
	s_cbranch_scc0 .LBB24_1322
; %bb.1321:
	global_load_ubyte v11, v[0:1], off
	s_movk_i32 s4, 0xff
	v_mov_b32_e32 v13, 0x7e00
	s_mov_b64 s[0:1], 0
	s_waitcnt vmcnt(0)
	v_lshlrev_b32_e32 v12, 23, v11
	v_cvt_f16_f32_e32 v12, v12
	v_cmp_ne_u32_e32 vcc, s4, v11
	s_mov_b64 s[4:5], -1
	v_cndmask_b32_e32 v12, v13, v12, vcc
	v_cmp_ne_u32_e32 vcc, 0, v11
	v_cndmask_b32_e32 v11, 0, v12, vcc
	s_branch .LBB24_1323
.LBB24_1322:
	s_mov_b64 s[0:1], -1
                                        ; implicit-def: $vgpr11
.LBB24_1323:
	s_mov_b64 s[14:15], 0
.LBB24_1324:
	s_and_b64 vcc, exec, s[14:15]
	s_cbranch_vccz .LBB24_1328
; %bb.1325:
	s_cmp_eq_u32 s22, 29
	s_cbranch_scc0 .LBB24_1327
; %bb.1326:
	global_load_dwordx2 v[11:12], v[0:1], off
	s_mov_b64 s[0:1], 0
	s_mov_b64 s[4:5], -1
	s_mov_b64 s[14:15], 0
	s_waitcnt vmcnt(0)
	v_ffbh_u32_e32 v13, v12
	v_min_u32_e32 v13, 32, v13
	v_lshlrev_b64 v[11:12], v13, v[11:12]
	v_min_u32_e32 v11, 1, v11
	v_or_b32_e32 v11, v12, v11
	v_cvt_f32_u32_e32 v11, v11
	v_sub_u32_e32 v12, 32, v13
	v_ldexp_f32 v11, v11, v12
	v_cvt_f16_f32_e32 v11, v11
	s_branch .LBB24_1329
.LBB24_1327:
	s_mov_b64 s[0:1], -1
                                        ; implicit-def: $vgpr11
.LBB24_1328:
	s_mov_b64 s[14:15], 0
.LBB24_1329:
	s_and_b64 vcc, exec, s[14:15]
	s_cbranch_vccz .LBB24_1347
; %bb.1330:
	s_cmp_lt_i32 s22, 27
	s_cbranch_scc1 .LBB24_1333
; %bb.1331:
	s_cmp_gt_i32 s22, 27
	s_cbranch_scc0 .LBB24_1334
; %bb.1332:
	global_load_dword v11, v[0:1], off
	s_mov_b64 s[4:5], 0
	s_waitcnt vmcnt(0)
	v_cvt_f32_u32_e32 v11, v11
	v_cvt_f16_f32_e32 v11, v11
	s_branch .LBB24_1335
.LBB24_1333:
	s_mov_b64 s[4:5], -1
                                        ; implicit-def: $vgpr11
	s_branch .LBB24_1338
.LBB24_1334:
	s_mov_b64 s[4:5], -1
                                        ; implicit-def: $vgpr11
.LBB24_1335:
	s_andn2_b64 vcc, exec, s[4:5]
	s_cbranch_vccnz .LBB24_1337
; %bb.1336:
	global_load_ushort v11, v[0:1], off
	s_waitcnt vmcnt(0)
	v_cvt_f16_u16_e32 v11, v11
.LBB24_1337:
	s_mov_b64 s[4:5], 0
.LBB24_1338:
	s_andn2_b64 vcc, exec, s[4:5]
	s_cbranch_vccnz .LBB24_1346
; %bb.1339:
	global_load_ubyte v12, v[0:1], off
	s_movk_i32 s4, 0x7f
	s_waitcnt vmcnt(0)
	v_cmp_lt_i16_e32 vcc, s4, v12
	s_mov_b64 s[4:5], 0
	s_and_saveexec_b64 s[14:15], vcc
	s_xor_b64 s[14:15], exec, s[14:15]
	s_cbranch_execz .LBB24_1360
; %bb.1340:
	s_movk_i32 s4, 0x80
	v_cmp_eq_u16_e32 vcc, s4, v12
	s_mov_b64 s[4:5], -1
	s_and_saveexec_b64 s[20:21], vcc
; %bb.1341:
	s_xor_b64 s[4:5], exec, -1
; %bb.1342:
	s_or_b64 exec, exec, s[20:21]
	s_and_b64 s[4:5], s[4:5], exec
	s_or_saveexec_b64 s[14:15], s[14:15]
	v_mov_b32_e32 v11, 0x7e00
	s_xor_b64 exec, exec, s[14:15]
	s_cbranch_execnz .LBB24_1361
.LBB24_1343:
	s_or_b64 exec, exec, s[14:15]
	s_and_saveexec_b64 s[14:15], s[4:5]
	s_cbranch_execz .LBB24_1345
.LBB24_1344:
	v_lshlrev_b32_e32 v11, 24, v12
	v_and_b32_e32 v12, 0xffff, v12
	v_and_b32_e32 v13, 7, v12
	v_ffbh_u32_e32 v16, v13
	v_min_u32_e32 v16, 32, v16
	v_subrev_u32_e32 v17, 28, v16
	v_bfe_u32 v14, v12, 3, 4
	v_lshlrev_b32_e32 v12, v17, v12
	v_sub_u32_e32 v16, 29, v16
	v_and_b32_e32 v12, 7, v12
	v_cmp_eq_u32_e32 vcc, 0, v14
	v_cndmask_b32_e32 v14, v14, v16, vcc
	v_cndmask_b32_e32 v12, v13, v12, vcc
	v_mov_b32_e32 v13, 0x3b800000
	v_lshlrev_b32_e32 v12, 20, v12
	v_and_b32_e32 v11, 0x80000000, v11
	v_lshl_add_u32 v13, v14, 23, v13
	v_or3_b32 v11, v11, v13, v12
	v_cvt_f16_f32_e32 v11, v11
.LBB24_1345:
	s_or_b64 exec, exec, s[14:15]
.LBB24_1346:
	s_mov_b64 s[4:5], -1
.LBB24_1347:
	s_mov_b64 s[14:15], 0
.LBB24_1348:
	s_and_b64 vcc, exec, s[14:15]
	s_cbranch_vccz .LBB24_1381
; %bb.1349:
	s_cmp_gt_i32 s22, 22
	s_cbranch_scc0 .LBB24_1359
; %bb.1350:
	s_cmp_lt_i32 s22, 24
	s_cbranch_scc1 .LBB24_1362
; %bb.1351:
	s_cmp_gt_i32 s22, 24
	s_cbranch_scc0 .LBB24_1363
; %bb.1352:
	global_load_ubyte v12, v[0:1], off
	s_movk_i32 s2, 0x7f
	s_waitcnt vmcnt(0)
	v_cmp_lt_i16_e32 vcc, s2, v12
	s_mov_b64 s[2:3], 0
	s_and_saveexec_b64 s[4:5], vcc
	s_xor_b64 s[4:5], exec, s[4:5]
	s_cbranch_execz .LBB24_1375
; %bb.1353:
	s_movk_i32 s2, 0x80
	v_cmp_eq_u16_e32 vcc, s2, v12
	s_mov_b64 s[2:3], -1
	s_and_saveexec_b64 s[14:15], vcc
; %bb.1354:
	s_xor_b64 s[2:3], exec, -1
; %bb.1355:
	s_or_b64 exec, exec, s[14:15]
	s_and_b64 s[2:3], s[2:3], exec
	s_or_saveexec_b64 s[4:5], s[4:5]
	v_mov_b32_e32 v11, 0x7e00
	s_xor_b64 exec, exec, s[4:5]
	s_cbranch_execnz .LBB24_1376
.LBB24_1356:
	s_or_b64 exec, exec, s[4:5]
	s_and_saveexec_b64 s[4:5], s[2:3]
	s_cbranch_execz .LBB24_1358
.LBB24_1357:
	v_lshlrev_b32_e32 v11, 24, v12
	v_and_b32_e32 v12, 0xffff, v12
	v_and_b32_e32 v13, 3, v12
	v_ffbh_u32_e32 v16, v13
	v_min_u32_e32 v16, 32, v16
	v_subrev_u32_e32 v17, 29, v16
	v_bfe_u32 v14, v12, 2, 5
	v_lshlrev_b32_e32 v12, v17, v12
	v_sub_u32_e32 v16, 30, v16
	v_and_b32_e32 v12, 3, v12
	v_cmp_eq_u32_e32 vcc, 0, v14
	v_cndmask_b32_e32 v14, v14, v16, vcc
	v_cndmask_b32_e32 v12, v13, v12, vcc
	v_mov_b32_e32 v13, 0x37800000
	v_lshlrev_b32_e32 v12, 21, v12
	v_and_b32_e32 v11, 0x80000000, v11
	v_lshl_add_u32 v13, v14, 23, v13
	v_or3_b32 v11, v11, v13, v12
	v_cvt_f16_f32_e32 v11, v11
.LBB24_1358:
	s_or_b64 exec, exec, s[4:5]
	s_mov_b64 s[2:3], 0
	s_branch .LBB24_1364
.LBB24_1359:
	s_mov_b64 s[2:3], -1
                                        ; implicit-def: $vgpr11
	s_branch .LBB24_1370
.LBB24_1360:
	s_or_saveexec_b64 s[14:15], s[14:15]
	v_mov_b32_e32 v11, 0x7e00
	s_xor_b64 exec, exec, s[14:15]
	s_cbranch_execz .LBB24_1343
.LBB24_1361:
	v_cmp_ne_u16_e32 vcc, 0, v12
	s_andn2_b64 s[4:5], s[4:5], exec
	s_and_b64 s[20:21], vcc, exec
	s_or_b64 s[4:5], s[4:5], s[20:21]
	v_mov_b32_e32 v11, v12
	s_or_b64 exec, exec, s[14:15]
	s_and_saveexec_b64 s[14:15], s[4:5]
	s_cbranch_execnz .LBB24_1344
	s_branch .LBB24_1345
.LBB24_1362:
	s_mov_b64 s[2:3], -1
                                        ; implicit-def: $vgpr11
	s_branch .LBB24_1367
.LBB24_1363:
	s_mov_b64 s[2:3], -1
                                        ; implicit-def: $vgpr11
.LBB24_1364:
	s_and_b64 vcc, exec, s[2:3]
	s_cbranch_vccz .LBB24_1366
; %bb.1365:
	global_load_ubyte v11, v[0:1], off
	s_mov_b32 s2, 0x7f800000
	s_waitcnt vmcnt(0)
	v_lshlrev_b32_e32 v11, 24, v11
	v_and_b32_e32 v12, 0x7f000000, v11
	v_ffbh_u32_e32 v13, v12
	v_min_u32_e32 v13, 32, v13
	v_sub_u32_e64 v13, v13, 4 clamp
	v_lshlrev_b32_e32 v16, v13, v12
	v_lshlrev_b32_e32 v13, 23, v13
	v_lshrrev_b32_e32 v16, 4, v16
	v_add_u32_e32 v14, 0x1000000, v12
	v_sub_u32_e32 v13, v16, v13
	v_ashrrev_i32_e32 v14, 8, v14
	v_add_u32_e32 v13, 0x3c000000, v13
	v_and_or_b32 v13, v14, s2, v13
	v_cmp_ne_u32_e32 vcc, 0, v12
	v_cndmask_b32_e32 v12, 0, v13, vcc
	s_brev_b32 s2, 1
	v_and_or_b32 v11, v11, s2, v12
	v_cvt_f16_f32_e32 v11, v11
.LBB24_1366:
	s_mov_b64 s[2:3], 0
.LBB24_1367:
	s_andn2_b64 vcc, exec, s[2:3]
	s_cbranch_vccnz .LBB24_1369
; %bb.1368:
	global_load_ubyte v11, v[0:1], off
	s_movk_i32 s2, 0x7f00
	s_brev_b32 s3, 16
	s_waitcnt vmcnt(0)
	v_lshlrev_b16_e32 v12, 8, v11
	v_lshlrev_b32_e32 v11, 25, v11
	v_lshrrev_b32_e32 v13, 4, v11
	v_and_or_b32 v14, v12, s2, 0.5
	v_or_b32_e32 v13, 0x70000000, v13
	v_add_f32_e32 v14, -0.5, v14
	v_mul_f32_e32 v13, 0x7800000, v13
	v_cmp_gt_u32_e32 vcc, s3, v11
	v_bfe_i32 v12, v12, 0, 16
	v_cndmask_b32_e32 v11, v13, v14, vcc
	s_brev_b32 s2, 1
	v_and_or_b32 v11, v12, s2, v11
	v_cvt_f16_f32_e32 v11, v11
.LBB24_1369:
	s_mov_b64 s[2:3], 0
	s_mov_b64 s[4:5], -1
.LBB24_1370:
	s_andn2_b64 vcc, exec, s[2:3]
	s_mov_b64 s[2:3], 0
	s_cbranch_vccnz .LBB24_1381
; %bb.1371:
	s_cmp_gt_i32 s22, 14
	s_cbranch_scc0 .LBB24_1374
; %bb.1372:
	s_cmp_eq_u32 s22, 15
	s_cbranch_scc0 .LBB24_1377
; %bb.1373:
	global_load_ushort v11, v[0:1], off
	s_mov_b64 s[0:1], 0
	s_mov_b64 s[4:5], -1
	s_waitcnt vmcnt(0)
	v_lshlrev_b32_e32 v11, 16, v11
	v_cvt_f16_f32_e32 v11, v11
	s_branch .LBB24_1378
.LBB24_1374:
	s_mov_b64 s[14:15], -1
                                        ; implicit-def: $vgpr11
	s_branch .LBB24_1379
.LBB24_1375:
	s_or_saveexec_b64 s[4:5], s[4:5]
	v_mov_b32_e32 v11, 0x7e00
	s_xor_b64 exec, exec, s[4:5]
	s_cbranch_execz .LBB24_1356
.LBB24_1376:
	v_cmp_ne_u16_e32 vcc, 0, v12
	s_andn2_b64 s[2:3], s[2:3], exec
	s_and_b64 s[14:15], vcc, exec
	s_or_b64 s[2:3], s[2:3], s[14:15]
	v_mov_b32_e32 v11, v12
	s_or_b64 exec, exec, s[4:5]
	s_and_saveexec_b64 s[4:5], s[2:3]
	s_cbranch_execnz .LBB24_1357
	s_branch .LBB24_1358
.LBB24_1377:
	s_mov_b64 s[0:1], -1
                                        ; implicit-def: $vgpr11
.LBB24_1378:
	s_mov_b64 s[14:15], 0
.LBB24_1379:
	s_and_b64 vcc, exec, s[14:15]
	s_cbranch_vccz .LBB24_1381
; %bb.1380:
	s_cmp_lg_u32 s22, 11
	s_mov_b64 s[2:3], -1
	s_cselect_b64 s[0:1], -1, 0
.LBB24_1381:
	s_and_b64 vcc, exec, s[0:1]
	s_cbranch_vccnz .LBB24_1448
; %bb.1382:
	s_andn2_b64 vcc, exec, s[2:3]
	s_cbranch_vccnz .LBB24_1384
.LBB24_1383:
	global_load_ubyte v11, v[0:1], off
	v_mov_b32_e32 v12, 0x3c00
	s_mov_b64 s[4:5], -1
	s_waitcnt vmcnt(0)
	v_cmp_ne_u16_e32 vcc, 0, v11
	v_cndmask_b32_e32 v11, 0, v12, vcc
.LBB24_1384:
	s_branch .LBB24_1312
.LBB24_1385:
	s_cmp_lt_i32 s22, 5
	s_cbranch_scc1 .LBB24_1390
; %bb.1386:
	s_cmp_lt_i32 s22, 8
	s_cbranch_scc1 .LBB24_1391
; %bb.1387:
	;; [unrolled: 3-line block ×3, first 2 shown]
	s_cmp_gt_i32 s22, 9
	s_cbranch_scc0 .LBB24_1393
; %bb.1389:
	global_load_dwordx2 v[11:12], v[0:1], off
	s_movk_i32 s0, 0x1ff
	s_movk_i32 s1, 0xffe
	v_mov_b32_e32 v13, 0x7c00
	v_mov_b32_e32 v14, 0x7e00
	s_movk_i32 s2, 0x40f
	s_mov_b32 s3, 0x8000
	s_waitcnt vmcnt(0)
	v_and_or_b32 v11, v12, s0, v11
	v_cmp_ne_u32_e32 vcc, 0, v11
	v_lshrrev_b32_e32 v16, 8, v12
	v_bfe_u32 v17, v12, 20, 11
	v_cndmask_b32_e64 v11, 0, 1, vcc
	v_sub_u32_e32 v18, 0x3f1, v17
	v_and_or_b32 v11, v16, s1, v11
	v_add_u32_e32 v17, 0xfffffc10, v17
	v_med3_i32 v16, v18, 0, 13
	v_or_b32_e32 v18, 0x1000, v11
	v_cmp_ne_u32_e32 vcc, 0, v11
	v_lshl_or_b32 v19, v17, 12, v11
	v_cndmask_b32_e32 v11, v13, v14, vcc
	v_lshrrev_b32_e32 v14, v16, v18
	v_lshlrev_b32_e32 v16, v16, v14
	v_cmp_ne_u32_e32 vcc, v16, v18
	v_cndmask_b32_e64 v16, 0, 1, vcc
	v_or_b32_e32 v14, v14, v16
	v_cmp_gt_i32_e32 vcc, 1, v17
	v_cndmask_b32_e32 v14, v19, v14, vcc
	v_and_b32_e32 v16, 7, v14
	v_cmp_lt_i32_e32 vcc, 5, v16
	v_cndmask_b32_e64 v18, 0, 1, vcc
	v_cmp_eq_u32_e32 vcc, 3, v16
	v_cndmask_b32_e64 v16, 0, 1, vcc
	v_lshrrev_b32_e32 v14, 2, v14
	v_or_b32_e32 v16, v16, v18
	v_add_u32_e32 v14, v14, v16
	v_cmp_gt_i32_e32 vcc, 31, v17
	v_cndmask_b32_e32 v13, v13, v14, vcc
	v_cmp_eq_u32_e32 vcc, s2, v17
	v_lshrrev_b32_e32 v12, 16, v12
	v_cndmask_b32_e32 v11, v13, v11, vcc
	v_and_or_b32 v11, v12, s3, v11
	s_mov_b64 s[0:1], 0
	s_branch .LBB24_1394
.LBB24_1390:
	s_mov_b64 s[0:1], -1
                                        ; implicit-def: $vgpr11
	s_branch .LBB24_1412
.LBB24_1391:
	s_mov_b64 s[0:1], -1
                                        ; implicit-def: $vgpr11
	s_branch .LBB24_1400
.LBB24_1392:
	s_mov_b64 s[0:1], -1
                                        ; implicit-def: $vgpr11
	s_branch .LBB24_1397
.LBB24_1393:
	s_mov_b64 s[0:1], -1
                                        ; implicit-def: $vgpr11
.LBB24_1394:
	s_andn2_b64 vcc, exec, s[0:1]
	s_cbranch_vccnz .LBB24_1396
; %bb.1395:
	global_load_dword v11, v[0:1], off
	s_waitcnt vmcnt(0)
	v_cvt_f16_f32_e32 v11, v11
.LBB24_1396:
	s_mov_b64 s[0:1], 0
.LBB24_1397:
	s_andn2_b64 vcc, exec, s[0:1]
	s_cbranch_vccnz .LBB24_1399
; %bb.1398:
	global_load_dword v11, v[0:1], off
.LBB24_1399:
	s_mov_b64 s[0:1], 0
.LBB24_1400:
	s_andn2_b64 vcc, exec, s[0:1]
	s_cbranch_vccnz .LBB24_1411
; %bb.1401:
	s_cmp_lt_i32 s22, 6
	s_cbranch_scc1 .LBB24_1404
; %bb.1402:
	s_cmp_gt_i32 s22, 6
	s_cbranch_scc0 .LBB24_1405
; %bb.1403:
	global_load_dwordx2 v[11:12], v[0:1], off
	s_movk_i32 s0, 0x1ff
	s_movk_i32 s1, 0xffe
	v_mov_b32_e32 v13, 0x7c00
	v_mov_b32_e32 v14, 0x7e00
	s_movk_i32 s2, 0x40f
	s_mov_b32 s3, 0x8000
	s_waitcnt vmcnt(0)
	v_and_or_b32 v11, v12, s0, v11
	v_cmp_ne_u32_e32 vcc, 0, v11
	v_lshrrev_b32_e32 v16, 8, v12
	v_bfe_u32 v17, v12, 20, 11
	v_cndmask_b32_e64 v11, 0, 1, vcc
	v_sub_u32_e32 v18, 0x3f1, v17
	v_and_or_b32 v11, v16, s1, v11
	v_add_u32_e32 v17, 0xfffffc10, v17
	v_med3_i32 v16, v18, 0, 13
	v_or_b32_e32 v18, 0x1000, v11
	v_cmp_ne_u32_e32 vcc, 0, v11
	v_lshl_or_b32 v19, v17, 12, v11
	v_cndmask_b32_e32 v11, v13, v14, vcc
	v_lshrrev_b32_e32 v14, v16, v18
	v_lshlrev_b32_e32 v16, v16, v14
	v_cmp_ne_u32_e32 vcc, v16, v18
	v_cndmask_b32_e64 v16, 0, 1, vcc
	v_or_b32_e32 v14, v14, v16
	v_cmp_gt_i32_e32 vcc, 1, v17
	v_cndmask_b32_e32 v14, v19, v14, vcc
	v_and_b32_e32 v16, 7, v14
	v_cmp_lt_i32_e32 vcc, 5, v16
	v_cndmask_b32_e64 v18, 0, 1, vcc
	v_cmp_eq_u32_e32 vcc, 3, v16
	v_cndmask_b32_e64 v16, 0, 1, vcc
	v_lshrrev_b32_e32 v14, 2, v14
	v_or_b32_e32 v16, v16, v18
	v_add_u32_e32 v14, v14, v16
	v_cmp_gt_i32_e32 vcc, 31, v17
	v_cndmask_b32_e32 v13, v13, v14, vcc
	v_cmp_eq_u32_e32 vcc, s2, v17
	v_lshrrev_b32_e32 v12, 16, v12
	v_cndmask_b32_e32 v11, v13, v11, vcc
	v_and_or_b32 v11, v12, s3, v11
	s_mov_b64 s[0:1], 0
	s_branch .LBB24_1406
.LBB24_1404:
	s_mov_b64 s[0:1], -1
                                        ; implicit-def: $vgpr11
	s_branch .LBB24_1409
.LBB24_1405:
	s_mov_b64 s[0:1], -1
                                        ; implicit-def: $vgpr11
.LBB24_1406:
	s_andn2_b64 vcc, exec, s[0:1]
	s_cbranch_vccnz .LBB24_1408
; %bb.1407:
	global_load_dword v11, v[0:1], off
	s_waitcnt vmcnt(0)
	v_cvt_f16_f32_e32 v11, v11
.LBB24_1408:
	s_mov_b64 s[0:1], 0
.LBB24_1409:
	s_andn2_b64 vcc, exec, s[0:1]
	s_cbranch_vccnz .LBB24_1411
; %bb.1410:
	global_load_ushort v11, v[0:1], off
.LBB24_1411:
	s_mov_b64 s[0:1], 0
.LBB24_1412:
	s_andn2_b64 vcc, exec, s[0:1]
	s_cbranch_vccnz .LBB24_1432
; %bb.1413:
	s_cmp_lt_i32 s22, 2
	s_cbranch_scc1 .LBB24_1417
; %bb.1414:
	s_cmp_lt_i32 s22, 3
	s_cbranch_scc1 .LBB24_1418
; %bb.1415:
	s_cmp_gt_i32 s22, 3
	s_cbranch_scc0 .LBB24_1419
; %bb.1416:
	global_load_dwordx2 v[11:12], v[0:1], off
	s_mov_b64 s[0:1], 0
	s_waitcnt vmcnt(0)
	v_xor_b32_e32 v14, v11, v12
	v_ffbh_i32_e32 v13, v12
	v_ashrrev_i32_e32 v14, 31, v14
	v_add_u32_e32 v13, -1, v13
	v_add_u32_e32 v14, 32, v14
	v_min_u32_e32 v13, v13, v14
	v_lshlrev_b64 v[11:12], v13, v[11:12]
	v_min_u32_e32 v11, 1, v11
	v_or_b32_e32 v11, v12, v11
	v_cvt_f32_i32_e32 v11, v11
	v_sub_u32_e32 v12, 32, v13
	v_ldexp_f32 v11, v11, v12
	v_cvt_f16_f32_e32 v11, v11
	s_branch .LBB24_1420
.LBB24_1417:
	s_mov_b64 s[0:1], -1
                                        ; implicit-def: $vgpr11
	s_branch .LBB24_1426
.LBB24_1418:
	s_mov_b64 s[0:1], -1
                                        ; implicit-def: $vgpr11
	s_branch .LBB24_1423
.LBB24_1419:
	s_mov_b64 s[0:1], -1
                                        ; implicit-def: $vgpr11
.LBB24_1420:
	s_andn2_b64 vcc, exec, s[0:1]
	s_cbranch_vccnz .LBB24_1422
; %bb.1421:
	global_load_dword v11, v[0:1], off
	s_waitcnt vmcnt(0)
	v_cvt_f32_i32_e32 v11, v11
	v_cvt_f16_f32_e32 v11, v11
.LBB24_1422:
	s_mov_b64 s[0:1], 0
.LBB24_1423:
	s_andn2_b64 vcc, exec, s[0:1]
	s_cbranch_vccnz .LBB24_1425
; %bb.1424:
	global_load_ushort v11, v[0:1], off
	s_waitcnt vmcnt(0)
	v_cvt_f16_i16_e32 v11, v11
.LBB24_1425:
	s_mov_b64 s[0:1], 0
.LBB24_1426:
	s_andn2_b64 vcc, exec, s[0:1]
	s_cbranch_vccnz .LBB24_1432
; %bb.1427:
	s_cmp_gt_i32 s22, 0
	s_cbranch_scc0 .LBB24_1429
; %bb.1428:
	global_load_sbyte v11, v[0:1], off
	s_mov_b64 s[0:1], 0
	s_waitcnt vmcnt(0)
	v_cvt_f16_i16_e32 v11, v11
	s_branch .LBB24_1430
.LBB24_1429:
	s_mov_b64 s[0:1], -1
                                        ; implicit-def: $vgpr11
.LBB24_1430:
	s_andn2_b64 vcc, exec, s[0:1]
	s_cbranch_vccnz .LBB24_1432
; %bb.1431:
	global_load_ubyte v0, v[0:1], off
	s_waitcnt vmcnt(0)
	v_cvt_f16_u16_e32 v11, v0
.LBB24_1432:
.LBB24_1433:
	s_waitcnt vmcnt(0)
	v_cvt_f32_f16_e32 v11, v11
	s_brev_b32 s0, 18
                                        ; implicit-def: $vgpr13
                                        ; implicit-def: $vgpr14
	v_and_b32_e32 v12, 0x7fffffff, v11
	v_cmp_nlt_f32_e64 s[0:1], |v11|, s0
	s_and_saveexec_b64 s[2:3], s[0:1]
	s_xor_b64 s[14:15], exec, s[2:3]
	s_cbranch_execz .LBB24_1435
; %bb.1434:
	v_and_b32_e32 v0, 0x7fffff, v12
	v_or_b32_e32 v22, 0x800000, v0
	s_mov_b32 s0, 0xfe5163ab
	v_mad_u64_u32 v[0:1], s[0:1], v22, s0, 0
	v_mov_b32_e32 v14, 0
	s_mov_b32 s0, 0x3c439041
	v_mov_b32_e32 v13, v1
	v_mad_u64_u32 v[16:17], s[0:1], v22, s0, v[13:14]
	s_mov_b32 s0, 0xdb629599
	v_lshrrev_b32_e32 v1, 23, v12
	v_mov_b32_e32 v13, v17
	v_mad_u64_u32 v[17:18], s[0:1], v22, s0, v[13:14]
	s_mov_b32 s0, 0xf534ddc0
	v_add_u32_e32 v1, 0xffffff88, v1
	v_mov_b32_e32 v13, v18
	v_mad_u64_u32 v[18:19], s[0:1], v22, s0, v[13:14]
	s_mov_b32 s0, 0xfc2757d1
	v_not_b32_e32 v21, 63
	v_mov_b32_e32 v13, v19
	v_mad_u64_u32 v[19:20], s[0:1], v22, s0, v[13:14]
	v_cmp_lt_u32_e32 vcc, 63, v1
	v_cndmask_b32_e32 v13, 0, v21, vcc
	v_add_u32_e32 v1, v13, v1
	v_mov_b32_e32 v13, v20
	s_mov_b32 s0, 0x4e441529
	v_mad_u64_u32 v[20:21], s[0:1], v22, s0, v[13:14]
	v_not_b32_e32 v23, 31
	v_cmp_lt_u32_e64 s[0:1], 31, v1
	v_cndmask_b32_e64 v13, 0, v23, s[0:1]
	v_add_u32_e32 v1, v13, v1
	v_mov_b32_e32 v13, v21
	s_mov_b32 s2, 0xa2f9836e
	v_mad_u64_u32 v[13:14], s[2:3], v22, s2, v[13:14]
	v_cmp_lt_u32_e64 s[2:3], 31, v1
	v_cndmask_b32_e64 v21, 0, v23, s[2:3]
	v_add_u32_e32 v1, v21, v1
	v_cndmask_b32_e32 v21, v20, v18, vcc
	v_cndmask_b32_e32 v13, v13, v19, vcc
	;; [unrolled: 1-line block ×3, first 2 shown]
	v_cndmask_b32_e64 v22, v13, v21, s[0:1]
	v_cndmask_b32_e64 v13, v14, v13, s[0:1]
	v_cndmask_b32_e32 v14, v19, v17, vcc
	v_cndmask_b32_e64 v19, v21, v14, s[0:1]
	v_cndmask_b32_e64 v13, v13, v22, s[2:3]
	v_cndmask_b32_e64 v20, v22, v19, s[2:3]
	v_sub_u32_e32 v21, 32, v1
	v_alignbit_b32 v22, v13, v20, v21
	v_cmp_eq_u32_e64 s[4:5], 0, v1
	v_cndmask_b32_e64 v1, v22, v13, s[4:5]
	v_cndmask_b32_e32 v13, v18, v16, vcc
	v_cndmask_b32_e64 v14, v14, v13, s[0:1]
	v_cndmask_b32_e64 v16, v19, v14, s[2:3]
	v_alignbit_b32 v18, v20, v16, v21
	v_cndmask_b32_e32 v0, v17, v0, vcc
	v_cndmask_b32_e64 v18, v18, v20, s[4:5]
	v_bfe_u32 v22, v1, 29, 1
	v_cndmask_b32_e64 v0, v13, v0, s[0:1]
	v_alignbit_b32 v19, v1, v18, 30
	v_sub_u32_e32 v23, 0, v22
	v_cndmask_b32_e64 v0, v14, v0, s[2:3]
	v_xor_b32_e32 v19, v19, v23
	v_alignbit_b32 v13, v16, v0, v21
	v_cndmask_b32_e64 v13, v13, v16, s[4:5]
	v_ffbh_u32_e32 v16, v19
	v_alignbit_b32 v14, v18, v13, 30
	v_min_u32_e32 v16, 32, v16
	v_alignbit_b32 v0, v13, v0, 30
	v_xor_b32_e32 v14, v14, v23
	v_sub_u32_e32 v17, 31, v16
	v_xor_b32_e32 v0, v0, v23
	v_alignbit_b32 v18, v19, v14, v17
	v_alignbit_b32 v0, v14, v0, v17
	;; [unrolled: 1-line block ×3, first 2 shown]
	v_ffbh_u32_e32 v14, v13
	v_min_u32_e32 v14, 32, v14
	v_lshrrev_b32_e32 v20, 29, v1
	v_not_b32_e32 v17, v14
	v_alignbit_b32 v0, v13, v0, v17
	v_lshlrev_b32_e32 v13, 31, v20
	v_or_b32_e32 v17, 0x33000000, v13
	v_add_lshl_u32 v14, v14, v16, 23
	v_lshrrev_b32_e32 v0, 9, v0
	v_sub_u32_e32 v14, v17, v14
	v_or_b32_e32 v13, 0.5, v13
	v_lshlrev_b32_e32 v16, 23, v16
	v_or_b32_e32 v0, v14, v0
	v_lshrrev_b32_e32 v14, 9, v18
	v_sub_u32_e32 v13, v13, v16
	v_or_b32_e32 v13, v14, v13
	s_mov_b32 s0, 0x3fc90fda
	v_mul_f32_e32 v14, 0x3fc90fda, v13
	v_fma_f32 v16, v13, s0, -v14
	v_fmac_f32_e32 v16, 0x33a22168, v13
	v_fmac_f32_e32 v16, 0x3fc90fda, v0
	v_lshrrev_b32_e32 v0, 30, v1
	v_add_f32_e32 v14, v14, v16
	v_add_u32_e32 v13, v22, v0
.LBB24_1435:
	s_andn2_saveexec_b64 s[0:1], s[14:15]
	s_cbranch_execz .LBB24_1437
; %bb.1436:
	s_mov_b32 s2, 0x3f22f983
	v_mul_f32_e64 v0, |v11|, s2
	v_rndne_f32_e32 v0, v0
	s_mov_b32 s2, 0xbfc90fda
	v_cvt_i32_f32_e32 v13, v0
	v_fma_f32 v14, v0, s2, |v11|
	v_fmac_f32_e32 v14, 0xb3a22168, v0
	v_fmac_f32_e32 v14, 0xa7c234c4, v0
.LBB24_1437:
	s_or_b64 exec, exec, s[0:1]
	v_add_u32_e32 v0, s13, v15
	v_ashrrev_i32_e32 v1, 31, v0
	v_mov_b32_e32 v15, s11
	v_add_co_u32_e32 v0, vcc, s10, v0
	s_cmp_lt_i32 s22, 11
	v_addc_co_u32_e32 v1, vcc, v15, v1, vcc
	s_cbranch_scc1 .LBB24_1444
; %bb.1438:
	s_cmp_gt_i32 s22, 25
	s_mov_b64 s[2:3], 0
	s_cbranch_scc0 .LBB24_1445
; %bb.1439:
	s_cmp_gt_i32 s22, 28
	s_cbranch_scc0 .LBB24_1446
; %bb.1440:
	s_cmp_gt_i32 s22, 43
	s_cbranch_scc0 .LBB24_1447
; %bb.1441:
	s_cmp_gt_i32 s22, 45
	s_cbranch_scc0 .LBB24_1449
; %bb.1442:
	s_cmp_eq_u32 s22, 46
	s_mov_b64 s[10:11], 0
	s_cbranch_scc0 .LBB24_1450
; %bb.1443:
	global_load_dword v15, v[0:1], off
	s_mov_b64 s[0:1], 0
	s_mov_b64 s[4:5], -1
	s_waitcnt vmcnt(0)
	v_lshlrev_b32_e32 v15, 16, v15
	v_cvt_f16_f32_e32 v15, v15
	s_branch .LBB24_1451
.LBB24_1444:
	s_mov_b64 s[0:1], -1
	s_mov_b64 s[4:5], 0
                                        ; implicit-def: $vgpr15
	s_branch .LBB24_1517
.LBB24_1445:
	s_mov_b64 s[10:11], -1
	s_mov_b64 s[4:5], 0
	s_mov_b64 s[0:1], 0
                                        ; implicit-def: $vgpr15
	s_branch .LBB24_1480
.LBB24_1446:
	s_mov_b64 s[10:11], -1
	s_mov_b64 s[4:5], 0
	s_mov_b64 s[0:1], 0
                                        ; implicit-def: $vgpr15
	s_branch .LBB24_1461
.LBB24_1447:
	s_mov_b64 s[10:11], -1
	s_mov_b64 s[4:5], 0
	s_mov_b64 s[0:1], 0
                                        ; implicit-def: $vgpr15
	s_branch .LBB24_1456
.LBB24_1448:
	s_trap 2
	s_or_b64 s[18:19], s[18:19], exec
	s_cbranch_execz .LBB24_1383
	s_branch .LBB24_1384
.LBB24_1449:
	s_mov_b64 s[10:11], -1
	s_mov_b64 s[4:5], 0
	s_mov_b64 s[0:1], 0
                                        ; implicit-def: $vgpr15
	s_branch .LBB24_1451
.LBB24_1450:
	s_mov_b64 s[0:1], -1
                                        ; implicit-def: $vgpr15
	s_mov_b64 s[4:5], 0
.LBB24_1451:
	s_and_b64 vcc, exec, s[10:11]
	s_cbranch_vccz .LBB24_1455
; %bb.1452:
	s_cmp_eq_u32 s22, 44
	s_cbranch_scc0 .LBB24_1454
; %bb.1453:
	global_load_ubyte v15, v[0:1], off
	s_movk_i32 s4, 0xff
	v_mov_b32_e32 v17, 0x7e00
	s_mov_b64 s[0:1], 0
	s_waitcnt vmcnt(0)
	v_lshlrev_b32_e32 v16, 23, v15
	v_cvt_f16_f32_e32 v16, v16
	v_cmp_ne_u32_e32 vcc, s4, v15
	s_mov_b64 s[4:5], -1
	v_cndmask_b32_e32 v16, v17, v16, vcc
	v_cmp_ne_u32_e32 vcc, 0, v15
	v_cndmask_b32_e32 v15, 0, v16, vcc
	s_branch .LBB24_1455
.LBB24_1454:
	s_mov_b64 s[0:1], -1
                                        ; implicit-def: $vgpr15
.LBB24_1455:
	s_mov_b64 s[10:11], 0
.LBB24_1456:
	s_and_b64 vcc, exec, s[10:11]
	s_cbranch_vccz .LBB24_1460
; %bb.1457:
	s_cmp_eq_u32 s22, 29
	s_cbranch_scc0 .LBB24_1459
; %bb.1458:
	global_load_dwordx2 v[15:16], v[0:1], off
	s_mov_b64 s[0:1], 0
	s_mov_b64 s[4:5], -1
	s_mov_b64 s[10:11], 0
	s_waitcnt vmcnt(0)
	v_ffbh_u32_e32 v17, v16
	v_min_u32_e32 v17, 32, v17
	v_lshlrev_b64 v[15:16], v17, v[15:16]
	v_min_u32_e32 v15, 1, v15
	v_or_b32_e32 v15, v16, v15
	v_cvt_f32_u32_e32 v15, v15
	v_sub_u32_e32 v16, 32, v17
	v_ldexp_f32 v15, v15, v16
	v_cvt_f16_f32_e32 v15, v15
	s_branch .LBB24_1461
.LBB24_1459:
	s_mov_b64 s[0:1], -1
                                        ; implicit-def: $vgpr15
.LBB24_1460:
	s_mov_b64 s[10:11], 0
.LBB24_1461:
	s_and_b64 vcc, exec, s[10:11]
	s_cbranch_vccz .LBB24_1479
; %bb.1462:
	s_cmp_lt_i32 s22, 27
	s_cbranch_scc1 .LBB24_1465
; %bb.1463:
	s_cmp_gt_i32 s22, 27
	s_cbranch_scc0 .LBB24_1466
; %bb.1464:
	global_load_dword v15, v[0:1], off
	s_mov_b64 s[4:5], 0
	s_waitcnt vmcnt(0)
	v_cvt_f32_u32_e32 v15, v15
	v_cvt_f16_f32_e32 v15, v15
	s_branch .LBB24_1467
.LBB24_1465:
	s_mov_b64 s[4:5], -1
                                        ; implicit-def: $vgpr15
	s_branch .LBB24_1470
.LBB24_1466:
	s_mov_b64 s[4:5], -1
                                        ; implicit-def: $vgpr15
.LBB24_1467:
	s_andn2_b64 vcc, exec, s[4:5]
	s_cbranch_vccnz .LBB24_1469
; %bb.1468:
	global_load_ushort v15, v[0:1], off
	s_waitcnt vmcnt(0)
	v_cvt_f16_u16_e32 v15, v15
.LBB24_1469:
	s_mov_b64 s[4:5], 0
.LBB24_1470:
	s_andn2_b64 vcc, exec, s[4:5]
	s_cbranch_vccnz .LBB24_1478
; %bb.1471:
	global_load_ubyte v16, v[0:1], off
	s_movk_i32 s4, 0x7f
	s_waitcnt vmcnt(0)
	v_cmp_lt_i16_e32 vcc, s4, v16
	s_mov_b64 s[4:5], 0
	s_and_saveexec_b64 s[10:11], vcc
	s_xor_b64 s[10:11], exec, s[10:11]
	s_cbranch_execz .LBB24_1492
; %bb.1472:
	s_movk_i32 s4, 0x80
	v_cmp_eq_u16_e32 vcc, s4, v16
	s_mov_b64 s[4:5], -1
	s_and_saveexec_b64 s[14:15], vcc
; %bb.1473:
	s_xor_b64 s[4:5], exec, -1
; %bb.1474:
	s_or_b64 exec, exec, s[14:15]
	s_and_b64 s[4:5], s[4:5], exec
	s_or_saveexec_b64 s[10:11], s[10:11]
	v_mov_b32_e32 v15, 0x7e00
	s_xor_b64 exec, exec, s[10:11]
	s_cbranch_execnz .LBB24_1493
.LBB24_1475:
	s_or_b64 exec, exec, s[10:11]
	s_and_saveexec_b64 s[10:11], s[4:5]
	s_cbranch_execz .LBB24_1477
.LBB24_1476:
	v_lshlrev_b32_e32 v15, 24, v16
	v_and_b32_e32 v16, 0xffff, v16
	v_and_b32_e32 v17, 7, v16
	v_ffbh_u32_e32 v19, v17
	v_min_u32_e32 v19, 32, v19
	v_subrev_u32_e32 v20, 28, v19
	v_bfe_u32 v18, v16, 3, 4
	v_lshlrev_b32_e32 v16, v20, v16
	v_sub_u32_e32 v19, 29, v19
	v_and_b32_e32 v16, 7, v16
	v_cmp_eq_u32_e32 vcc, 0, v18
	v_cndmask_b32_e32 v18, v18, v19, vcc
	v_cndmask_b32_e32 v16, v17, v16, vcc
	v_mov_b32_e32 v17, 0x3b800000
	v_lshlrev_b32_e32 v16, 20, v16
	v_and_b32_e32 v15, 0x80000000, v15
	v_lshl_add_u32 v17, v18, 23, v17
	v_or3_b32 v15, v15, v17, v16
	v_cvt_f16_f32_e32 v15, v15
.LBB24_1477:
	s_or_b64 exec, exec, s[10:11]
.LBB24_1478:
	s_mov_b64 s[4:5], -1
.LBB24_1479:
	s_mov_b64 s[10:11], 0
.LBB24_1480:
	s_and_b64 vcc, exec, s[10:11]
	s_cbranch_vccz .LBB24_1513
; %bb.1481:
	s_cmp_gt_i32 s22, 22
	s_cbranch_scc0 .LBB24_1491
; %bb.1482:
	s_cmp_lt_i32 s22, 24
	s_cbranch_scc1 .LBB24_1494
; %bb.1483:
	s_cmp_gt_i32 s22, 24
	s_cbranch_scc0 .LBB24_1495
; %bb.1484:
	global_load_ubyte v16, v[0:1], off
	s_movk_i32 s2, 0x7f
	s_waitcnt vmcnt(0)
	v_cmp_lt_i16_e32 vcc, s2, v16
	s_mov_b64 s[2:3], 0
	s_and_saveexec_b64 s[4:5], vcc
	s_xor_b64 s[4:5], exec, s[4:5]
	s_cbranch_execz .LBB24_1507
; %bb.1485:
	s_movk_i32 s2, 0x80
	v_cmp_eq_u16_e32 vcc, s2, v16
	s_mov_b64 s[2:3], -1
	s_and_saveexec_b64 s[10:11], vcc
; %bb.1486:
	s_xor_b64 s[2:3], exec, -1
; %bb.1487:
	s_or_b64 exec, exec, s[10:11]
	s_and_b64 s[2:3], s[2:3], exec
	s_or_saveexec_b64 s[4:5], s[4:5]
	v_mov_b32_e32 v15, 0x7e00
	s_xor_b64 exec, exec, s[4:5]
	s_cbranch_execnz .LBB24_1508
.LBB24_1488:
	s_or_b64 exec, exec, s[4:5]
	s_and_saveexec_b64 s[4:5], s[2:3]
	s_cbranch_execz .LBB24_1490
.LBB24_1489:
	v_lshlrev_b32_e32 v15, 24, v16
	v_and_b32_e32 v16, 0xffff, v16
	v_and_b32_e32 v17, 3, v16
	v_ffbh_u32_e32 v19, v17
	v_min_u32_e32 v19, 32, v19
	v_subrev_u32_e32 v20, 29, v19
	v_bfe_u32 v18, v16, 2, 5
	v_lshlrev_b32_e32 v16, v20, v16
	v_sub_u32_e32 v19, 30, v19
	v_and_b32_e32 v16, 3, v16
	v_cmp_eq_u32_e32 vcc, 0, v18
	v_cndmask_b32_e32 v18, v18, v19, vcc
	v_cndmask_b32_e32 v16, v17, v16, vcc
	v_mov_b32_e32 v17, 0x37800000
	v_lshlrev_b32_e32 v16, 21, v16
	v_and_b32_e32 v15, 0x80000000, v15
	v_lshl_add_u32 v17, v18, 23, v17
	v_or3_b32 v15, v15, v17, v16
	v_cvt_f16_f32_e32 v15, v15
.LBB24_1490:
	s_or_b64 exec, exec, s[4:5]
	s_mov_b64 s[2:3], 0
	s_branch .LBB24_1496
.LBB24_1491:
	s_mov_b64 s[2:3], -1
                                        ; implicit-def: $vgpr15
	s_branch .LBB24_1502
.LBB24_1492:
	s_or_saveexec_b64 s[10:11], s[10:11]
	v_mov_b32_e32 v15, 0x7e00
	s_xor_b64 exec, exec, s[10:11]
	s_cbranch_execz .LBB24_1475
.LBB24_1493:
	v_cmp_ne_u16_e32 vcc, 0, v16
	s_andn2_b64 s[4:5], s[4:5], exec
	s_and_b64 s[14:15], vcc, exec
	s_or_b64 s[4:5], s[4:5], s[14:15]
	v_mov_b32_e32 v15, v16
	s_or_b64 exec, exec, s[10:11]
	s_and_saveexec_b64 s[10:11], s[4:5]
	s_cbranch_execnz .LBB24_1476
	s_branch .LBB24_1477
.LBB24_1494:
	s_mov_b64 s[2:3], -1
                                        ; implicit-def: $vgpr15
	s_branch .LBB24_1499
.LBB24_1495:
	s_mov_b64 s[2:3], -1
                                        ; implicit-def: $vgpr15
.LBB24_1496:
	s_and_b64 vcc, exec, s[2:3]
	s_cbranch_vccz .LBB24_1498
; %bb.1497:
	global_load_ubyte v15, v[0:1], off
	s_mov_b32 s2, 0x7f800000
	s_waitcnt vmcnt(0)
	v_lshlrev_b32_e32 v15, 24, v15
	v_and_b32_e32 v16, 0x7f000000, v15
	v_ffbh_u32_e32 v17, v16
	v_min_u32_e32 v17, 32, v17
	v_sub_u32_e64 v17, v17, 4 clamp
	v_lshlrev_b32_e32 v19, v17, v16
	v_lshlrev_b32_e32 v17, 23, v17
	v_lshrrev_b32_e32 v19, 4, v19
	v_add_u32_e32 v18, 0x1000000, v16
	v_sub_u32_e32 v17, v19, v17
	v_ashrrev_i32_e32 v18, 8, v18
	v_add_u32_e32 v17, 0x3c000000, v17
	v_and_or_b32 v17, v18, s2, v17
	v_cmp_ne_u32_e32 vcc, 0, v16
	v_cndmask_b32_e32 v16, 0, v17, vcc
	s_brev_b32 s2, 1
	v_and_or_b32 v15, v15, s2, v16
	v_cvt_f16_f32_e32 v15, v15
.LBB24_1498:
	s_mov_b64 s[2:3], 0
.LBB24_1499:
	s_andn2_b64 vcc, exec, s[2:3]
	s_cbranch_vccnz .LBB24_1501
; %bb.1500:
	global_load_ubyte v15, v[0:1], off
	s_movk_i32 s2, 0x7f00
	s_brev_b32 s3, 16
	s_waitcnt vmcnt(0)
	v_lshlrev_b16_e32 v16, 8, v15
	v_lshlrev_b32_e32 v15, 25, v15
	v_lshrrev_b32_e32 v17, 4, v15
	v_and_or_b32 v18, v16, s2, 0.5
	v_or_b32_e32 v17, 0x70000000, v17
	v_add_f32_e32 v18, -0.5, v18
	v_mul_f32_e32 v17, 0x7800000, v17
	v_cmp_gt_u32_e32 vcc, s3, v15
	v_bfe_i32 v16, v16, 0, 16
	v_cndmask_b32_e32 v15, v17, v18, vcc
	s_brev_b32 s2, 1
	v_and_or_b32 v15, v16, s2, v15
	v_cvt_f16_f32_e32 v15, v15
.LBB24_1501:
	s_mov_b64 s[2:3], 0
	s_mov_b64 s[4:5], -1
.LBB24_1502:
	s_andn2_b64 vcc, exec, s[2:3]
	s_mov_b64 s[2:3], 0
	s_cbranch_vccnz .LBB24_1513
; %bb.1503:
	s_cmp_gt_i32 s22, 14
	s_cbranch_scc0 .LBB24_1506
; %bb.1504:
	s_cmp_eq_u32 s22, 15
	s_cbranch_scc0 .LBB24_1509
; %bb.1505:
	global_load_ushort v15, v[0:1], off
	s_mov_b64 s[0:1], 0
	s_mov_b64 s[4:5], -1
	s_waitcnt vmcnt(0)
	v_lshlrev_b32_e32 v15, 16, v15
	v_cvt_f16_f32_e32 v15, v15
	s_branch .LBB24_1510
.LBB24_1506:
	s_mov_b64 s[10:11], -1
                                        ; implicit-def: $vgpr15
	s_branch .LBB24_1511
.LBB24_1507:
	s_or_saveexec_b64 s[4:5], s[4:5]
	v_mov_b32_e32 v15, 0x7e00
	s_xor_b64 exec, exec, s[4:5]
	s_cbranch_execz .LBB24_1488
.LBB24_1508:
	v_cmp_ne_u16_e32 vcc, 0, v16
	s_andn2_b64 s[2:3], s[2:3], exec
	s_and_b64 s[10:11], vcc, exec
	s_or_b64 s[2:3], s[2:3], s[10:11]
	v_mov_b32_e32 v15, v16
	s_or_b64 exec, exec, s[4:5]
	s_and_saveexec_b64 s[4:5], s[2:3]
	s_cbranch_execnz .LBB24_1489
	s_branch .LBB24_1490
.LBB24_1509:
	s_mov_b64 s[0:1], -1
                                        ; implicit-def: $vgpr15
.LBB24_1510:
	s_mov_b64 s[10:11], 0
.LBB24_1511:
	s_and_b64 vcc, exec, s[10:11]
	s_cbranch_vccz .LBB24_1513
; %bb.1512:
	s_cmp_lg_u32 s22, 11
	s_mov_b64 s[2:3], -1
	s_cselect_b64 s[0:1], -1, 0
.LBB24_1513:
	s_and_b64 vcc, exec, s[0:1]
	s_cbranch_vccnz .LBB24_2050
; %bb.1514:
	s_andn2_b64 vcc, exec, s[2:3]
	s_cbranch_vccnz .LBB24_1516
.LBB24_1515:
	global_load_ubyte v15, v[0:1], off
	v_mov_b32_e32 v16, 0x3c00
	s_mov_b64 s[4:5], -1
	s_waitcnt vmcnt(0)
	v_cmp_ne_u16_e32 vcc, 0, v15
	v_cndmask_b32_e32 v15, 0, v16, vcc
.LBB24_1516:
	s_mov_b64 s[0:1], 0
.LBB24_1517:
	s_and_b64 vcc, exec, s[0:1]
	s_cbranch_vccz .LBB24_1566
; %bb.1518:
	s_cmp_lt_i32 s22, 5
	s_cbranch_scc1 .LBB24_1523
; %bb.1519:
	s_cmp_lt_i32 s22, 8
	s_cbranch_scc1 .LBB24_1524
	;; [unrolled: 3-line block ×3, first 2 shown]
; %bb.1521:
	s_cmp_gt_i32 s22, 9
	s_cbranch_scc0 .LBB24_1526
; %bb.1522:
	global_load_dwordx2 v[15:16], v[0:1], off
	s_movk_i32 s0, 0x1ff
	s_movk_i32 s1, 0xffe
	v_mov_b32_e32 v17, 0x7c00
	v_mov_b32_e32 v18, 0x7e00
	s_movk_i32 s2, 0x40f
	s_mov_b32 s3, 0x8000
	s_waitcnt vmcnt(0)
	v_and_or_b32 v15, v16, s0, v15
	v_cmp_ne_u32_e32 vcc, 0, v15
	v_lshrrev_b32_e32 v19, 8, v16
	v_bfe_u32 v20, v16, 20, 11
	v_cndmask_b32_e64 v15, 0, 1, vcc
	v_sub_u32_e32 v21, 0x3f1, v20
	v_and_or_b32 v15, v19, s1, v15
	v_add_u32_e32 v20, 0xfffffc10, v20
	v_med3_i32 v19, v21, 0, 13
	v_or_b32_e32 v21, 0x1000, v15
	v_cmp_ne_u32_e32 vcc, 0, v15
	v_lshl_or_b32 v22, v20, 12, v15
	v_cndmask_b32_e32 v15, v17, v18, vcc
	v_lshrrev_b32_e32 v18, v19, v21
	v_lshlrev_b32_e32 v19, v19, v18
	v_cmp_ne_u32_e32 vcc, v19, v21
	v_cndmask_b32_e64 v19, 0, 1, vcc
	v_or_b32_e32 v18, v18, v19
	v_cmp_gt_i32_e32 vcc, 1, v20
	v_cndmask_b32_e32 v18, v22, v18, vcc
	v_and_b32_e32 v19, 7, v18
	v_cmp_lt_i32_e32 vcc, 5, v19
	v_cndmask_b32_e64 v21, 0, 1, vcc
	v_cmp_eq_u32_e32 vcc, 3, v19
	v_cndmask_b32_e64 v19, 0, 1, vcc
	v_lshrrev_b32_e32 v18, 2, v18
	v_or_b32_e32 v19, v19, v21
	v_add_u32_e32 v18, v18, v19
	v_cmp_gt_i32_e32 vcc, 31, v20
	v_cndmask_b32_e32 v17, v17, v18, vcc
	v_cmp_eq_u32_e32 vcc, s2, v20
	v_lshrrev_b32_e32 v16, 16, v16
	v_cndmask_b32_e32 v15, v17, v15, vcc
	v_and_or_b32 v15, v16, s3, v15
	s_mov_b64 s[0:1], 0
	s_branch .LBB24_1527
.LBB24_1523:
	s_mov_b64 s[0:1], -1
                                        ; implicit-def: $vgpr15
	s_branch .LBB24_1545
.LBB24_1524:
	s_mov_b64 s[0:1], -1
                                        ; implicit-def: $vgpr15
	s_branch .LBB24_1533
.LBB24_1525:
	s_mov_b64 s[0:1], -1
                                        ; implicit-def: $vgpr15
	s_branch .LBB24_1530
.LBB24_1526:
	s_mov_b64 s[0:1], -1
                                        ; implicit-def: $vgpr15
.LBB24_1527:
	s_andn2_b64 vcc, exec, s[0:1]
	s_cbranch_vccnz .LBB24_1529
; %bb.1528:
	global_load_dword v15, v[0:1], off
	s_waitcnt vmcnt(0)
	v_cvt_f16_f32_e32 v15, v15
.LBB24_1529:
	s_mov_b64 s[0:1], 0
.LBB24_1530:
	s_andn2_b64 vcc, exec, s[0:1]
	s_cbranch_vccnz .LBB24_1532
; %bb.1531:
	global_load_dword v15, v[0:1], off
.LBB24_1532:
	s_mov_b64 s[0:1], 0
.LBB24_1533:
	s_andn2_b64 vcc, exec, s[0:1]
	s_cbranch_vccnz .LBB24_1544
; %bb.1534:
	s_cmp_lt_i32 s22, 6
	s_cbranch_scc1 .LBB24_1537
; %bb.1535:
	s_cmp_gt_i32 s22, 6
	s_cbranch_scc0 .LBB24_1538
; %bb.1536:
	global_load_dwordx2 v[15:16], v[0:1], off
	s_movk_i32 s0, 0x1ff
	s_movk_i32 s1, 0xffe
	v_mov_b32_e32 v17, 0x7c00
	v_mov_b32_e32 v18, 0x7e00
	s_movk_i32 s2, 0x40f
	s_mov_b32 s3, 0x8000
	s_waitcnt vmcnt(0)
	v_and_or_b32 v15, v16, s0, v15
	v_cmp_ne_u32_e32 vcc, 0, v15
	v_lshrrev_b32_e32 v19, 8, v16
	v_bfe_u32 v20, v16, 20, 11
	v_cndmask_b32_e64 v15, 0, 1, vcc
	v_sub_u32_e32 v21, 0x3f1, v20
	v_and_or_b32 v15, v19, s1, v15
	v_add_u32_e32 v20, 0xfffffc10, v20
	v_med3_i32 v19, v21, 0, 13
	v_or_b32_e32 v21, 0x1000, v15
	v_cmp_ne_u32_e32 vcc, 0, v15
	v_lshl_or_b32 v22, v20, 12, v15
	v_cndmask_b32_e32 v15, v17, v18, vcc
	v_lshrrev_b32_e32 v18, v19, v21
	v_lshlrev_b32_e32 v19, v19, v18
	v_cmp_ne_u32_e32 vcc, v19, v21
	v_cndmask_b32_e64 v19, 0, 1, vcc
	v_or_b32_e32 v18, v18, v19
	v_cmp_gt_i32_e32 vcc, 1, v20
	v_cndmask_b32_e32 v18, v22, v18, vcc
	v_and_b32_e32 v19, 7, v18
	v_cmp_lt_i32_e32 vcc, 5, v19
	v_cndmask_b32_e64 v21, 0, 1, vcc
	v_cmp_eq_u32_e32 vcc, 3, v19
	v_cndmask_b32_e64 v19, 0, 1, vcc
	v_lshrrev_b32_e32 v18, 2, v18
	v_or_b32_e32 v19, v19, v21
	v_add_u32_e32 v18, v18, v19
	v_cmp_gt_i32_e32 vcc, 31, v20
	v_cndmask_b32_e32 v17, v17, v18, vcc
	v_cmp_eq_u32_e32 vcc, s2, v20
	v_lshrrev_b32_e32 v16, 16, v16
	v_cndmask_b32_e32 v15, v17, v15, vcc
	v_and_or_b32 v15, v16, s3, v15
	s_mov_b64 s[0:1], 0
	s_branch .LBB24_1539
.LBB24_1537:
	s_mov_b64 s[0:1], -1
                                        ; implicit-def: $vgpr15
	s_branch .LBB24_1542
.LBB24_1538:
	s_mov_b64 s[0:1], -1
                                        ; implicit-def: $vgpr15
.LBB24_1539:
	s_andn2_b64 vcc, exec, s[0:1]
	s_cbranch_vccnz .LBB24_1541
; %bb.1540:
	global_load_dword v15, v[0:1], off
	s_waitcnt vmcnt(0)
	v_cvt_f16_f32_e32 v15, v15
.LBB24_1541:
	s_mov_b64 s[0:1], 0
.LBB24_1542:
	s_andn2_b64 vcc, exec, s[0:1]
	s_cbranch_vccnz .LBB24_1544
; %bb.1543:
	global_load_ushort v15, v[0:1], off
.LBB24_1544:
	s_mov_b64 s[0:1], 0
.LBB24_1545:
	s_andn2_b64 vcc, exec, s[0:1]
	s_cbranch_vccnz .LBB24_1565
; %bb.1546:
	s_cmp_lt_i32 s22, 2
	s_cbranch_scc1 .LBB24_1550
; %bb.1547:
	s_cmp_lt_i32 s22, 3
	s_cbranch_scc1 .LBB24_1551
; %bb.1548:
	s_cmp_gt_i32 s22, 3
	s_cbranch_scc0 .LBB24_1552
; %bb.1549:
	global_load_dwordx2 v[15:16], v[0:1], off
	s_mov_b64 s[0:1], 0
	s_waitcnt vmcnt(0)
	v_xor_b32_e32 v18, v15, v16
	v_ffbh_i32_e32 v17, v16
	v_ashrrev_i32_e32 v18, 31, v18
	v_add_u32_e32 v17, -1, v17
	v_add_u32_e32 v18, 32, v18
	v_min_u32_e32 v17, v17, v18
	v_lshlrev_b64 v[15:16], v17, v[15:16]
	v_min_u32_e32 v15, 1, v15
	v_or_b32_e32 v15, v16, v15
	v_cvt_f32_i32_e32 v15, v15
	v_sub_u32_e32 v16, 32, v17
	v_ldexp_f32 v15, v15, v16
	v_cvt_f16_f32_e32 v15, v15
	s_branch .LBB24_1553
.LBB24_1550:
	s_mov_b64 s[0:1], -1
                                        ; implicit-def: $vgpr15
	s_branch .LBB24_1559
.LBB24_1551:
	s_mov_b64 s[0:1], -1
                                        ; implicit-def: $vgpr15
	s_branch .LBB24_1556
.LBB24_1552:
	s_mov_b64 s[0:1], -1
                                        ; implicit-def: $vgpr15
.LBB24_1553:
	s_andn2_b64 vcc, exec, s[0:1]
	s_cbranch_vccnz .LBB24_1555
; %bb.1554:
	global_load_dword v15, v[0:1], off
	s_waitcnt vmcnt(0)
	v_cvt_f32_i32_e32 v15, v15
	v_cvt_f16_f32_e32 v15, v15
.LBB24_1555:
	s_mov_b64 s[0:1], 0
.LBB24_1556:
	s_andn2_b64 vcc, exec, s[0:1]
	s_cbranch_vccnz .LBB24_1558
; %bb.1557:
	global_load_ushort v15, v[0:1], off
	s_waitcnt vmcnt(0)
	v_cvt_f16_i16_e32 v15, v15
.LBB24_1558:
	s_mov_b64 s[0:1], 0
.LBB24_1559:
	s_andn2_b64 vcc, exec, s[0:1]
	s_cbranch_vccnz .LBB24_1565
; %bb.1560:
	s_cmp_gt_i32 s22, 0
	s_cbranch_scc0 .LBB24_1562
; %bb.1561:
	global_load_sbyte v15, v[0:1], off
	s_mov_b64 s[0:1], 0
	s_waitcnt vmcnt(0)
	v_cvt_f16_i16_e32 v15, v15
	s_branch .LBB24_1563
.LBB24_1562:
	s_mov_b64 s[0:1], -1
                                        ; implicit-def: $vgpr15
.LBB24_1563:
	s_andn2_b64 vcc, exec, s[0:1]
	s_cbranch_vccnz .LBB24_1565
; %bb.1564:
	global_load_ubyte v0, v[0:1], off
	s_waitcnt vmcnt(0)
	v_cvt_f16_u16_e32 v15, v0
.LBB24_1565:
	s_mov_b64 s[4:5], -1
.LBB24_1566:
	s_andn2_b64 vcc, exec, s[4:5]
	s_cbranch_vccnz .LBB24_2004
; %bb.1567:
	s_waitcnt vmcnt(0)
	v_cvt_f32_f16_e32 v15, v15
	s_brev_b32 s0, 18
                                        ; implicit-def: $vgpr17
                                        ; implicit-def: $vgpr18
	v_and_b32_e32 v16, 0x7fffffff, v15
	v_cmp_nlt_f32_e64 s[0:1], |v15|, s0
	s_and_saveexec_b64 s[2:3], s[0:1]
	s_xor_b64 s[10:11], exec, s[2:3]
	s_cbranch_execz .LBB24_1569
; %bb.1568:
	v_and_b32_e32 v0, 0x7fffff, v16
	v_or_b32_e32 v25, 0x800000, v0
	s_mov_b32 s0, 0xfe5163ab
	v_mad_u64_u32 v[0:1], s[0:1], v25, s0, 0
	v_mov_b32_e32 v18, 0
	s_mov_b32 s0, 0x3c439041
	v_mov_b32_e32 v17, v1
	v_mad_u64_u32 v[19:20], s[0:1], v25, s0, v[17:18]
	s_mov_b32 s0, 0xdb629599
	v_lshrrev_b32_e32 v1, 23, v16
	v_mov_b32_e32 v17, v20
	v_mad_u64_u32 v[20:21], s[0:1], v25, s0, v[17:18]
	s_mov_b32 s0, 0xf534ddc0
	v_add_u32_e32 v1, 0xffffff88, v1
	v_mov_b32_e32 v17, v21
	v_mad_u64_u32 v[21:22], s[0:1], v25, s0, v[17:18]
	s_mov_b32 s0, 0xfc2757d1
	v_not_b32_e32 v24, 63
	v_mov_b32_e32 v17, v22
	v_mad_u64_u32 v[22:23], s[0:1], v25, s0, v[17:18]
	v_cmp_lt_u32_e32 vcc, 63, v1
	v_cndmask_b32_e32 v17, 0, v24, vcc
	v_add_u32_e32 v1, v17, v1
	v_mov_b32_e32 v17, v23
	s_mov_b32 s0, 0x4e441529
	v_mad_u64_u32 v[23:24], s[0:1], v25, s0, v[17:18]
	v_not_b32_e32 v26, 31
	v_cmp_lt_u32_e64 s[0:1], 31, v1
	v_cndmask_b32_e64 v17, 0, v26, s[0:1]
	v_add_u32_e32 v1, v17, v1
	v_mov_b32_e32 v17, v24
	s_mov_b32 s2, 0xa2f9836e
	v_mad_u64_u32 v[17:18], s[2:3], v25, s2, v[17:18]
	v_cmp_lt_u32_e64 s[2:3], 31, v1
	v_cndmask_b32_e64 v24, 0, v26, s[2:3]
	v_add_u32_e32 v1, v24, v1
	v_cndmask_b32_e32 v24, v23, v21, vcc
	v_cndmask_b32_e32 v17, v17, v22, vcc
	;; [unrolled: 1-line block ×3, first 2 shown]
	v_cndmask_b32_e64 v25, v17, v24, s[0:1]
	v_cndmask_b32_e64 v17, v18, v17, s[0:1]
	v_cndmask_b32_e32 v18, v22, v20, vcc
	v_cndmask_b32_e64 v22, v24, v18, s[0:1]
	v_cndmask_b32_e64 v17, v17, v25, s[2:3]
	v_cndmask_b32_e64 v23, v25, v22, s[2:3]
	v_sub_u32_e32 v24, 32, v1
	v_alignbit_b32 v25, v17, v23, v24
	v_cmp_eq_u32_e64 s[4:5], 0, v1
	v_cndmask_b32_e64 v1, v25, v17, s[4:5]
	v_cndmask_b32_e32 v17, v21, v19, vcc
	v_cndmask_b32_e64 v18, v18, v17, s[0:1]
	v_cndmask_b32_e64 v19, v22, v18, s[2:3]
	v_alignbit_b32 v21, v23, v19, v24
	v_cndmask_b32_e32 v0, v20, v0, vcc
	v_cndmask_b32_e64 v21, v21, v23, s[4:5]
	v_bfe_u32 v25, v1, 29, 1
	v_cndmask_b32_e64 v0, v17, v0, s[0:1]
	v_alignbit_b32 v22, v1, v21, 30
	v_sub_u32_e32 v26, 0, v25
	v_cndmask_b32_e64 v0, v18, v0, s[2:3]
	v_xor_b32_e32 v22, v22, v26
	v_alignbit_b32 v17, v19, v0, v24
	v_cndmask_b32_e64 v17, v17, v19, s[4:5]
	v_ffbh_u32_e32 v19, v22
	v_alignbit_b32 v18, v21, v17, 30
	v_min_u32_e32 v19, 32, v19
	v_alignbit_b32 v0, v17, v0, 30
	v_xor_b32_e32 v18, v18, v26
	v_sub_u32_e32 v20, 31, v19
	v_xor_b32_e32 v0, v0, v26
	v_alignbit_b32 v21, v22, v18, v20
	v_alignbit_b32 v0, v18, v0, v20
	;; [unrolled: 1-line block ×3, first 2 shown]
	v_ffbh_u32_e32 v18, v17
	v_min_u32_e32 v18, 32, v18
	v_lshrrev_b32_e32 v23, 29, v1
	v_not_b32_e32 v20, v18
	v_alignbit_b32 v0, v17, v0, v20
	v_lshlrev_b32_e32 v17, 31, v23
	v_or_b32_e32 v20, 0x33000000, v17
	v_add_lshl_u32 v18, v18, v19, 23
	v_lshrrev_b32_e32 v0, 9, v0
	v_sub_u32_e32 v18, v20, v18
	v_or_b32_e32 v17, 0.5, v17
	v_lshlrev_b32_e32 v19, 23, v19
	v_or_b32_e32 v0, v18, v0
	v_lshrrev_b32_e32 v18, 9, v21
	v_sub_u32_e32 v17, v17, v19
	v_or_b32_e32 v17, v18, v17
	s_mov_b32 s0, 0x3fc90fda
	v_mul_f32_e32 v18, 0x3fc90fda, v17
	v_fma_f32 v19, v17, s0, -v18
	v_fmac_f32_e32 v19, 0x33a22168, v17
	v_fmac_f32_e32 v19, 0x3fc90fda, v0
	v_lshrrev_b32_e32 v0, 30, v1
	v_add_f32_e32 v18, v18, v19
	v_add_u32_e32 v17, v25, v0
.LBB24_1569:
	s_andn2_saveexec_b64 s[0:1], s[10:11]
	s_cbranch_execz .LBB24_1571
; %bb.1570:
	s_mov_b32 s2, 0x3f22f983
	v_mul_f32_e64 v0, |v15|, s2
	v_rndne_f32_e32 v0, v0
	s_mov_b32 s2, 0xbfc90fda
	v_cvt_i32_f32_e32 v17, v0
	v_fma_f32 v18, v0, s2, |v15|
	v_fmac_f32_e32 v18, 0xb3a22168, v0
	v_fmac_f32_e32 v18, 0xa7c234c4, v0
.LBB24_1571:
	s_or_b64 exec, exec, s[0:1]
	v_mul_f32_e32 v0, v6, v6
	v_mov_b32_e32 v1, 0x3c0881c4
	v_fmac_f32_e32 v1, 0xb94c1982, v0
	v_mov_b32_e32 v19, 0xbe2aaa9d
	v_fmac_f32_e32 v19, v0, v1
	v_mul_f32_e32 v1, v0, v19
	v_fmac_f32_e32 v6, v6, v1
	v_mov_b32_e32 v1, 0xbab64f3b
	v_fmac_f32_e32 v1, 0x37d75334, v0
	v_mov_b32_e32 v19, 0x3d2aabf7
	;; [unrolled: 2-line block ×3, first 2 shown]
	v_fmac_f32_e32 v1, v0, v19
	v_fma_f32 v0, v0, v1, 1.0
	v_and_b32_e32 v1, 1, v5
	v_cmp_eq_u32_e32 vcc, 0, v1
	v_lshlrev_b32_e32 v1, 30, v5
	v_and_b32_e32 v1, 0x80000000, v1
	v_xor_b32_e32 v4, v4, v3
	v_cndmask_b32_e32 v0, v0, v6, vcc
	v_xor_b32_e32 v1, v4, v1
	s_movk_i32 s0, 0x1f8
	v_xor_b32_e32 v0, v1, v0
	v_mov_b32_e32 v1, 0x7fc00000
	v_mul_lo_u32 v2, s12, v2
	v_cmp_class_f32_e64 vcc, v3, s0
	v_cndmask_b32_e32 v0, v1, v0, vcc
	v_cvt_f16_f32_e32 v3, v0
	v_ashrrev_i32_e32 v1, 31, v2
	v_mov_b32_e32 v4, s9
	s_and_b32 s20, s33, 0xff
	v_add_co_u32_e32 v0, vcc, s8, v2
	s_cmp_lt_i32 s20, 11
	v_addc_co_u32_e32 v1, vcc, v4, v1, vcc
	s_cbranch_scc1 .LBB24_1649
; %bb.1572:
	s_and_b32 s13, 0xffff, s20
	s_mov_b64 s[10:11], -1
	s_mov_b64 s[2:3], 0
	s_cmp_gt_i32 s13, 25
	s_mov_b64 s[4:5], 0
	s_mov_b64 s[0:1], 0
	s_cbranch_scc0 .LBB24_1605
; %bb.1573:
	s_cmp_gt_i32 s13, 28
	s_cbranch_scc0 .LBB24_1588
; %bb.1574:
	s_cmp_gt_i32 s13, 43
	;; [unrolled: 3-line block ×3, first 2 shown]
	s_cbranch_scc0 .LBB24_1578
; %bb.1576:
	s_mov_b64 s[0:1], -1
	s_mov_b64 s[10:11], 0
	s_cmp_eq_u32 s13, 46
	s_cbranch_scc0 .LBB24_1578
; %bb.1577:
	v_cvt_f32_f16_e32 v4, v3
	s_movk_i32 s0, 0x7fff
	v_cmp_o_f16_e32 vcc, v3, v3
	v_mov_b32_e32 v5, 0x7fc0
	v_bfe_u32 v6, v4, 16, 1
	v_add3_u32 v4, v4, v6, s0
	v_cndmask_b32_sdwa v4, v5, v4, vcc dst_sel:DWORD dst_unused:UNUSED_PAD src0_sel:DWORD src1_sel:WORD_1
	global_store_dword v[0:1], v4, off
	s_mov_b64 s[0:1], 0
	s_mov_b64 s[4:5], -1
.LBB24_1578:
	s_and_b64 vcc, exec, s[10:11]
	s_cbranch_vccz .LBB24_1583
; %bb.1579:
	s_cmp_eq_u32 s13, 44
	s_mov_b64 s[0:1], -1
	s_cbranch_scc0 .LBB24_1583
; %bb.1580:
	v_cvt_f32_f16_e32 v4, v3
	s_movk_i32 s0, 0xff
	v_mov_b32_e32 v6, 0xff
	v_bfe_u32 v5, v4, 23, 8
	v_cmp_ne_u32_e32 vcc, s0, v5
	s_and_saveexec_b64 s[4:5], vcc
; %bb.1581:
	s_mov_b32 s0, 0x3fffff
	v_lshrrev_b32_e32 v6, 23, v4
	v_and_b32_e32 v19, 0x400000, v4
	v_and_or_b32 v4, v4, s0, v5
	v_cmp_ne_u32_e32 vcc, 0, v19
	v_cmp_ne_u32_e64 s[0:1], 0, v4
	s_and_b64 s[0:1], vcc, s[0:1]
	v_cndmask_b32_e64 v4, 0, 1, s[0:1]
	v_add_u32_e32 v6, v6, v4
; %bb.1582:
	s_or_b64 exec, exec, s[4:5]
	s_mov_b64 s[0:1], 0
	s_mov_b64 s[4:5], -1
	global_store_byte v[0:1], v6, off
.LBB24_1583:
	s_mov_b64 s[10:11], 0
.LBB24_1584:
	s_and_b64 vcc, exec, s[10:11]
	s_cbranch_vccz .LBB24_1587
; %bb.1585:
	s_cmp_eq_u32 s13, 29
	s_mov_b64 s[0:1], -1
	s_cbranch_scc0 .LBB24_1587
; %bb.1586:
	v_cvt_f32_f16_e32 v4, v3
	v_mov_b32_e32 v5, 0
	s_mov_b64 s[0:1], 0
	s_mov_b64 s[4:5], -1
	v_cvt_u32_f32_e32 v4, v4
	global_store_dwordx2 v[0:1], v[4:5], off
.LBB24_1587:
	s_mov_b64 s[10:11], 0
.LBB24_1588:
	s_and_b64 vcc, exec, s[10:11]
	s_cbranch_vccz .LBB24_1604
; %bb.1589:
	s_cmp_lt_i32 s13, 27
	s_mov_b64 s[4:5], -1
	s_cbranch_scc1 .LBB24_1595
; %bb.1590:
	s_cmp_gt_i32 s13, 27
	s_cbranch_scc0 .LBB24_1592
; %bb.1591:
	v_cvt_f32_f16_e32 v4, v3
	s_mov_b64 s[4:5], 0
	v_cvt_u32_f32_e32 v4, v4
	global_store_dword v[0:1], v4, off
.LBB24_1592:
	s_andn2_b64 vcc, exec, s[4:5]
	s_cbranch_vccnz .LBB24_1594
; %bb.1593:
	v_cvt_u16_f16_e32 v4, v3
	global_store_short v[0:1], v4, off
.LBB24_1594:
	s_mov_b64 s[4:5], 0
.LBB24_1595:
	s_andn2_b64 vcc, exec, s[4:5]
	s_cbranch_vccnz .LBB24_1603
; %bb.1596:
	v_cvt_f32_f16_e32 v4, v3
	s_mov_b32 s4, 0x43800000
	v_mov_b32_e32 v6, 0x80
	v_and_b32_e32 v5, 0x7fffffff, v4
	v_cmp_gt_u32_e32 vcc, s4, v5
	s_and_saveexec_b64 s[4:5], vcc
	s_cbranch_execz .LBB24_1602
; %bb.1597:
	s_mov_b32 s10, 0x3bffffff
	v_cmp_lt_u32_e32 vcc, s10, v5
	s_mov_b64 s[10:11], 0
                                        ; implicit-def: $vgpr5
	s_and_saveexec_b64 s[14:15], vcc
	s_xor_b64 s[14:15], exec, s[14:15]
	s_cbranch_execz .LBB24_2051
; %bb.1598:
	v_bfe_u32 v5, v4, 20, 1
	s_mov_b32 s21, 0x487ffff
	v_add3_u32 v5, v4, v5, s21
	s_mov_b64 s[10:11], exec
	v_lshrrev_b32_e32 v5, 20, v5
	s_andn2_saveexec_b64 s[14:15], s[14:15]
	s_cbranch_execnz .LBB24_2052
.LBB24_1599:
	s_or_b64 exec, exec, s[14:15]
	v_mov_b32_e32 v6, 0
	s_and_saveexec_b64 s[14:15], s[10:11]
.LBB24_1600:
	v_lshrrev_b32_e32 v4, 24, v4
	s_movk_i32 s10, 0x80
	v_and_or_b32 v6, v4, s10, v5
.LBB24_1601:
	s_or_b64 exec, exec, s[14:15]
.LBB24_1602:
	s_or_b64 exec, exec, s[4:5]
	global_store_byte v[0:1], v6, off
.LBB24_1603:
	s_mov_b64 s[4:5], -1
.LBB24_1604:
	s_mov_b64 s[10:11], 0
.LBB24_1605:
	s_and_b64 vcc, exec, s[10:11]
	s_cbranch_vccz .LBB24_1645
; %bb.1606:
	s_cmp_gt_i32 s13, 22
	s_mov_b64 s[2:3], -1
	s_cbranch_scc0 .LBB24_1638
; %bb.1607:
	s_cmp_lt_i32 s13, 24
	s_cbranch_scc1 .LBB24_1627
; %bb.1608:
	s_cmp_gt_i32 s13, 24
	s_cbranch_scc0 .LBB24_1616
; %bb.1609:
	v_cvt_f32_f16_e32 v4, v3
	s_mov_b32 s2, 0x47800000
	v_mov_b32_e32 v6, 0x80
	v_and_b32_e32 v5, 0x7fffffff, v4
	v_cmp_gt_u32_e32 vcc, s2, v5
	s_and_saveexec_b64 s[2:3], vcc
	s_cbranch_execz .LBB24_1615
; %bb.1610:
	s_mov_b32 s4, 0x37ffffff
	v_cmp_lt_u32_e32 vcc, s4, v5
	s_mov_b64 s[4:5], 0
                                        ; implicit-def: $vgpr5
	s_and_saveexec_b64 s[10:11], vcc
	s_xor_b64 s[10:11], exec, s[10:11]
	s_cbranch_execz .LBB24_2054
; %bb.1611:
	v_bfe_u32 v5, v4, 21, 1
	s_mov_b32 s14, 0x88fffff
	v_add3_u32 v5, v4, v5, s14
	s_mov_b64 s[4:5], exec
	v_lshrrev_b32_e32 v5, 21, v5
	s_andn2_saveexec_b64 s[10:11], s[10:11]
	s_cbranch_execnz .LBB24_2055
.LBB24_1612:
	s_or_b64 exec, exec, s[10:11]
	v_mov_b32_e32 v6, 0
	s_and_saveexec_b64 s[10:11], s[4:5]
.LBB24_1613:
	v_lshrrev_b32_e32 v4, 24, v4
	s_movk_i32 s4, 0x80
	v_and_or_b32 v6, v4, s4, v5
.LBB24_1614:
	s_or_b64 exec, exec, s[10:11]
.LBB24_1615:
	s_or_b64 exec, exec, s[2:3]
	s_mov_b64 s[2:3], 0
	global_store_byte v[0:1], v6, off
.LBB24_1616:
	s_and_b64 vcc, exec, s[2:3]
	s_cbranch_vccz .LBB24_1626
; %bb.1617:
	v_cvt_f32_f16_e32 v4, v3
	s_mov_b32 s2, 0x43f00000
                                        ; implicit-def: $vgpr5
	v_and_b32_e32 v6, 0x7fffffff, v4
	v_cmp_gt_u32_e32 vcc, s2, v6
	s_and_saveexec_b64 s[2:3], vcc
	s_xor_b64 s[2:3], exec, s[2:3]
	s_cbranch_execz .LBB24_1623
; %bb.1618:
	s_mov_b32 s4, 0x3c7fffff
	v_cmp_lt_u32_e32 vcc, s4, v6
                                        ; implicit-def: $vgpr5
	s_and_saveexec_b64 s[4:5], vcc
	s_xor_b64 s[4:5], exec, s[4:5]
; %bb.1619:
	v_bfe_u32 v5, v4, 20, 1
	s_mov_b32 s10, 0x407ffff
	v_add3_u32 v5, v4, v5, s10
	v_lshrrev_b32_e32 v6, 20, v5
	v_and_b32_e32 v5, 0xff00000, v5
	s_mov_b32 s10, 0x7f00000
	v_mov_b32_e32 v19, 0x7e
	v_cmp_ne_u32_e32 vcc, s10, v5
	v_cndmask_b32_e32 v5, v19, v6, vcc
; %bb.1620:
	s_andn2_saveexec_b64 s[4:5], s[4:5]
; %bb.1621:
	s_mov_b32 s10, 0x46800000
	v_add_f32_e64 v5, |v4|, s10
; %bb.1622:
	s_or_b64 exec, exec, s[4:5]
                                        ; implicit-def: $vgpr6
.LBB24_1623:
	s_andn2_saveexec_b64 s[2:3], s[2:3]
; %bb.1624:
	s_mov_b32 s4, 0x7f800000
	v_mov_b32_e32 v5, 0x7e
	v_mov_b32_e32 v19, 0x7f
	v_cmp_lt_u32_e32 vcc, s4, v6
	v_cndmask_b32_e32 v5, v5, v19, vcc
; %bb.1625:
	s_or_b64 exec, exec, s[2:3]
	v_lshrrev_b32_e32 v4, 24, v4
	s_movk_i32 s2, 0x80
	v_and_or_b32 v4, v4, s2, v5
	global_store_byte v[0:1], v4, off
.LBB24_1626:
	s_mov_b64 s[2:3], 0
.LBB24_1627:
	s_andn2_b64 vcc, exec, s[2:3]
	s_cbranch_vccnz .LBB24_1637
; %bb.1628:
	v_cvt_f32_f16_e32 v4, v3
	s_mov_b32 s2, 0x47800000
                                        ; implicit-def: $vgpr5
	v_and_b32_e32 v6, 0x7fffffff, v4
	v_cmp_gt_u32_e32 vcc, s2, v6
	s_and_saveexec_b64 s[2:3], vcc
	s_xor_b64 s[2:3], exec, s[2:3]
	s_cbranch_execz .LBB24_1634
; %bb.1629:
	s_mov_b32 s4, 0x387fffff
	v_cmp_lt_u32_e32 vcc, s4, v6
                                        ; implicit-def: $vgpr5
	s_and_saveexec_b64 s[4:5], vcc
	s_xor_b64 s[4:5], exec, s[4:5]
; %bb.1630:
	v_bfe_u32 v5, v4, 21, 1
	s_mov_b32 s10, 0x80fffff
	v_add3_u32 v5, v4, v5, s10
	v_lshrrev_b32_e32 v5, 21, v5
; %bb.1631:
	s_andn2_saveexec_b64 s[4:5], s[4:5]
; %bb.1632:
	s_mov_b32 s10, 0x43000000
	v_add_f32_e64 v5, |v4|, s10
; %bb.1633:
	s_or_b64 exec, exec, s[4:5]
                                        ; implicit-def: $vgpr6
.LBB24_1634:
	s_andn2_saveexec_b64 s[2:3], s[2:3]
; %bb.1635:
	s_mov_b32 s4, 0x7f800000
	v_mov_b32_e32 v5, 0x7c
	v_mov_b32_e32 v19, 0x7f
	v_cmp_lt_u32_e32 vcc, s4, v6
	v_cndmask_b32_e32 v5, v5, v19, vcc
; %bb.1636:
	s_or_b64 exec, exec, s[2:3]
	v_lshrrev_b32_e32 v4, 24, v4
	s_movk_i32 s2, 0x80
	v_and_or_b32 v4, v4, s2, v5
	global_store_byte v[0:1], v4, off
.LBB24_1637:
	s_mov_b64 s[2:3], 0
	s_mov_b64 s[4:5], -1
.LBB24_1638:
	s_andn2_b64 vcc, exec, s[2:3]
	s_mov_b64 s[2:3], 0
	s_cbranch_vccnz .LBB24_1645
; %bb.1639:
	s_cmp_gt_i32 s13, 14
	s_mov_b64 s[10:11], -1
	s_cbranch_scc0 .LBB24_1643
; %bb.1640:
	s_cmp_eq_u32 s13, 15
	s_mov_b64 s[0:1], -1
	s_cbranch_scc0 .LBB24_1642
; %bb.1641:
	v_cvt_f32_f16_e32 v4, v3
	s_movk_i32 s0, 0x7fff
	v_cmp_o_f16_e32 vcc, v3, v3
	v_mov_b32_e32 v5, 0x7fc0
	v_bfe_u32 v6, v4, 16, 1
	v_add3_u32 v4, v4, v6, s0
	v_cndmask_b32_sdwa v4, v5, v4, vcc dst_sel:DWORD dst_unused:UNUSED_PAD src0_sel:DWORD src1_sel:WORD_1
	global_store_short v[0:1], v4, off
	s_mov_b64 s[0:1], 0
	s_mov_b64 s[4:5], -1
.LBB24_1642:
	s_mov_b64 s[10:11], 0
.LBB24_1643:
	s_and_b64 vcc, exec, s[10:11]
	s_cbranch_vccz .LBB24_1645
; %bb.1644:
	s_cmp_lg_u32 s13, 11
	s_mov_b64 s[2:3], -1
	s_cselect_b64 s[0:1], -1, 0
.LBB24_1645:
	s_and_b64 vcc, exec, s[0:1]
	s_cbranch_vccnz .LBB24_2053
; %bb.1646:
	s_andn2_b64 vcc, exec, s[2:3]
	s_cbranch_vccnz .LBB24_1648
.LBB24_1647:
	v_cmp_neq_f16_e32 vcc, 0, v3
	v_cndmask_b32_e64 v4, 0, 1, vcc
	s_mov_b64 s[4:5], -1
	global_store_byte v[0:1], v4, off
.LBB24_1648:
	s_mov_b64 s[0:1], 0
	s_branch .LBB24_1650
.LBB24_1649:
	s_mov_b64 s[0:1], -1
	s_mov_b64 s[4:5], 0
.LBB24_1650:
	s_and_b64 vcc, exec, s[0:1]
	s_cbranch_vccz .LBB24_1689
; %bb.1651:
	s_and_b32 s2, 0xffff, s20
	s_cmp_lt_i32 s2, 5
	s_mov_b64 s[0:1], -1
	s_cbranch_scc1 .LBB24_1672
; %bb.1652:
	s_cmp_lt_i32 s2, 8
	s_cbranch_scc1 .LBB24_1662
; %bb.1653:
	s_cmp_lt_i32 s2, 9
	s_cbranch_scc1 .LBB24_1659
; %bb.1654:
	s_cmp_gt_i32 s2, 9
	s_cbranch_scc0 .LBB24_1656
; %bb.1655:
	v_cvt_f32_f16_e32 v4, v3
	v_mov_b32_e32 v21, 0
	v_mov_b32_e32 v22, v21
	s_mov_b64 s[0:1], 0
	v_cvt_f64_f32_e32 v[19:20], v4
	global_store_dwordx4 v[0:1], v[19:22], off
.LBB24_1656:
	s_andn2_b64 vcc, exec, s[0:1]
	s_cbranch_vccnz .LBB24_1658
; %bb.1657:
	v_cvt_f32_f16_e32 v4, v3
	v_mov_b32_e32 v5, 0
	global_store_dwordx2 v[0:1], v[4:5], off
.LBB24_1658:
	s_mov_b64 s[0:1], 0
.LBB24_1659:
	s_andn2_b64 vcc, exec, s[0:1]
	s_cbranch_vccnz .LBB24_1661
; %bb.1660:
	global_store_dword v[0:1], v3, off
.LBB24_1661:
	s_mov_b64 s[0:1], 0
.LBB24_1662:
	s_andn2_b64 vcc, exec, s[0:1]
	s_cbranch_vccnz .LBB24_1671
; %bb.1663:
	s_cmp_lt_i32 s2, 6
	s_mov_b64 s[0:1], -1
	s_cbranch_scc1 .LBB24_1669
; %bb.1664:
	s_cmp_gt_i32 s2, 6
	s_cbranch_scc0 .LBB24_1666
; %bb.1665:
	v_cvt_f32_f16_e32 v4, v3
	s_mov_b64 s[0:1], 0
	v_cvt_f64_f32_e32 v[4:5], v4
	global_store_dwordx2 v[0:1], v[4:5], off
.LBB24_1666:
	s_andn2_b64 vcc, exec, s[0:1]
	s_cbranch_vccnz .LBB24_1668
; %bb.1667:
	v_cvt_f32_f16_e32 v4, v3
	global_store_dword v[0:1], v4, off
.LBB24_1668:
	s_mov_b64 s[0:1], 0
.LBB24_1669:
	s_andn2_b64 vcc, exec, s[0:1]
	s_cbranch_vccnz .LBB24_1671
; %bb.1670:
	global_store_short v[0:1], v3, off
.LBB24_1671:
	s_mov_b64 s[0:1], 0
.LBB24_1672:
	s_andn2_b64 vcc, exec, s[0:1]
	s_cbranch_vccnz .LBB24_1688
; %bb.1673:
	s_cmp_lt_i32 s2, 2
	s_mov_b64 s[0:1], -1
	s_cbranch_scc1 .LBB24_1683
; %bb.1674:
	s_cmp_lt_i32 s2, 3
	s_cbranch_scc1 .LBB24_1680
; %bb.1675:
	s_cmp_gt_i32 s2, 3
	s_cbranch_scc0 .LBB24_1677
; %bb.1676:
	v_cvt_f32_f16_e32 v4, v3
	s_mov_b64 s[0:1], 0
	v_cvt_i32_f32_e32 v4, v4
	v_ashrrev_i32_e32 v5, 31, v4
	global_store_dwordx2 v[0:1], v[4:5], off
.LBB24_1677:
	s_andn2_b64 vcc, exec, s[0:1]
	s_cbranch_vccnz .LBB24_1679
; %bb.1678:
	v_cvt_f32_f16_e32 v4, v3
	v_cvt_i32_f32_e32 v4, v4
	global_store_dword v[0:1], v4, off
.LBB24_1679:
	s_mov_b64 s[0:1], 0
.LBB24_1680:
	s_andn2_b64 vcc, exec, s[0:1]
	s_cbranch_vccnz .LBB24_1682
; %bb.1681:
	v_cvt_i16_f16_e32 v4, v3
	global_store_short v[0:1], v4, off
.LBB24_1682:
	s_mov_b64 s[0:1], 0
.LBB24_1683:
	s_andn2_b64 vcc, exec, s[0:1]
	s_cbranch_vccnz .LBB24_1688
; %bb.1684:
	s_cmp_gt_i32 s2, 0
	s_mov_b64 s[0:1], -1
	s_cbranch_scc0 .LBB24_1686
; %bb.1685:
	v_cvt_i16_f16_e32 v4, v3
	global_store_byte v[0:1], v4, off
	s_mov_b64 s[0:1], 0
.LBB24_1686:
	s_andn2_b64 vcc, exec, s[0:1]
	s_cbranch_vccnz .LBB24_1688
; %bb.1687:
	v_cvt_f32_f16_e32 v3, v3
	v_cvt_i32_f32_e32 v3, v3
	global_store_byte v[0:1], v3, off
.LBB24_1688:
	s_mov_b64 s[4:5], -1
.LBB24_1689:
	s_andn2_b64 vcc, exec, s[4:5]
	s_cbranch_vccnz .LBB24_2004
; %bb.1690:
	v_mul_f32_e32 v0, v10, v10
	v_mov_b32_e32 v1, 0x3c0881c4
	v_fmac_f32_e32 v1, 0xb94c1982, v0
	v_mov_b32_e32 v3, 0xbe2aaa9d
	v_fmac_f32_e32 v3, v0, v1
	v_mul_f32_e32 v1, v0, v3
	v_fmac_f32_e32 v10, v10, v1
	v_mov_b32_e32 v1, 0xbab64f3b
	v_fmac_f32_e32 v1, 0x37d75334, v0
	v_mov_b32_e32 v3, 0x3d2aabf7
	;; [unrolled: 2-line block ×3, first 2 shown]
	v_fmac_f32_e32 v1, v0, v3
	v_fma_f32 v0, v0, v1, 1.0
	v_and_b32_e32 v1, 1, v9
	v_cmp_eq_u32_e32 vcc, 0, v1
	v_lshlrev_b32_e32 v1, 30, v9
	v_and_b32_e32 v1, 0x80000000, v1
	v_xor_b32_e32 v3, v8, v7
	v_cndmask_b32_e32 v0, v0, v10, vcc
	v_xor_b32_e32 v1, v3, v1
	s_movk_i32 s0, 0x1f8
	v_xor_b32_e32 v0, v1, v0
	v_mov_b32_e32 v1, 0x7fc00000
	v_cmp_class_f32_e64 vcc, v7, s0
	v_cndmask_b32_e32 v0, v1, v0, vcc
	v_cvt_f16_f32_e32 v3, v0
	s_lshl_b32 s14, s12, 7
	v_add_u32_e32 v2, s14, v2
	v_ashrrev_i32_e32 v1, 31, v2
	v_mov_b32_e32 v4, s9
	v_add_co_u32_e32 v0, vcc, s8, v2
	s_cmp_lt_i32 s20, 11
	v_addc_co_u32_e32 v1, vcc, v4, v1, vcc
	s_cbranch_scc1 .LBB24_1768
; %bb.1691:
	s_and_b32 s15, 0xffff, s20
	s_mov_b64 s[10:11], -1
	s_mov_b64 s[2:3], 0
	s_cmp_gt_i32 s15, 25
	s_mov_b64 s[4:5], 0
	s_mov_b64 s[0:1], 0
	s_cbranch_scc0 .LBB24_1724
; %bb.1692:
	s_cmp_gt_i32 s15, 28
	s_cbranch_scc0 .LBB24_1707
; %bb.1693:
	s_cmp_gt_i32 s15, 43
	s_cbranch_scc0 .LBB24_1703
; %bb.1694:
	s_cmp_gt_i32 s15, 45
	s_cbranch_scc0 .LBB24_1697
; %bb.1695:
	s_mov_b64 s[0:1], -1
	s_mov_b64 s[10:11], 0
	s_cmp_eq_u32 s15, 46
	s_cbranch_scc0 .LBB24_1697
; %bb.1696:
	v_cvt_f32_f16_e32 v4, v3
	s_movk_i32 s0, 0x7fff
	v_cmp_o_f16_e32 vcc, v3, v3
	v_mov_b32_e32 v5, 0x7fc0
	v_bfe_u32 v6, v4, 16, 1
	v_add3_u32 v4, v4, v6, s0
	v_cndmask_b32_sdwa v4, v5, v4, vcc dst_sel:DWORD dst_unused:UNUSED_PAD src0_sel:DWORD src1_sel:WORD_1
	global_store_dword v[0:1], v4, off
	s_mov_b64 s[0:1], 0
	s_mov_b64 s[4:5], -1
.LBB24_1697:
	s_and_b64 vcc, exec, s[10:11]
	s_cbranch_vccz .LBB24_1702
; %bb.1698:
	s_cmp_eq_u32 s15, 44
	s_mov_b64 s[0:1], -1
	s_cbranch_scc0 .LBB24_1702
; %bb.1699:
	v_cvt_f32_f16_e32 v4, v3
	s_movk_i32 s0, 0xff
	v_mov_b32_e32 v6, 0xff
	v_bfe_u32 v5, v4, 23, 8
	v_cmp_ne_u32_e32 vcc, s0, v5
	s_and_saveexec_b64 s[4:5], vcc
; %bb.1700:
	s_mov_b32 s0, 0x3fffff
	v_lshrrev_b32_e32 v6, 23, v4
	v_and_b32_e32 v7, 0x400000, v4
	v_and_or_b32 v4, v4, s0, v5
	v_cmp_ne_u32_e32 vcc, 0, v7
	v_cmp_ne_u32_e64 s[0:1], 0, v4
	s_and_b64 s[0:1], vcc, s[0:1]
	v_cndmask_b32_e64 v4, 0, 1, s[0:1]
	v_add_u32_e32 v6, v6, v4
; %bb.1701:
	s_or_b64 exec, exec, s[4:5]
	s_mov_b64 s[0:1], 0
	s_mov_b64 s[4:5], -1
	global_store_byte v[0:1], v6, off
.LBB24_1702:
	s_mov_b64 s[10:11], 0
.LBB24_1703:
	s_and_b64 vcc, exec, s[10:11]
	s_cbranch_vccz .LBB24_1706
; %bb.1704:
	s_cmp_eq_u32 s15, 29
	s_mov_b64 s[0:1], -1
	s_cbranch_scc0 .LBB24_1706
; %bb.1705:
	v_cvt_f32_f16_e32 v4, v3
	v_mov_b32_e32 v5, 0
	s_mov_b64 s[0:1], 0
	s_mov_b64 s[4:5], -1
	v_cvt_u32_f32_e32 v4, v4
	global_store_dwordx2 v[0:1], v[4:5], off
.LBB24_1706:
	s_mov_b64 s[10:11], 0
.LBB24_1707:
	s_and_b64 vcc, exec, s[10:11]
	s_cbranch_vccz .LBB24_1723
; %bb.1708:
	s_cmp_lt_i32 s15, 27
	s_mov_b64 s[4:5], -1
	s_cbranch_scc1 .LBB24_1714
; %bb.1709:
	s_cmp_gt_i32 s15, 27
	s_cbranch_scc0 .LBB24_1711
; %bb.1710:
	v_cvt_f32_f16_e32 v4, v3
	s_mov_b64 s[4:5], 0
	v_cvt_u32_f32_e32 v4, v4
	global_store_dword v[0:1], v4, off
.LBB24_1711:
	s_andn2_b64 vcc, exec, s[4:5]
	s_cbranch_vccnz .LBB24_1713
; %bb.1712:
	v_cvt_u16_f16_e32 v4, v3
	global_store_short v[0:1], v4, off
.LBB24_1713:
	s_mov_b64 s[4:5], 0
.LBB24_1714:
	s_andn2_b64 vcc, exec, s[4:5]
	s_cbranch_vccnz .LBB24_1722
; %bb.1715:
	v_cvt_f32_f16_e32 v4, v3
	s_mov_b32 s4, 0x43800000
	v_mov_b32_e32 v6, 0x80
	v_and_b32_e32 v5, 0x7fffffff, v4
	v_cmp_gt_u32_e32 vcc, s4, v5
	s_and_saveexec_b64 s[4:5], vcc
	s_cbranch_execz .LBB24_1721
; %bb.1716:
	s_mov_b32 s10, 0x3bffffff
	v_cmp_lt_u32_e32 vcc, s10, v5
	s_mov_b64 s[10:11], 0
                                        ; implicit-def: $vgpr5
	s_and_saveexec_b64 s[12:13], vcc
	s_xor_b64 s[12:13], exec, s[12:13]
	s_cbranch_execz .LBB24_2056
; %bb.1717:
	v_bfe_u32 v5, v4, 20, 1
	s_mov_b32 s21, 0x487ffff
	v_add3_u32 v5, v4, v5, s21
	s_mov_b64 s[10:11], exec
	v_lshrrev_b32_e32 v5, 20, v5
	s_andn2_saveexec_b64 s[12:13], s[12:13]
	s_cbranch_execnz .LBB24_2057
.LBB24_1718:
	s_or_b64 exec, exec, s[12:13]
	v_mov_b32_e32 v6, 0
	s_and_saveexec_b64 s[12:13], s[10:11]
.LBB24_1719:
	v_lshrrev_b32_e32 v4, 24, v4
	s_movk_i32 s10, 0x80
	v_and_or_b32 v6, v4, s10, v5
.LBB24_1720:
	s_or_b64 exec, exec, s[12:13]
.LBB24_1721:
	s_or_b64 exec, exec, s[4:5]
	global_store_byte v[0:1], v6, off
.LBB24_1722:
	s_mov_b64 s[4:5], -1
.LBB24_1723:
	s_mov_b64 s[10:11], 0
.LBB24_1724:
	s_and_b64 vcc, exec, s[10:11]
	s_cbranch_vccz .LBB24_1764
; %bb.1725:
	s_cmp_gt_i32 s15, 22
	s_mov_b64 s[2:3], -1
	s_cbranch_scc0 .LBB24_1757
; %bb.1726:
	s_cmp_lt_i32 s15, 24
	s_cbranch_scc1 .LBB24_1746
; %bb.1727:
	s_cmp_gt_i32 s15, 24
	s_cbranch_scc0 .LBB24_1735
; %bb.1728:
	v_cvt_f32_f16_e32 v4, v3
	s_mov_b32 s2, 0x47800000
	v_mov_b32_e32 v6, 0x80
	v_and_b32_e32 v5, 0x7fffffff, v4
	v_cmp_gt_u32_e32 vcc, s2, v5
	s_and_saveexec_b64 s[2:3], vcc
	s_cbranch_execz .LBB24_1734
; %bb.1729:
	s_mov_b32 s4, 0x37ffffff
	v_cmp_lt_u32_e32 vcc, s4, v5
	s_mov_b64 s[4:5], 0
                                        ; implicit-def: $vgpr5
	s_and_saveexec_b64 s[10:11], vcc
	s_xor_b64 s[10:11], exec, s[10:11]
	s_cbranch_execz .LBB24_2059
; %bb.1730:
	v_bfe_u32 v5, v4, 21, 1
	s_mov_b32 s12, 0x88fffff
	v_add3_u32 v5, v4, v5, s12
	s_mov_b64 s[4:5], exec
	v_lshrrev_b32_e32 v5, 21, v5
	s_andn2_saveexec_b64 s[10:11], s[10:11]
	s_cbranch_execnz .LBB24_2060
.LBB24_1731:
	s_or_b64 exec, exec, s[10:11]
	v_mov_b32_e32 v6, 0
	s_and_saveexec_b64 s[10:11], s[4:5]
.LBB24_1732:
	v_lshrrev_b32_e32 v4, 24, v4
	s_movk_i32 s4, 0x80
	v_and_or_b32 v6, v4, s4, v5
.LBB24_1733:
	s_or_b64 exec, exec, s[10:11]
.LBB24_1734:
	s_or_b64 exec, exec, s[2:3]
	s_mov_b64 s[2:3], 0
	global_store_byte v[0:1], v6, off
.LBB24_1735:
	s_and_b64 vcc, exec, s[2:3]
	s_cbranch_vccz .LBB24_1745
; %bb.1736:
	v_cvt_f32_f16_e32 v4, v3
	s_mov_b32 s2, 0x43f00000
                                        ; implicit-def: $vgpr5
	v_and_b32_e32 v6, 0x7fffffff, v4
	v_cmp_gt_u32_e32 vcc, s2, v6
	s_and_saveexec_b64 s[2:3], vcc
	s_xor_b64 s[2:3], exec, s[2:3]
	s_cbranch_execz .LBB24_1742
; %bb.1737:
	s_mov_b32 s4, 0x3c7fffff
	v_cmp_lt_u32_e32 vcc, s4, v6
                                        ; implicit-def: $vgpr5
	s_and_saveexec_b64 s[4:5], vcc
	s_xor_b64 s[4:5], exec, s[4:5]
; %bb.1738:
	v_bfe_u32 v5, v4, 20, 1
	s_mov_b32 s10, 0x407ffff
	v_add3_u32 v5, v4, v5, s10
	v_lshrrev_b32_e32 v6, 20, v5
	v_and_b32_e32 v5, 0xff00000, v5
	s_mov_b32 s10, 0x7f00000
	v_mov_b32_e32 v7, 0x7e
	v_cmp_ne_u32_e32 vcc, s10, v5
	v_cndmask_b32_e32 v5, v7, v6, vcc
; %bb.1739:
	s_andn2_saveexec_b64 s[4:5], s[4:5]
; %bb.1740:
	s_mov_b32 s10, 0x46800000
	v_add_f32_e64 v5, |v4|, s10
; %bb.1741:
	s_or_b64 exec, exec, s[4:5]
                                        ; implicit-def: $vgpr6
.LBB24_1742:
	s_andn2_saveexec_b64 s[2:3], s[2:3]
; %bb.1743:
	s_mov_b32 s4, 0x7f800000
	v_mov_b32_e32 v5, 0x7e
	v_mov_b32_e32 v7, 0x7f
	v_cmp_lt_u32_e32 vcc, s4, v6
	v_cndmask_b32_e32 v5, v5, v7, vcc
; %bb.1744:
	s_or_b64 exec, exec, s[2:3]
	v_lshrrev_b32_e32 v4, 24, v4
	s_movk_i32 s2, 0x80
	v_and_or_b32 v4, v4, s2, v5
	global_store_byte v[0:1], v4, off
.LBB24_1745:
	s_mov_b64 s[2:3], 0
.LBB24_1746:
	s_andn2_b64 vcc, exec, s[2:3]
	s_cbranch_vccnz .LBB24_1756
; %bb.1747:
	v_cvt_f32_f16_e32 v4, v3
	s_mov_b32 s2, 0x47800000
                                        ; implicit-def: $vgpr5
	v_and_b32_e32 v6, 0x7fffffff, v4
	v_cmp_gt_u32_e32 vcc, s2, v6
	s_and_saveexec_b64 s[2:3], vcc
	s_xor_b64 s[2:3], exec, s[2:3]
	s_cbranch_execz .LBB24_1753
; %bb.1748:
	s_mov_b32 s4, 0x387fffff
	v_cmp_lt_u32_e32 vcc, s4, v6
                                        ; implicit-def: $vgpr5
	s_and_saveexec_b64 s[4:5], vcc
	s_xor_b64 s[4:5], exec, s[4:5]
; %bb.1749:
	v_bfe_u32 v5, v4, 21, 1
	s_mov_b32 s10, 0x80fffff
	v_add3_u32 v5, v4, v5, s10
	v_lshrrev_b32_e32 v5, 21, v5
; %bb.1750:
	s_andn2_saveexec_b64 s[4:5], s[4:5]
; %bb.1751:
	s_mov_b32 s10, 0x43000000
	v_add_f32_e64 v5, |v4|, s10
; %bb.1752:
	s_or_b64 exec, exec, s[4:5]
                                        ; implicit-def: $vgpr6
.LBB24_1753:
	s_andn2_saveexec_b64 s[2:3], s[2:3]
; %bb.1754:
	s_mov_b32 s4, 0x7f800000
	v_mov_b32_e32 v5, 0x7c
	v_mov_b32_e32 v7, 0x7f
	v_cmp_lt_u32_e32 vcc, s4, v6
	v_cndmask_b32_e32 v5, v5, v7, vcc
; %bb.1755:
	s_or_b64 exec, exec, s[2:3]
	v_lshrrev_b32_e32 v4, 24, v4
	s_movk_i32 s2, 0x80
	v_and_or_b32 v4, v4, s2, v5
	global_store_byte v[0:1], v4, off
.LBB24_1756:
	s_mov_b64 s[2:3], 0
	s_mov_b64 s[4:5], -1
.LBB24_1757:
	s_andn2_b64 vcc, exec, s[2:3]
	s_mov_b64 s[2:3], 0
	s_cbranch_vccnz .LBB24_1764
; %bb.1758:
	s_cmp_gt_i32 s15, 14
	s_mov_b64 s[10:11], -1
	s_cbranch_scc0 .LBB24_1762
; %bb.1759:
	s_cmp_eq_u32 s15, 15
	s_mov_b64 s[0:1], -1
	s_cbranch_scc0 .LBB24_1761
; %bb.1760:
	v_cvt_f32_f16_e32 v4, v3
	s_movk_i32 s0, 0x7fff
	v_cmp_o_f16_e32 vcc, v3, v3
	v_mov_b32_e32 v5, 0x7fc0
	v_bfe_u32 v6, v4, 16, 1
	v_add3_u32 v4, v4, v6, s0
	v_cndmask_b32_sdwa v4, v5, v4, vcc dst_sel:DWORD dst_unused:UNUSED_PAD src0_sel:DWORD src1_sel:WORD_1
	global_store_short v[0:1], v4, off
	s_mov_b64 s[0:1], 0
	s_mov_b64 s[4:5], -1
.LBB24_1761:
	s_mov_b64 s[10:11], 0
.LBB24_1762:
	s_and_b64 vcc, exec, s[10:11]
	s_cbranch_vccz .LBB24_1764
; %bb.1763:
	s_cmp_lg_u32 s15, 11
	s_mov_b64 s[2:3], -1
	s_cselect_b64 s[0:1], -1, 0
.LBB24_1764:
	s_and_b64 vcc, exec, s[0:1]
	s_cbranch_vccnz .LBB24_2058
; %bb.1765:
	s_andn2_b64 vcc, exec, s[2:3]
	s_cbranch_vccnz .LBB24_1767
.LBB24_1766:
	v_cmp_neq_f16_e32 vcc, 0, v3
	v_cndmask_b32_e64 v4, 0, 1, vcc
	s_mov_b64 s[4:5], -1
	global_store_byte v[0:1], v4, off
.LBB24_1767:
	s_mov_b64 s[0:1], 0
	s_branch .LBB24_1769
.LBB24_1768:
	s_mov_b64 s[0:1], -1
	s_mov_b64 s[4:5], 0
.LBB24_1769:
	s_and_b64 vcc, exec, s[0:1]
	s_cbranch_vccz .LBB24_1808
; %bb.1770:
	s_and_b32 s2, 0xffff, s20
	s_cmp_lt_i32 s2, 5
	s_mov_b64 s[0:1], -1
	s_cbranch_scc1 .LBB24_1791
; %bb.1771:
	s_cmp_lt_i32 s2, 8
	s_cbranch_scc1 .LBB24_1781
; %bb.1772:
	s_cmp_lt_i32 s2, 9
	s_cbranch_scc1 .LBB24_1778
; %bb.1773:
	s_cmp_gt_i32 s2, 9
	s_cbranch_scc0 .LBB24_1775
; %bb.1774:
	v_cvt_f32_f16_e32 v4, v3
	v_mov_b32_e32 v6, 0
	v_mov_b32_e32 v7, v6
	s_mov_b64 s[0:1], 0
	v_cvt_f64_f32_e32 v[4:5], v4
	global_store_dwordx4 v[0:1], v[4:7], off
.LBB24_1775:
	s_andn2_b64 vcc, exec, s[0:1]
	s_cbranch_vccnz .LBB24_1777
; %bb.1776:
	v_cvt_f32_f16_e32 v4, v3
	v_mov_b32_e32 v5, 0
	global_store_dwordx2 v[0:1], v[4:5], off
.LBB24_1777:
	s_mov_b64 s[0:1], 0
.LBB24_1778:
	s_andn2_b64 vcc, exec, s[0:1]
	s_cbranch_vccnz .LBB24_1780
; %bb.1779:
	global_store_dword v[0:1], v3, off
.LBB24_1780:
	s_mov_b64 s[0:1], 0
.LBB24_1781:
	s_andn2_b64 vcc, exec, s[0:1]
	s_cbranch_vccnz .LBB24_1790
; %bb.1782:
	s_cmp_lt_i32 s2, 6
	s_mov_b64 s[0:1], -1
	s_cbranch_scc1 .LBB24_1788
; %bb.1783:
	s_cmp_gt_i32 s2, 6
	s_cbranch_scc0 .LBB24_1785
; %bb.1784:
	v_cvt_f32_f16_e32 v4, v3
	s_mov_b64 s[0:1], 0
	v_cvt_f64_f32_e32 v[4:5], v4
	global_store_dwordx2 v[0:1], v[4:5], off
.LBB24_1785:
	s_andn2_b64 vcc, exec, s[0:1]
	s_cbranch_vccnz .LBB24_1787
; %bb.1786:
	v_cvt_f32_f16_e32 v4, v3
	global_store_dword v[0:1], v4, off
.LBB24_1787:
	s_mov_b64 s[0:1], 0
.LBB24_1788:
	s_andn2_b64 vcc, exec, s[0:1]
	s_cbranch_vccnz .LBB24_1790
; %bb.1789:
	global_store_short v[0:1], v3, off
.LBB24_1790:
	s_mov_b64 s[0:1], 0
.LBB24_1791:
	s_andn2_b64 vcc, exec, s[0:1]
	s_cbranch_vccnz .LBB24_1807
; %bb.1792:
	s_cmp_lt_i32 s2, 2
	s_mov_b64 s[0:1], -1
	s_cbranch_scc1 .LBB24_1802
; %bb.1793:
	s_cmp_lt_i32 s2, 3
	s_cbranch_scc1 .LBB24_1799
; %bb.1794:
	s_cmp_gt_i32 s2, 3
	s_cbranch_scc0 .LBB24_1796
; %bb.1795:
	v_cvt_f32_f16_e32 v4, v3
	s_mov_b64 s[0:1], 0
	v_cvt_i32_f32_e32 v4, v4
	v_ashrrev_i32_e32 v5, 31, v4
	global_store_dwordx2 v[0:1], v[4:5], off
.LBB24_1796:
	s_andn2_b64 vcc, exec, s[0:1]
	s_cbranch_vccnz .LBB24_1798
; %bb.1797:
	v_cvt_f32_f16_e32 v4, v3
	v_cvt_i32_f32_e32 v4, v4
	global_store_dword v[0:1], v4, off
.LBB24_1798:
	s_mov_b64 s[0:1], 0
.LBB24_1799:
	s_andn2_b64 vcc, exec, s[0:1]
	s_cbranch_vccnz .LBB24_1801
; %bb.1800:
	v_cvt_i16_f16_e32 v4, v3
	global_store_short v[0:1], v4, off
.LBB24_1801:
	s_mov_b64 s[0:1], 0
.LBB24_1802:
	s_andn2_b64 vcc, exec, s[0:1]
	s_cbranch_vccnz .LBB24_1807
; %bb.1803:
	s_cmp_gt_i32 s2, 0
	s_mov_b64 s[0:1], -1
	s_cbranch_scc0 .LBB24_1805
; %bb.1804:
	v_cvt_i16_f16_e32 v4, v3
	global_store_byte v[0:1], v4, off
	s_mov_b64 s[0:1], 0
.LBB24_1805:
	s_andn2_b64 vcc, exec, s[0:1]
	s_cbranch_vccnz .LBB24_1807
; %bb.1806:
	v_cvt_f32_f16_e32 v3, v3
	v_cvt_i32_f32_e32 v3, v3
	global_store_byte v[0:1], v3, off
.LBB24_1807:
	s_mov_b64 s[4:5], -1
.LBB24_1808:
	s_andn2_b64 vcc, exec, s[4:5]
	s_cbranch_vccnz .LBB24_2004
; %bb.1809:
	v_mul_f32_e32 v0, v14, v14
	v_mov_b32_e32 v1, 0x3c0881c4
	v_fmac_f32_e32 v1, 0xb94c1982, v0
	v_mov_b32_e32 v3, 0xbe2aaa9d
	v_fmac_f32_e32 v3, v0, v1
	v_mul_f32_e32 v1, v0, v3
	v_fmac_f32_e32 v14, v14, v1
	v_mov_b32_e32 v1, 0xbab64f3b
	v_fmac_f32_e32 v1, 0x37d75334, v0
	v_mov_b32_e32 v3, 0x3d2aabf7
	;; [unrolled: 2-line block ×3, first 2 shown]
	v_fmac_f32_e32 v1, v0, v3
	v_fma_f32 v0, v0, v1, 1.0
	v_and_b32_e32 v1, 1, v13
	v_cmp_eq_u32_e32 vcc, 0, v1
	v_lshlrev_b32_e32 v1, 30, v13
	v_and_b32_e32 v1, 0x80000000, v1
	v_xor_b32_e32 v3, v12, v11
	v_cndmask_b32_e32 v0, v0, v14, vcc
	v_xor_b32_e32 v1, v3, v1
	s_movk_i32 s0, 0x1f8
	v_xor_b32_e32 v0, v1, v0
	v_mov_b32_e32 v1, 0x7fc00000
	v_cmp_class_f32_e64 vcc, v11, s0
	v_cndmask_b32_e32 v0, v1, v0, vcc
	v_cvt_f16_f32_e32 v3, v0
	v_add_u32_e32 v2, s14, v2
	v_ashrrev_i32_e32 v1, 31, v2
	v_mov_b32_e32 v4, s9
	v_add_co_u32_e32 v0, vcc, s8, v2
	s_cmp_lt_i32 s20, 11
	v_addc_co_u32_e32 v1, vcc, v4, v1, vcc
	s_cbranch_scc1 .LBB24_1887
; %bb.1810:
	s_and_b32 s15, 0xffff, s20
	s_mov_b64 s[10:11], -1
	s_mov_b64 s[2:3], 0
	s_cmp_gt_i32 s15, 25
	s_mov_b64 s[4:5], 0
	s_mov_b64 s[0:1], 0
	s_cbranch_scc0 .LBB24_1843
; %bb.1811:
	s_cmp_gt_i32 s15, 28
	s_cbranch_scc0 .LBB24_1826
; %bb.1812:
	s_cmp_gt_i32 s15, 43
	;; [unrolled: 3-line block ×3, first 2 shown]
	s_cbranch_scc0 .LBB24_1816
; %bb.1814:
	s_mov_b64 s[0:1], -1
	s_mov_b64 s[10:11], 0
	s_cmp_eq_u32 s15, 46
	s_cbranch_scc0 .LBB24_1816
; %bb.1815:
	v_cvt_f32_f16_e32 v4, v3
	s_movk_i32 s0, 0x7fff
	v_cmp_o_f16_e32 vcc, v3, v3
	v_mov_b32_e32 v5, 0x7fc0
	v_bfe_u32 v6, v4, 16, 1
	v_add3_u32 v4, v4, v6, s0
	v_cndmask_b32_sdwa v4, v5, v4, vcc dst_sel:DWORD dst_unused:UNUSED_PAD src0_sel:DWORD src1_sel:WORD_1
	global_store_dword v[0:1], v4, off
	s_mov_b64 s[0:1], 0
	s_mov_b64 s[4:5], -1
.LBB24_1816:
	s_and_b64 vcc, exec, s[10:11]
	s_cbranch_vccz .LBB24_1821
; %bb.1817:
	s_cmp_eq_u32 s15, 44
	s_mov_b64 s[0:1], -1
	s_cbranch_scc0 .LBB24_1821
; %bb.1818:
	v_cvt_f32_f16_e32 v4, v3
	s_movk_i32 s0, 0xff
	v_mov_b32_e32 v6, 0xff
	v_bfe_u32 v5, v4, 23, 8
	v_cmp_ne_u32_e32 vcc, s0, v5
	s_and_saveexec_b64 s[4:5], vcc
; %bb.1819:
	s_mov_b32 s0, 0x3fffff
	v_lshrrev_b32_e32 v6, 23, v4
	v_and_b32_e32 v7, 0x400000, v4
	v_and_or_b32 v4, v4, s0, v5
	v_cmp_ne_u32_e32 vcc, 0, v7
	v_cmp_ne_u32_e64 s[0:1], 0, v4
	s_and_b64 s[0:1], vcc, s[0:1]
	v_cndmask_b32_e64 v4, 0, 1, s[0:1]
	v_add_u32_e32 v6, v6, v4
; %bb.1820:
	s_or_b64 exec, exec, s[4:5]
	s_mov_b64 s[0:1], 0
	s_mov_b64 s[4:5], -1
	global_store_byte v[0:1], v6, off
.LBB24_1821:
	s_mov_b64 s[10:11], 0
.LBB24_1822:
	s_and_b64 vcc, exec, s[10:11]
	s_cbranch_vccz .LBB24_1825
; %bb.1823:
	s_cmp_eq_u32 s15, 29
	s_mov_b64 s[0:1], -1
	s_cbranch_scc0 .LBB24_1825
; %bb.1824:
	v_cvt_f32_f16_e32 v4, v3
	v_mov_b32_e32 v5, 0
	s_mov_b64 s[0:1], 0
	s_mov_b64 s[4:5], -1
	v_cvt_u32_f32_e32 v4, v4
	global_store_dwordx2 v[0:1], v[4:5], off
.LBB24_1825:
	s_mov_b64 s[10:11], 0
.LBB24_1826:
	s_and_b64 vcc, exec, s[10:11]
	s_cbranch_vccz .LBB24_1842
; %bb.1827:
	s_cmp_lt_i32 s15, 27
	s_mov_b64 s[4:5], -1
	s_cbranch_scc1 .LBB24_1833
; %bb.1828:
	s_cmp_gt_i32 s15, 27
	s_cbranch_scc0 .LBB24_1830
; %bb.1829:
	v_cvt_f32_f16_e32 v4, v3
	s_mov_b64 s[4:5], 0
	v_cvt_u32_f32_e32 v4, v4
	global_store_dword v[0:1], v4, off
.LBB24_1830:
	s_andn2_b64 vcc, exec, s[4:5]
	s_cbranch_vccnz .LBB24_1832
; %bb.1831:
	v_cvt_u16_f16_e32 v4, v3
	global_store_short v[0:1], v4, off
.LBB24_1832:
	s_mov_b64 s[4:5], 0
.LBB24_1833:
	s_andn2_b64 vcc, exec, s[4:5]
	s_cbranch_vccnz .LBB24_1841
; %bb.1834:
	v_cvt_f32_f16_e32 v4, v3
	s_mov_b32 s4, 0x43800000
	v_mov_b32_e32 v6, 0x80
	v_and_b32_e32 v5, 0x7fffffff, v4
	v_cmp_gt_u32_e32 vcc, s4, v5
	s_and_saveexec_b64 s[4:5], vcc
	s_cbranch_execz .LBB24_1840
; %bb.1835:
	s_mov_b32 s10, 0x3bffffff
	v_cmp_lt_u32_e32 vcc, s10, v5
	s_mov_b64 s[10:11], 0
                                        ; implicit-def: $vgpr5
	s_and_saveexec_b64 s[12:13], vcc
	s_xor_b64 s[12:13], exec, s[12:13]
	s_cbranch_execz .LBB24_2061
; %bb.1836:
	v_bfe_u32 v5, v4, 20, 1
	s_mov_b32 s21, 0x487ffff
	v_add3_u32 v5, v4, v5, s21
	s_mov_b64 s[10:11], exec
	v_lshrrev_b32_e32 v5, 20, v5
	s_andn2_saveexec_b64 s[12:13], s[12:13]
	s_cbranch_execnz .LBB24_2062
.LBB24_1837:
	s_or_b64 exec, exec, s[12:13]
	v_mov_b32_e32 v6, 0
	s_and_saveexec_b64 s[12:13], s[10:11]
.LBB24_1838:
	v_lshrrev_b32_e32 v4, 24, v4
	s_movk_i32 s10, 0x80
	v_and_or_b32 v6, v4, s10, v5
.LBB24_1839:
	s_or_b64 exec, exec, s[12:13]
.LBB24_1840:
	s_or_b64 exec, exec, s[4:5]
	global_store_byte v[0:1], v6, off
.LBB24_1841:
	s_mov_b64 s[4:5], -1
.LBB24_1842:
	s_mov_b64 s[10:11], 0
.LBB24_1843:
	s_and_b64 vcc, exec, s[10:11]
	s_cbranch_vccz .LBB24_1883
; %bb.1844:
	s_cmp_gt_i32 s15, 22
	s_mov_b64 s[2:3], -1
	s_cbranch_scc0 .LBB24_1876
; %bb.1845:
	s_cmp_lt_i32 s15, 24
	s_cbranch_scc1 .LBB24_1865
; %bb.1846:
	s_cmp_gt_i32 s15, 24
	s_cbranch_scc0 .LBB24_1854
; %bb.1847:
	v_cvt_f32_f16_e32 v4, v3
	s_mov_b32 s2, 0x47800000
	v_mov_b32_e32 v6, 0x80
	v_and_b32_e32 v5, 0x7fffffff, v4
	v_cmp_gt_u32_e32 vcc, s2, v5
	s_and_saveexec_b64 s[2:3], vcc
	s_cbranch_execz .LBB24_1853
; %bb.1848:
	s_mov_b32 s4, 0x37ffffff
	v_cmp_lt_u32_e32 vcc, s4, v5
	s_mov_b64 s[4:5], 0
                                        ; implicit-def: $vgpr5
	s_and_saveexec_b64 s[10:11], vcc
	s_xor_b64 s[10:11], exec, s[10:11]
	s_cbranch_execz .LBB24_2064
; %bb.1849:
	v_bfe_u32 v5, v4, 21, 1
	s_mov_b32 s12, 0x88fffff
	v_add3_u32 v5, v4, v5, s12
	s_mov_b64 s[4:5], exec
	v_lshrrev_b32_e32 v5, 21, v5
	s_andn2_saveexec_b64 s[10:11], s[10:11]
	s_cbranch_execnz .LBB24_2065
.LBB24_1850:
	s_or_b64 exec, exec, s[10:11]
	v_mov_b32_e32 v6, 0
	s_and_saveexec_b64 s[10:11], s[4:5]
.LBB24_1851:
	v_lshrrev_b32_e32 v4, 24, v4
	s_movk_i32 s4, 0x80
	v_and_or_b32 v6, v4, s4, v5
.LBB24_1852:
	s_or_b64 exec, exec, s[10:11]
.LBB24_1853:
	s_or_b64 exec, exec, s[2:3]
	s_mov_b64 s[2:3], 0
	global_store_byte v[0:1], v6, off
.LBB24_1854:
	s_and_b64 vcc, exec, s[2:3]
	s_cbranch_vccz .LBB24_1864
; %bb.1855:
	v_cvt_f32_f16_e32 v4, v3
	s_mov_b32 s2, 0x43f00000
                                        ; implicit-def: $vgpr5
	v_and_b32_e32 v6, 0x7fffffff, v4
	v_cmp_gt_u32_e32 vcc, s2, v6
	s_and_saveexec_b64 s[2:3], vcc
	s_xor_b64 s[2:3], exec, s[2:3]
	s_cbranch_execz .LBB24_1861
; %bb.1856:
	s_mov_b32 s4, 0x3c7fffff
	v_cmp_lt_u32_e32 vcc, s4, v6
                                        ; implicit-def: $vgpr5
	s_and_saveexec_b64 s[4:5], vcc
	s_xor_b64 s[4:5], exec, s[4:5]
; %bb.1857:
	v_bfe_u32 v5, v4, 20, 1
	s_mov_b32 s10, 0x407ffff
	v_add3_u32 v5, v4, v5, s10
	v_lshrrev_b32_e32 v6, 20, v5
	v_and_b32_e32 v5, 0xff00000, v5
	s_mov_b32 s10, 0x7f00000
	v_mov_b32_e32 v7, 0x7e
	v_cmp_ne_u32_e32 vcc, s10, v5
	v_cndmask_b32_e32 v5, v7, v6, vcc
; %bb.1858:
	s_andn2_saveexec_b64 s[4:5], s[4:5]
; %bb.1859:
	s_mov_b32 s10, 0x46800000
	v_add_f32_e64 v5, |v4|, s10
; %bb.1860:
	s_or_b64 exec, exec, s[4:5]
                                        ; implicit-def: $vgpr6
.LBB24_1861:
	s_andn2_saveexec_b64 s[2:3], s[2:3]
; %bb.1862:
	s_mov_b32 s4, 0x7f800000
	v_mov_b32_e32 v5, 0x7e
	v_mov_b32_e32 v7, 0x7f
	v_cmp_lt_u32_e32 vcc, s4, v6
	v_cndmask_b32_e32 v5, v5, v7, vcc
; %bb.1863:
	s_or_b64 exec, exec, s[2:3]
	v_lshrrev_b32_e32 v4, 24, v4
	s_movk_i32 s2, 0x80
	v_and_or_b32 v4, v4, s2, v5
	global_store_byte v[0:1], v4, off
.LBB24_1864:
	s_mov_b64 s[2:3], 0
.LBB24_1865:
	s_andn2_b64 vcc, exec, s[2:3]
	s_cbranch_vccnz .LBB24_1875
; %bb.1866:
	v_cvt_f32_f16_e32 v4, v3
	s_mov_b32 s2, 0x47800000
                                        ; implicit-def: $vgpr5
	v_and_b32_e32 v6, 0x7fffffff, v4
	v_cmp_gt_u32_e32 vcc, s2, v6
	s_and_saveexec_b64 s[2:3], vcc
	s_xor_b64 s[2:3], exec, s[2:3]
	s_cbranch_execz .LBB24_1872
; %bb.1867:
	s_mov_b32 s4, 0x387fffff
	v_cmp_lt_u32_e32 vcc, s4, v6
                                        ; implicit-def: $vgpr5
	s_and_saveexec_b64 s[4:5], vcc
	s_xor_b64 s[4:5], exec, s[4:5]
; %bb.1868:
	v_bfe_u32 v5, v4, 21, 1
	s_mov_b32 s10, 0x80fffff
	v_add3_u32 v5, v4, v5, s10
	v_lshrrev_b32_e32 v5, 21, v5
; %bb.1869:
	s_andn2_saveexec_b64 s[4:5], s[4:5]
; %bb.1870:
	s_mov_b32 s10, 0x43000000
	v_add_f32_e64 v5, |v4|, s10
; %bb.1871:
	s_or_b64 exec, exec, s[4:5]
                                        ; implicit-def: $vgpr6
.LBB24_1872:
	s_andn2_saveexec_b64 s[2:3], s[2:3]
; %bb.1873:
	s_mov_b32 s4, 0x7f800000
	v_mov_b32_e32 v5, 0x7c
	v_mov_b32_e32 v7, 0x7f
	v_cmp_lt_u32_e32 vcc, s4, v6
	v_cndmask_b32_e32 v5, v5, v7, vcc
; %bb.1874:
	s_or_b64 exec, exec, s[2:3]
	v_lshrrev_b32_e32 v4, 24, v4
	s_movk_i32 s2, 0x80
	v_and_or_b32 v4, v4, s2, v5
	global_store_byte v[0:1], v4, off
.LBB24_1875:
	s_mov_b64 s[2:3], 0
	s_mov_b64 s[4:5], -1
.LBB24_1876:
	s_andn2_b64 vcc, exec, s[2:3]
	s_mov_b64 s[2:3], 0
	s_cbranch_vccnz .LBB24_1883
; %bb.1877:
	s_cmp_gt_i32 s15, 14
	s_mov_b64 s[10:11], -1
	s_cbranch_scc0 .LBB24_1881
; %bb.1878:
	s_cmp_eq_u32 s15, 15
	s_mov_b64 s[0:1], -1
	s_cbranch_scc0 .LBB24_1880
; %bb.1879:
	v_cvt_f32_f16_e32 v4, v3
	s_movk_i32 s0, 0x7fff
	v_cmp_o_f16_e32 vcc, v3, v3
	v_mov_b32_e32 v5, 0x7fc0
	v_bfe_u32 v6, v4, 16, 1
	v_add3_u32 v4, v4, v6, s0
	v_cndmask_b32_sdwa v4, v5, v4, vcc dst_sel:DWORD dst_unused:UNUSED_PAD src0_sel:DWORD src1_sel:WORD_1
	global_store_short v[0:1], v4, off
	s_mov_b64 s[0:1], 0
	s_mov_b64 s[4:5], -1
.LBB24_1880:
	s_mov_b64 s[10:11], 0
.LBB24_1881:
	s_and_b64 vcc, exec, s[10:11]
	s_cbranch_vccz .LBB24_1883
; %bb.1882:
	s_cmp_lg_u32 s15, 11
	s_mov_b64 s[2:3], -1
	s_cselect_b64 s[0:1], -1, 0
.LBB24_1883:
	s_and_b64 vcc, exec, s[0:1]
	s_cbranch_vccnz .LBB24_2063
; %bb.1884:
	s_andn2_b64 vcc, exec, s[2:3]
	s_cbranch_vccnz .LBB24_1886
.LBB24_1885:
	v_cmp_neq_f16_e32 vcc, 0, v3
	v_cndmask_b32_e64 v4, 0, 1, vcc
	s_mov_b64 s[4:5], -1
	global_store_byte v[0:1], v4, off
.LBB24_1886:
	s_mov_b64 s[0:1], 0
	s_branch .LBB24_1888
.LBB24_1887:
	s_mov_b64 s[0:1], -1
	s_mov_b64 s[4:5], 0
.LBB24_1888:
	s_and_b64 vcc, exec, s[0:1]
	s_cbranch_vccz .LBB24_1927
; %bb.1889:
	s_and_b32 s2, 0xffff, s20
	s_cmp_lt_i32 s2, 5
	s_mov_b64 s[0:1], -1
	s_cbranch_scc1 .LBB24_1910
; %bb.1890:
	s_cmp_lt_i32 s2, 8
	s_cbranch_scc1 .LBB24_1900
; %bb.1891:
	s_cmp_lt_i32 s2, 9
	s_cbranch_scc1 .LBB24_1897
; %bb.1892:
	s_cmp_gt_i32 s2, 9
	s_cbranch_scc0 .LBB24_1894
; %bb.1893:
	v_cvt_f32_f16_e32 v4, v3
	v_mov_b32_e32 v6, 0
	v_mov_b32_e32 v7, v6
	s_mov_b64 s[0:1], 0
	v_cvt_f64_f32_e32 v[4:5], v4
	global_store_dwordx4 v[0:1], v[4:7], off
.LBB24_1894:
	s_andn2_b64 vcc, exec, s[0:1]
	s_cbranch_vccnz .LBB24_1896
; %bb.1895:
	v_cvt_f32_f16_e32 v4, v3
	v_mov_b32_e32 v5, 0
	global_store_dwordx2 v[0:1], v[4:5], off
.LBB24_1896:
	s_mov_b64 s[0:1], 0
.LBB24_1897:
	s_andn2_b64 vcc, exec, s[0:1]
	s_cbranch_vccnz .LBB24_1899
; %bb.1898:
	global_store_dword v[0:1], v3, off
.LBB24_1899:
	s_mov_b64 s[0:1], 0
.LBB24_1900:
	s_andn2_b64 vcc, exec, s[0:1]
	s_cbranch_vccnz .LBB24_1909
; %bb.1901:
	s_cmp_lt_i32 s2, 6
	s_mov_b64 s[0:1], -1
	s_cbranch_scc1 .LBB24_1907
; %bb.1902:
	s_cmp_gt_i32 s2, 6
	s_cbranch_scc0 .LBB24_1904
; %bb.1903:
	v_cvt_f32_f16_e32 v4, v3
	s_mov_b64 s[0:1], 0
	v_cvt_f64_f32_e32 v[4:5], v4
	global_store_dwordx2 v[0:1], v[4:5], off
.LBB24_1904:
	s_andn2_b64 vcc, exec, s[0:1]
	s_cbranch_vccnz .LBB24_1906
; %bb.1905:
	v_cvt_f32_f16_e32 v4, v3
	global_store_dword v[0:1], v4, off
.LBB24_1906:
	s_mov_b64 s[0:1], 0
.LBB24_1907:
	s_andn2_b64 vcc, exec, s[0:1]
	s_cbranch_vccnz .LBB24_1909
; %bb.1908:
	global_store_short v[0:1], v3, off
.LBB24_1909:
	s_mov_b64 s[0:1], 0
.LBB24_1910:
	s_andn2_b64 vcc, exec, s[0:1]
	s_cbranch_vccnz .LBB24_1926
; %bb.1911:
	s_cmp_lt_i32 s2, 2
	s_mov_b64 s[0:1], -1
	s_cbranch_scc1 .LBB24_1921
; %bb.1912:
	s_cmp_lt_i32 s2, 3
	s_cbranch_scc1 .LBB24_1918
; %bb.1913:
	s_cmp_gt_i32 s2, 3
	s_cbranch_scc0 .LBB24_1915
; %bb.1914:
	v_cvt_f32_f16_e32 v4, v3
	s_mov_b64 s[0:1], 0
	v_cvt_i32_f32_e32 v4, v4
	v_ashrrev_i32_e32 v5, 31, v4
	global_store_dwordx2 v[0:1], v[4:5], off
.LBB24_1915:
	s_andn2_b64 vcc, exec, s[0:1]
	s_cbranch_vccnz .LBB24_1917
; %bb.1916:
	v_cvt_f32_f16_e32 v4, v3
	v_cvt_i32_f32_e32 v4, v4
	global_store_dword v[0:1], v4, off
.LBB24_1917:
	s_mov_b64 s[0:1], 0
.LBB24_1918:
	s_andn2_b64 vcc, exec, s[0:1]
	s_cbranch_vccnz .LBB24_1920
; %bb.1919:
	v_cvt_i16_f16_e32 v4, v3
	global_store_short v[0:1], v4, off
.LBB24_1920:
	s_mov_b64 s[0:1], 0
.LBB24_1921:
	s_andn2_b64 vcc, exec, s[0:1]
	s_cbranch_vccnz .LBB24_1926
; %bb.1922:
	s_cmp_gt_i32 s2, 0
	s_mov_b64 s[0:1], -1
	s_cbranch_scc0 .LBB24_1924
; %bb.1923:
	v_cvt_i16_f16_e32 v4, v3
	global_store_byte v[0:1], v4, off
	s_mov_b64 s[0:1], 0
.LBB24_1924:
	s_andn2_b64 vcc, exec, s[0:1]
	s_cbranch_vccnz .LBB24_1926
; %bb.1925:
	v_cvt_f32_f16_e32 v3, v3
	v_cvt_i32_f32_e32 v3, v3
	global_store_byte v[0:1], v3, off
.LBB24_1926:
	s_mov_b64 s[4:5], -1
.LBB24_1927:
	s_andn2_b64 vcc, exec, s[4:5]
	s_cbranch_vccnz .LBB24_2004
; %bb.1928:
	v_mul_f32_e32 v0, v18, v18
	v_mov_b32_e32 v1, 0x3c0881c4
	v_fmac_f32_e32 v1, 0xb94c1982, v0
	v_mov_b32_e32 v3, 0xbe2aaa9d
	v_fmac_f32_e32 v3, v0, v1
	v_mul_f32_e32 v1, v0, v3
	v_fmac_f32_e32 v18, v18, v1
	v_mov_b32_e32 v1, 0xbab64f3b
	v_fmac_f32_e32 v1, 0x37d75334, v0
	v_mov_b32_e32 v3, 0x3d2aabf7
	v_fmac_f32_e32 v3, v0, v1
	v_mov_b32_e32 v1, 0xbf000004
	v_fmac_f32_e32 v1, v0, v3
	v_fma_f32 v0, v0, v1, 1.0
	v_and_b32_e32 v1, 1, v17
	v_cmp_eq_u32_e32 vcc, 0, v1
	v_lshlrev_b32_e32 v1, 30, v17
	v_and_b32_e32 v1, 0x80000000, v1
	v_xor_b32_e32 v3, v16, v15
	v_cndmask_b32_e32 v0, v0, v18, vcc
	v_xor_b32_e32 v1, v3, v1
	s_movk_i32 s0, 0x1f8
	v_xor_b32_e32 v0, v1, v0
	v_mov_b32_e32 v1, 0x7fc00000
	v_cmp_class_f32_e64 vcc, v15, s0
	v_cndmask_b32_e32 v0, v1, v0, vcc
	v_cvt_f16_f32_e32 v3, v0
	v_add_u32_e32 v0, s14, v2
	v_ashrrev_i32_e32 v1, 31, v0
	v_mov_b32_e32 v2, s9
	v_add_co_u32_e32 v0, vcc, s8, v0
	s_cmp_lt_i32 s20, 11
	v_addc_co_u32_e32 v1, vcc, v2, v1, vcc
	s_cbranch_scc1 .LBB24_2049
; %bb.1929:
	s_and_b32 s12, 0xffff, s20
	s_mov_b64 s[4:5], -1
	s_mov_b64 s[2:3], 0
	s_cmp_gt_i32 s12, 25
	s_mov_b64 s[0:1], 0
	s_cbranch_scc0 .LBB24_1962
; %bb.1930:
	s_cmp_gt_i32 s12, 28
	s_cbranch_scc0 .LBB24_1946
; %bb.1931:
	s_cmp_gt_i32 s12, 43
	s_cbranch_scc0 .LBB24_1942
; %bb.1932:
	s_cmp_gt_i32 s12, 45
	s_cbranch_scc0 .LBB24_1936
; %bb.1933:
	s_cmp_eq_u32 s12, 46
	s_mov_b64 s[0:1], -1
	s_cbranch_scc0 .LBB24_1935
; %bb.1934:
	v_cvt_f32_f16_e32 v2, v3
	s_movk_i32 s0, 0x7fff
	v_cmp_o_f16_e32 vcc, v3, v3
	v_mov_b32_e32 v4, 0x7fc0
	v_bfe_u32 v5, v2, 16, 1
	v_add3_u32 v2, v2, v5, s0
	v_cndmask_b32_sdwa v2, v4, v2, vcc dst_sel:DWORD dst_unused:UNUSED_PAD src0_sel:DWORD src1_sel:WORD_1
	global_store_dword v[0:1], v2, off
	s_mov_b64 s[0:1], 0
.LBB24_1935:
	s_mov_b64 s[4:5], 0
.LBB24_1936:
	s_and_b64 vcc, exec, s[4:5]
	s_cbranch_vccz .LBB24_1941
; %bb.1937:
	s_cmp_eq_u32 s12, 44
	s_mov_b64 s[0:1], -1
	s_cbranch_scc0 .LBB24_1941
; %bb.1938:
	v_cvt_f32_f16_e32 v2, v3
	s_movk_i32 s0, 0xff
	v_mov_b32_e32 v5, 0xff
	v_bfe_u32 v4, v2, 23, 8
	v_cmp_ne_u32_e32 vcc, s0, v4
	s_and_saveexec_b64 s[4:5], vcc
; %bb.1939:
	s_mov_b32 s0, 0x3fffff
	v_lshrrev_b32_e32 v5, 23, v2
	v_and_b32_e32 v6, 0x400000, v2
	v_and_or_b32 v2, v2, s0, v4
	v_cmp_ne_u32_e32 vcc, 0, v6
	v_cmp_ne_u32_e64 s[0:1], 0, v2
	s_and_b64 s[0:1], vcc, s[0:1]
	v_cndmask_b32_e64 v2, 0, 1, s[0:1]
	v_add_u32_e32 v5, v5, v2
; %bb.1940:
	s_or_b64 exec, exec, s[4:5]
	s_mov_b64 s[0:1], 0
	global_store_byte v[0:1], v5, off
.LBB24_1941:
	s_mov_b64 s[4:5], 0
.LBB24_1942:
	s_and_b64 vcc, exec, s[4:5]
	s_cbranch_vccz .LBB24_1945
; %bb.1943:
	s_cmp_eq_u32 s12, 29
	s_mov_b64 s[0:1], -1
	s_cbranch_scc0 .LBB24_1945
; %bb.1944:
	v_cvt_f32_f16_e32 v2, v3
	v_mov_b32_e32 v5, 0
	s_mov_b64 s[0:1], 0
	v_cvt_u32_f32_e32 v4, v2
	global_store_dwordx2 v[0:1], v[4:5], off
.LBB24_1945:
	s_mov_b64 s[4:5], 0
.LBB24_1946:
	s_and_b64 vcc, exec, s[4:5]
	s_cbranch_vccz .LBB24_1961
; %bb.1947:
	s_cmp_lt_i32 s12, 27
	s_mov_b64 s[4:5], -1
	s_cbranch_scc1 .LBB24_1953
; %bb.1948:
	s_cmp_gt_i32 s12, 27
	s_cbranch_scc0 .LBB24_1950
; %bb.1949:
	v_cvt_f32_f16_e32 v2, v3
	s_mov_b64 s[4:5], 0
	v_cvt_u32_f32_e32 v2, v2
	global_store_dword v[0:1], v2, off
.LBB24_1950:
	s_andn2_b64 vcc, exec, s[4:5]
	s_cbranch_vccnz .LBB24_1952
; %bb.1951:
	v_cvt_u16_f16_e32 v2, v3
	global_store_short v[0:1], v2, off
.LBB24_1952:
	s_mov_b64 s[4:5], 0
.LBB24_1953:
	s_andn2_b64 vcc, exec, s[4:5]
	s_cbranch_vccnz .LBB24_1961
; %bb.1954:
	v_cvt_f32_f16_e32 v2, v3
	s_mov_b32 s4, 0x43800000
	v_mov_b32_e32 v5, 0x80
	v_and_b32_e32 v4, 0x7fffffff, v2
	v_cmp_gt_u32_e32 vcc, s4, v4
	s_and_saveexec_b64 s[4:5], vcc
	s_cbranch_execz .LBB24_1960
; %bb.1955:
	s_mov_b32 s8, 0x3bffffff
	v_cmp_lt_u32_e32 vcc, s8, v4
	s_mov_b64 s[8:9], 0
                                        ; implicit-def: $vgpr4
	s_and_saveexec_b64 s[10:11], vcc
	s_xor_b64 s[10:11], exec, s[10:11]
	s_cbranch_execz .LBB24_2066
; %bb.1956:
	v_bfe_u32 v4, v2, 20, 1
	s_mov_b32 s13, 0x487ffff
	v_add3_u32 v4, v2, v4, s13
	s_mov_b64 s[8:9], exec
	v_lshrrev_b32_e32 v4, 20, v4
	s_andn2_saveexec_b64 s[10:11], s[10:11]
	s_cbranch_execnz .LBB24_2067
.LBB24_1957:
	s_or_b64 exec, exec, s[10:11]
	v_mov_b32_e32 v5, 0
	s_and_saveexec_b64 s[10:11], s[8:9]
.LBB24_1958:
	v_lshrrev_b32_e32 v2, 24, v2
	s_movk_i32 s8, 0x80
	v_and_or_b32 v5, v2, s8, v4
.LBB24_1959:
	s_or_b64 exec, exec, s[10:11]
.LBB24_1960:
	s_or_b64 exec, exec, s[4:5]
	global_store_byte v[0:1], v5, off
.LBB24_1961:
	s_mov_b64 s[4:5], 0
.LBB24_1962:
	s_and_b64 vcc, exec, s[4:5]
	s_cbranch_vccz .LBB24_2002
; %bb.1963:
	s_cmp_gt_i32 s12, 22
	s_mov_b64 s[2:3], -1
	s_cbranch_scc0 .LBB24_1995
; %bb.1964:
	s_cmp_lt_i32 s12, 24
	s_cbranch_scc1 .LBB24_1984
; %bb.1965:
	s_cmp_gt_i32 s12, 24
	s_cbranch_scc0 .LBB24_1973
; %bb.1966:
	v_cvt_f32_f16_e32 v2, v3
	s_mov_b32 s2, 0x47800000
	v_mov_b32_e32 v5, 0x80
	v_and_b32_e32 v4, 0x7fffffff, v2
	v_cmp_gt_u32_e32 vcc, s2, v4
	s_and_saveexec_b64 s[2:3], vcc
	s_cbranch_execz .LBB24_1972
; %bb.1967:
	s_mov_b32 s4, 0x37ffffff
	v_cmp_lt_u32_e32 vcc, s4, v4
	s_mov_b64 s[4:5], 0
                                        ; implicit-def: $vgpr4
	s_and_saveexec_b64 s[8:9], vcc
	s_xor_b64 s[8:9], exec, s[8:9]
	s_cbranch_execz .LBB24_2069
; %bb.1968:
	v_bfe_u32 v4, v2, 21, 1
	s_mov_b32 s10, 0x88fffff
	v_add3_u32 v4, v2, v4, s10
	s_mov_b64 s[4:5], exec
	v_lshrrev_b32_e32 v4, 21, v4
	s_andn2_saveexec_b64 s[8:9], s[8:9]
	s_cbranch_execnz .LBB24_2070
.LBB24_1969:
	s_or_b64 exec, exec, s[8:9]
	v_mov_b32_e32 v5, 0
	s_and_saveexec_b64 s[8:9], s[4:5]
.LBB24_1970:
	v_lshrrev_b32_e32 v2, 24, v2
	s_movk_i32 s4, 0x80
	v_and_or_b32 v5, v2, s4, v4
.LBB24_1971:
	s_or_b64 exec, exec, s[8:9]
.LBB24_1972:
	s_or_b64 exec, exec, s[2:3]
	s_mov_b64 s[2:3], 0
	global_store_byte v[0:1], v5, off
.LBB24_1973:
	s_and_b64 vcc, exec, s[2:3]
	s_cbranch_vccz .LBB24_1983
; %bb.1974:
	v_cvt_f32_f16_e32 v2, v3
	s_mov_b32 s2, 0x43f00000
                                        ; implicit-def: $vgpr4
	v_and_b32_e32 v5, 0x7fffffff, v2
	v_cmp_gt_u32_e32 vcc, s2, v5
	s_and_saveexec_b64 s[2:3], vcc
	s_xor_b64 s[2:3], exec, s[2:3]
	s_cbranch_execz .LBB24_1980
; %bb.1975:
	s_mov_b32 s4, 0x3c7fffff
	v_cmp_lt_u32_e32 vcc, s4, v5
                                        ; implicit-def: $vgpr4
	s_and_saveexec_b64 s[4:5], vcc
	s_xor_b64 s[4:5], exec, s[4:5]
; %bb.1976:
	v_bfe_u32 v4, v2, 20, 1
	s_mov_b32 s8, 0x407ffff
	v_add3_u32 v4, v2, v4, s8
	v_lshrrev_b32_e32 v5, 20, v4
	v_and_b32_e32 v4, 0xff00000, v4
	s_mov_b32 s8, 0x7f00000
	v_mov_b32_e32 v6, 0x7e
	v_cmp_ne_u32_e32 vcc, s8, v4
	v_cndmask_b32_e32 v4, v6, v5, vcc
; %bb.1977:
	s_andn2_saveexec_b64 s[4:5], s[4:5]
; %bb.1978:
	s_mov_b32 s8, 0x46800000
	v_add_f32_e64 v4, |v2|, s8
; %bb.1979:
	s_or_b64 exec, exec, s[4:5]
                                        ; implicit-def: $vgpr5
.LBB24_1980:
	s_andn2_saveexec_b64 s[2:3], s[2:3]
; %bb.1981:
	s_mov_b32 s4, 0x7f800000
	v_mov_b32_e32 v4, 0x7e
	v_mov_b32_e32 v6, 0x7f
	v_cmp_lt_u32_e32 vcc, s4, v5
	v_cndmask_b32_e32 v4, v4, v6, vcc
; %bb.1982:
	s_or_b64 exec, exec, s[2:3]
	v_lshrrev_b32_e32 v2, 24, v2
	s_movk_i32 s2, 0x80
	v_and_or_b32 v2, v2, s2, v4
	global_store_byte v[0:1], v2, off
.LBB24_1983:
	s_mov_b64 s[2:3], 0
.LBB24_1984:
	s_andn2_b64 vcc, exec, s[2:3]
	s_cbranch_vccnz .LBB24_1994
; %bb.1985:
	v_cvt_f32_f16_e32 v2, v3
	s_mov_b32 s2, 0x47800000
                                        ; implicit-def: $vgpr4
	v_and_b32_e32 v5, 0x7fffffff, v2
	v_cmp_gt_u32_e32 vcc, s2, v5
	s_and_saveexec_b64 s[2:3], vcc
	s_xor_b64 s[2:3], exec, s[2:3]
	s_cbranch_execz .LBB24_1991
; %bb.1986:
	s_mov_b32 s4, 0x387fffff
	v_cmp_lt_u32_e32 vcc, s4, v5
                                        ; implicit-def: $vgpr4
	s_and_saveexec_b64 s[4:5], vcc
	s_xor_b64 s[4:5], exec, s[4:5]
; %bb.1987:
	v_bfe_u32 v4, v2, 21, 1
	s_mov_b32 s8, 0x80fffff
	v_add3_u32 v4, v2, v4, s8
	v_lshrrev_b32_e32 v4, 21, v4
; %bb.1988:
	s_andn2_saveexec_b64 s[4:5], s[4:5]
; %bb.1989:
	s_mov_b32 s8, 0x43000000
	v_add_f32_e64 v4, |v2|, s8
; %bb.1990:
	s_or_b64 exec, exec, s[4:5]
                                        ; implicit-def: $vgpr5
.LBB24_1991:
	s_andn2_saveexec_b64 s[2:3], s[2:3]
; %bb.1992:
	s_mov_b32 s4, 0x7f800000
	v_mov_b32_e32 v4, 0x7c
	v_mov_b32_e32 v6, 0x7f
	v_cmp_lt_u32_e32 vcc, s4, v5
	v_cndmask_b32_e32 v4, v4, v6, vcc
; %bb.1993:
	s_or_b64 exec, exec, s[2:3]
	v_lshrrev_b32_e32 v2, 24, v2
	s_movk_i32 s2, 0x80
	v_and_or_b32 v2, v2, s2, v4
	global_store_byte v[0:1], v2, off
.LBB24_1994:
	s_mov_b64 s[2:3], 0
.LBB24_1995:
	s_andn2_b64 vcc, exec, s[2:3]
	s_mov_b64 s[2:3], 0
	s_cbranch_vccnz .LBB24_2002
; %bb.1996:
	s_cmp_gt_i32 s12, 14
	s_mov_b64 s[4:5], -1
	s_cbranch_scc0 .LBB24_2000
; %bb.1997:
	s_cmp_eq_u32 s12, 15
	s_mov_b64 s[0:1], -1
	s_cbranch_scc0 .LBB24_1999
; %bb.1998:
	v_cvt_f32_f16_e32 v2, v3
	s_movk_i32 s0, 0x7fff
	v_cmp_o_f16_e32 vcc, v3, v3
	v_mov_b32_e32 v4, 0x7fc0
	v_bfe_u32 v5, v2, 16, 1
	v_add3_u32 v2, v2, v5, s0
	v_cndmask_b32_sdwa v2, v4, v2, vcc dst_sel:DWORD dst_unused:UNUSED_PAD src0_sel:DWORD src1_sel:WORD_1
	global_store_short v[0:1], v2, off
	s_mov_b64 s[0:1], 0
.LBB24_1999:
	s_mov_b64 s[4:5], 0
.LBB24_2000:
	s_and_b64 vcc, exec, s[4:5]
	s_cbranch_vccz .LBB24_2002
; %bb.2001:
	s_cmp_lg_u32 s12, 11
	s_mov_b64 s[2:3], -1
	s_cselect_b64 s[0:1], -1, 0
.LBB24_2002:
	s_and_b64 vcc, exec, s[0:1]
	s_cbranch_vccnz .LBB24_2068
.LBB24_2003:
	s_mov_b64 s[0:1], 0
	s_branch .LBB24_2005
.LBB24_2004:
	s_mov_b64 s[0:1], 0
	s_mov_b64 s[2:3], 0
                                        ; implicit-def: $sgpr20
                                        ; implicit-def: $vgpr0_vgpr1
                                        ; implicit-def: $vgpr3
.LBB24_2005:
	s_and_b64 s[14:15], s[2:3], exec
	s_andn2_b64 s[2:3], s[16:17], exec
	s_and_b64 s[4:5], s[18:19], exec
	s_and_b64 s[0:1], s[0:1], exec
	s_or_b64 s[16:17], s[2:3], s[4:5]
.LBB24_2006:
	s_or_b64 exec, exec, s[6:7]
	s_and_saveexec_b64 s[2:3], s[16:17]
	s_cbranch_execz .LBB24_2009
; %bb.2007:
	; divergent unreachable
	s_or_b64 exec, exec, s[2:3]
	s_and_saveexec_b64 s[2:3], s[14:15]
	s_xor_b64 s[2:3], exec, s[2:3]
	s_cbranch_execnz .LBB24_2010
.LBB24_2008:
	s_or_b64 exec, exec, s[2:3]
	s_and_saveexec_b64 s[2:3], s[0:1]
	s_cbranch_execnz .LBB24_2011
	s_branch .LBB24_2048
.LBB24_2009:
	s_or_b64 exec, exec, s[2:3]
	s_and_saveexec_b64 s[2:3], s[14:15]
	s_xor_b64 s[2:3], exec, s[2:3]
	s_cbranch_execz .LBB24_2008
.LBB24_2010:
	s_waitcnt vmcnt(0)
	v_cmp_neq_f16_e32 vcc, 0, v3
	v_cndmask_b32_e64 v2, 0, 1, vcc
	global_store_byte v[0:1], v2, off
	s_or_b64 exec, exec, s[2:3]
	s_and_saveexec_b64 s[2:3], s[0:1]
	s_cbranch_execz .LBB24_2048
.LBB24_2011:
	s_sext_i32_i16 s2, s20
	s_cmp_lt_i32 s2, 5
	s_mov_b64 s[0:1], -1
	s_cbranch_scc1 .LBB24_2032
; %bb.2012:
	s_cmp_lt_i32 s2, 8
	s_cbranch_scc1 .LBB24_2022
; %bb.2013:
	s_cmp_lt_i32 s2, 9
	s_cbranch_scc1 .LBB24_2019
; %bb.2014:
	s_cmp_gt_i32 s2, 9
	s_cbranch_scc0 .LBB24_2016
; %bb.2015:
	s_waitcnt vmcnt(0)
	v_cvt_f32_f16_e32 v2, v3
	v_mov_b32_e32 v6, 0
	v_mov_b32_e32 v7, v6
	s_mov_b64 s[0:1], 0
	v_cvt_f64_f32_e32 v[4:5], v2
	global_store_dwordx4 v[0:1], v[4:7], off
.LBB24_2016:
	s_andn2_b64 vcc, exec, s[0:1]
	s_cbranch_vccnz .LBB24_2018
; %bb.2017:
	s_waitcnt vmcnt(0)
	v_cvt_f32_f16_e32 v4, v3
	v_mov_b32_e32 v5, 0
	global_store_dwordx2 v[0:1], v[4:5], off
.LBB24_2018:
	s_mov_b64 s[0:1], 0
.LBB24_2019:
	s_andn2_b64 vcc, exec, s[0:1]
	s_cbranch_vccnz .LBB24_2021
; %bb.2020:
	s_waitcnt vmcnt(0)
	v_and_b32_e32 v2, 0xffff, v3
	global_store_dword v[0:1], v2, off
.LBB24_2021:
	s_mov_b64 s[0:1], 0
.LBB24_2022:
	s_andn2_b64 vcc, exec, s[0:1]
	s_cbranch_vccnz .LBB24_2031
; %bb.2023:
	s_sext_i32_i16 s2, s20
	s_cmp_lt_i32 s2, 6
	s_mov_b64 s[0:1], -1
	s_cbranch_scc1 .LBB24_2029
; %bb.2024:
	s_cmp_gt_i32 s2, 6
	s_cbranch_scc0 .LBB24_2026
; %bb.2025:
	s_waitcnt vmcnt(0)
	v_cvt_f32_f16_e32 v2, v3
	s_mov_b64 s[0:1], 0
	v_cvt_f64_f32_e32 v[4:5], v2
	global_store_dwordx2 v[0:1], v[4:5], off
.LBB24_2026:
	s_andn2_b64 vcc, exec, s[0:1]
	s_cbranch_vccnz .LBB24_2028
; %bb.2027:
	s_waitcnt vmcnt(0)
	v_cvt_f32_f16_e32 v2, v3
	global_store_dword v[0:1], v2, off
.LBB24_2028:
	s_mov_b64 s[0:1], 0
.LBB24_2029:
	s_andn2_b64 vcc, exec, s[0:1]
	s_cbranch_vccnz .LBB24_2031
; %bb.2030:
	s_waitcnt vmcnt(0)
	global_store_short v[0:1], v3, off
.LBB24_2031:
	s_mov_b64 s[0:1], 0
.LBB24_2032:
	s_andn2_b64 vcc, exec, s[0:1]
	s_cbranch_vccnz .LBB24_2048
; %bb.2033:
	s_sext_i32_i16 s2, s20
	s_cmp_lt_i32 s2, 2
	s_mov_b64 s[0:1], -1
	s_cbranch_scc1 .LBB24_2043
; %bb.2034:
	s_cmp_lt_i32 s2, 3
	s_cbranch_scc1 .LBB24_2040
; %bb.2035:
	s_cmp_gt_i32 s2, 3
	s_cbranch_scc0 .LBB24_2037
; %bb.2036:
	s_waitcnt vmcnt(0)
	v_cvt_f32_f16_e32 v2, v3
	s_mov_b64 s[0:1], 0
	v_cvt_i32_f32_e32 v4, v2
	v_ashrrev_i32_e32 v5, 31, v4
	global_store_dwordx2 v[0:1], v[4:5], off
.LBB24_2037:
	s_andn2_b64 vcc, exec, s[0:1]
	s_cbranch_vccnz .LBB24_2039
; %bb.2038:
	s_waitcnt vmcnt(0)
	v_cvt_f32_f16_e32 v2, v3
	v_cvt_i32_f32_e32 v2, v2
	global_store_dword v[0:1], v2, off
.LBB24_2039:
	s_mov_b64 s[0:1], 0
.LBB24_2040:
	s_andn2_b64 vcc, exec, s[0:1]
	s_cbranch_vccnz .LBB24_2042
; %bb.2041:
	s_waitcnt vmcnt(0)
	v_cvt_i16_f16_e32 v2, v3
	global_store_short v[0:1], v2, off
.LBB24_2042:
	s_mov_b64 s[0:1], 0
.LBB24_2043:
	s_andn2_b64 vcc, exec, s[0:1]
	s_cbranch_vccnz .LBB24_2048
; %bb.2044:
	s_sext_i32_i16 s0, s20
	s_cmp_gt_i32 s0, 0
	s_mov_b64 s[0:1], -1
	s_cbranch_scc0 .LBB24_2046
; %bb.2045:
	s_waitcnt vmcnt(0)
	v_cvt_i16_f16_e32 v2, v3
	global_store_byte v[0:1], v2, off
	s_mov_b64 s[0:1], 0
.LBB24_2046:
	s_andn2_b64 vcc, exec, s[0:1]
	s_cbranch_vccnz .LBB24_2048
; %bb.2047:
	s_waitcnt vmcnt(0)
	v_cvt_f32_f16_e32 v2, v3
	v_cvt_i32_f32_e32 v2, v2
	global_store_byte v[0:1], v2, off
	s_endpgm
.LBB24_2048:
	s_endpgm
.LBB24_2049:
	s_mov_b64 s[2:3], 0
	s_mov_b64 s[0:1], -1
	s_branch .LBB24_2005
.LBB24_2050:
	s_trap 2
	s_or_b64 s[18:19], s[18:19], exec
	s_cbranch_execz .LBB24_1515
	s_branch .LBB24_1516
.LBB24_2051:
	s_andn2_saveexec_b64 s[14:15], s[14:15]
	s_cbranch_execz .LBB24_1599
.LBB24_2052:
	s_mov_b32 s21, 0x46000000
	v_add_f32_e64 v5, |v4|, s21
	v_and_b32_e32 v5, 0xff, v5
	v_cmp_ne_u32_e32 vcc, 0, v5
	s_andn2_b64 s[10:11], s[10:11], exec
	s_and_b64 s[22:23], vcc, exec
	s_or_b64 s[10:11], s[10:11], s[22:23]
	s_or_b64 exec, exec, s[14:15]
	v_mov_b32_e32 v6, 0
	s_and_saveexec_b64 s[14:15], s[10:11]
	s_cbranch_execnz .LBB24_1600
	s_branch .LBB24_1601
.LBB24_2053:
	s_trap 2
	s_or_b64 s[18:19], s[18:19], exec
	s_cbranch_execz .LBB24_1647
	s_branch .LBB24_1648
.LBB24_2054:
	s_andn2_saveexec_b64 s[10:11], s[10:11]
	s_cbranch_execz .LBB24_1612
.LBB24_2055:
	s_mov_b32 s14, 0x42800000
	v_add_f32_e64 v5, |v4|, s14
	v_and_b32_e32 v5, 0xff, v5
	v_cmp_ne_u32_e32 vcc, 0, v5
	s_andn2_b64 s[4:5], s[4:5], exec
	s_and_b64 s[14:15], vcc, exec
	s_or_b64 s[4:5], s[4:5], s[14:15]
	s_or_b64 exec, exec, s[10:11]
	v_mov_b32_e32 v6, 0
	s_and_saveexec_b64 s[10:11], s[4:5]
	s_cbranch_execnz .LBB24_1613
	s_branch .LBB24_1614
.LBB24_2056:
	s_andn2_saveexec_b64 s[12:13], s[12:13]
	s_cbranch_execz .LBB24_1718
.LBB24_2057:
	s_mov_b32 s21, 0x46000000
	v_add_f32_e64 v5, |v4|, s21
	v_and_b32_e32 v5, 0xff, v5
	v_cmp_ne_u32_e32 vcc, 0, v5
	s_andn2_b64 s[10:11], s[10:11], exec
	s_and_b64 s[22:23], vcc, exec
	s_or_b64 s[10:11], s[10:11], s[22:23]
	s_or_b64 exec, exec, s[12:13]
	v_mov_b32_e32 v6, 0
	s_and_saveexec_b64 s[12:13], s[10:11]
	s_cbranch_execnz .LBB24_1719
	s_branch .LBB24_1720
.LBB24_2058:
	s_trap 2
	s_or_b64 s[18:19], s[18:19], exec
	s_cbranch_execz .LBB24_1766
	s_branch .LBB24_1767
.LBB24_2059:
	s_andn2_saveexec_b64 s[10:11], s[10:11]
	s_cbranch_execz .LBB24_1731
.LBB24_2060:
	s_mov_b32 s12, 0x42800000
	v_add_f32_e64 v5, |v4|, s12
	v_and_b32_e32 v5, 0xff, v5
	v_cmp_ne_u32_e32 vcc, 0, v5
	s_andn2_b64 s[4:5], s[4:5], exec
	s_and_b64 s[12:13], vcc, exec
	s_or_b64 s[4:5], s[4:5], s[12:13]
	s_or_b64 exec, exec, s[10:11]
	v_mov_b32_e32 v6, 0
	s_and_saveexec_b64 s[10:11], s[4:5]
	s_cbranch_execnz .LBB24_1732
	s_branch .LBB24_1733
.LBB24_2061:
	s_andn2_saveexec_b64 s[12:13], s[12:13]
	s_cbranch_execz .LBB24_1837
.LBB24_2062:
	s_mov_b32 s21, 0x46000000
	v_add_f32_e64 v5, |v4|, s21
	v_and_b32_e32 v5, 0xff, v5
	v_cmp_ne_u32_e32 vcc, 0, v5
	s_andn2_b64 s[10:11], s[10:11], exec
	s_and_b64 s[22:23], vcc, exec
	s_or_b64 s[10:11], s[10:11], s[22:23]
	s_or_b64 exec, exec, s[12:13]
	v_mov_b32_e32 v6, 0
	s_and_saveexec_b64 s[12:13], s[10:11]
	s_cbranch_execnz .LBB24_1838
	s_branch .LBB24_1839
.LBB24_2063:
	s_trap 2
	s_or_b64 s[18:19], s[18:19], exec
	s_cbranch_execz .LBB24_1885
	s_branch .LBB24_1886
.LBB24_2064:
	s_andn2_saveexec_b64 s[10:11], s[10:11]
	s_cbranch_execz .LBB24_1850
.LBB24_2065:
	s_mov_b32 s12, 0x42800000
	v_add_f32_e64 v5, |v4|, s12
	v_and_b32_e32 v5, 0xff, v5
	v_cmp_ne_u32_e32 vcc, 0, v5
	s_andn2_b64 s[4:5], s[4:5], exec
	s_and_b64 s[12:13], vcc, exec
	s_or_b64 s[4:5], s[4:5], s[12:13]
	s_or_b64 exec, exec, s[10:11]
	v_mov_b32_e32 v6, 0
	s_and_saveexec_b64 s[10:11], s[4:5]
	s_cbranch_execnz .LBB24_1851
	s_branch .LBB24_1852
.LBB24_2066:
	s_andn2_saveexec_b64 s[10:11], s[10:11]
	s_cbranch_execz .LBB24_1957
.LBB24_2067:
	s_mov_b32 s13, 0x46000000
	v_add_f32_e64 v4, |v2|, s13
	v_and_b32_e32 v4, 0xff, v4
	v_cmp_ne_u32_e32 vcc, 0, v4
	s_andn2_b64 s[8:9], s[8:9], exec
	s_and_b64 s[14:15], vcc, exec
	s_or_b64 s[8:9], s[8:9], s[14:15]
	s_or_b64 exec, exec, s[10:11]
	v_mov_b32_e32 v5, 0
	s_and_saveexec_b64 s[10:11], s[8:9]
	s_cbranch_execnz .LBB24_1958
	s_branch .LBB24_1959
.LBB24_2068:
	s_mov_b64 s[2:3], 0
	s_or_b64 s[18:19], s[18:19], exec
	s_trap 2
	s_branch .LBB24_2003
.LBB24_2069:
	s_andn2_saveexec_b64 s[8:9], s[8:9]
	s_cbranch_execz .LBB24_1969
.LBB24_2070:
	s_mov_b32 s10, 0x42800000
	v_add_f32_e64 v4, |v2|, s10
	v_and_b32_e32 v4, 0xff, v4
	v_cmp_ne_u32_e32 vcc, 0, v4
	s_andn2_b64 s[4:5], s[4:5], exec
	s_and_b64 s[10:11], vcc, exec
	s_or_b64 s[4:5], s[4:5], s[10:11]
	s_or_b64 exec, exec, s[8:9]
	v_mov_b32_e32 v5, 0
	s_and_saveexec_b64 s[8:9], s[4:5]
	s_cbranch_execnz .LBB24_1970
	s_branch .LBB24_1971
	.section	.rodata,"a",@progbits
	.p2align	6, 0x0
	.amdhsa_kernel _ZN2at6native32elementwise_kernel_manual_unrollILi128ELi4EZNS0_15gpu_kernel_implIZZZNS0_15sin_kernel_cudaERNS_18TensorIteratorBaseEENKUlvE0_clEvENKUlvE1_clEvEUlN3c104HalfEE_EEvS4_RKT_EUlibE_EEviT1_
		.amdhsa_group_segment_fixed_size 0
		.amdhsa_private_segment_fixed_size 0
		.amdhsa_kernarg_size 40
		.amdhsa_user_sgpr_count 6
		.amdhsa_user_sgpr_private_segment_buffer 1
		.amdhsa_user_sgpr_dispatch_ptr 0
		.amdhsa_user_sgpr_queue_ptr 0
		.amdhsa_user_sgpr_kernarg_segment_ptr 1
		.amdhsa_user_sgpr_dispatch_id 0
		.amdhsa_user_sgpr_flat_scratch_init 0
		.amdhsa_user_sgpr_private_segment_size 0
		.amdhsa_uses_dynamic_stack 0
		.amdhsa_system_sgpr_private_segment_wavefront_offset 0
		.amdhsa_system_sgpr_workgroup_id_x 1
		.amdhsa_system_sgpr_workgroup_id_y 0
		.amdhsa_system_sgpr_workgroup_id_z 0
		.amdhsa_system_sgpr_workgroup_info 0
		.amdhsa_system_vgpr_workitem_id 0
		.amdhsa_next_free_vgpr 27
		.amdhsa_next_free_sgpr 44
		.amdhsa_reserve_vcc 1
		.amdhsa_reserve_flat_scratch 0
		.amdhsa_float_round_mode_32 0
		.amdhsa_float_round_mode_16_64 0
		.amdhsa_float_denorm_mode_32 3
		.amdhsa_float_denorm_mode_16_64 3
		.amdhsa_dx10_clamp 1
		.amdhsa_ieee_mode 1
		.amdhsa_fp16_overflow 0
		.amdhsa_exception_fp_ieee_invalid_op 0
		.amdhsa_exception_fp_denorm_src 0
		.amdhsa_exception_fp_ieee_div_zero 0
		.amdhsa_exception_fp_ieee_overflow 0
		.amdhsa_exception_fp_ieee_underflow 0
		.amdhsa_exception_fp_ieee_inexact 0
		.amdhsa_exception_int_div_zero 0
	.end_amdhsa_kernel
	.section	.text._ZN2at6native32elementwise_kernel_manual_unrollILi128ELi4EZNS0_15gpu_kernel_implIZZZNS0_15sin_kernel_cudaERNS_18TensorIteratorBaseEENKUlvE0_clEvENKUlvE1_clEvEUlN3c104HalfEE_EEvS4_RKT_EUlibE_EEviT1_,"axG",@progbits,_ZN2at6native32elementwise_kernel_manual_unrollILi128ELi4EZNS0_15gpu_kernel_implIZZZNS0_15sin_kernel_cudaERNS_18TensorIteratorBaseEENKUlvE0_clEvENKUlvE1_clEvEUlN3c104HalfEE_EEvS4_RKT_EUlibE_EEviT1_,comdat
.Lfunc_end24:
	.size	_ZN2at6native32elementwise_kernel_manual_unrollILi128ELi4EZNS0_15gpu_kernel_implIZZZNS0_15sin_kernel_cudaERNS_18TensorIteratorBaseEENKUlvE0_clEvENKUlvE1_clEvEUlN3c104HalfEE_EEvS4_RKT_EUlibE_EEviT1_, .Lfunc_end24-_ZN2at6native32elementwise_kernel_manual_unrollILi128ELi4EZNS0_15gpu_kernel_implIZZZNS0_15sin_kernel_cudaERNS_18TensorIteratorBaseEENKUlvE0_clEvENKUlvE1_clEvEUlN3c104HalfEE_EEvS4_RKT_EUlibE_EEviT1_
                                        ; -- End function
	.set _ZN2at6native32elementwise_kernel_manual_unrollILi128ELi4EZNS0_15gpu_kernel_implIZZZNS0_15sin_kernel_cudaERNS_18TensorIteratorBaseEENKUlvE0_clEvENKUlvE1_clEvEUlN3c104HalfEE_EEvS4_RKT_EUlibE_EEviT1_.num_vgpr, 27
	.set _ZN2at6native32elementwise_kernel_manual_unrollILi128ELi4EZNS0_15gpu_kernel_implIZZZNS0_15sin_kernel_cudaERNS_18TensorIteratorBaseEENKUlvE0_clEvENKUlvE1_clEvEUlN3c104HalfEE_EEvS4_RKT_EUlibE_EEviT1_.num_agpr, 0
	.set _ZN2at6native32elementwise_kernel_manual_unrollILi128ELi4EZNS0_15gpu_kernel_implIZZZNS0_15sin_kernel_cudaERNS_18TensorIteratorBaseEENKUlvE0_clEvENKUlvE1_clEvEUlN3c104HalfEE_EEvS4_RKT_EUlibE_EEviT1_.numbered_sgpr, 44
	.set _ZN2at6native32elementwise_kernel_manual_unrollILi128ELi4EZNS0_15gpu_kernel_implIZZZNS0_15sin_kernel_cudaERNS_18TensorIteratorBaseEENKUlvE0_clEvENKUlvE1_clEvEUlN3c104HalfEE_EEvS4_RKT_EUlibE_EEviT1_.num_named_barrier, 0
	.set _ZN2at6native32elementwise_kernel_manual_unrollILi128ELi4EZNS0_15gpu_kernel_implIZZZNS0_15sin_kernel_cudaERNS_18TensorIteratorBaseEENKUlvE0_clEvENKUlvE1_clEvEUlN3c104HalfEE_EEvS4_RKT_EUlibE_EEviT1_.private_seg_size, 0
	.set _ZN2at6native32elementwise_kernel_manual_unrollILi128ELi4EZNS0_15gpu_kernel_implIZZZNS0_15sin_kernel_cudaERNS_18TensorIteratorBaseEENKUlvE0_clEvENKUlvE1_clEvEUlN3c104HalfEE_EEvS4_RKT_EUlibE_EEviT1_.uses_vcc, 1
	.set _ZN2at6native32elementwise_kernel_manual_unrollILi128ELi4EZNS0_15gpu_kernel_implIZZZNS0_15sin_kernel_cudaERNS_18TensorIteratorBaseEENKUlvE0_clEvENKUlvE1_clEvEUlN3c104HalfEE_EEvS4_RKT_EUlibE_EEviT1_.uses_flat_scratch, 0
	.set _ZN2at6native32elementwise_kernel_manual_unrollILi128ELi4EZNS0_15gpu_kernel_implIZZZNS0_15sin_kernel_cudaERNS_18TensorIteratorBaseEENKUlvE0_clEvENKUlvE1_clEvEUlN3c104HalfEE_EEvS4_RKT_EUlibE_EEviT1_.has_dyn_sized_stack, 0
	.set _ZN2at6native32elementwise_kernel_manual_unrollILi128ELi4EZNS0_15gpu_kernel_implIZZZNS0_15sin_kernel_cudaERNS_18TensorIteratorBaseEENKUlvE0_clEvENKUlvE1_clEvEUlN3c104HalfEE_EEvS4_RKT_EUlibE_EEviT1_.has_recursion, 0
	.set _ZN2at6native32elementwise_kernel_manual_unrollILi128ELi4EZNS0_15gpu_kernel_implIZZZNS0_15sin_kernel_cudaERNS_18TensorIteratorBaseEENKUlvE0_clEvENKUlvE1_clEvEUlN3c104HalfEE_EEvS4_RKT_EUlibE_EEviT1_.has_indirect_call, 0
	.section	.AMDGPU.csdata,"",@progbits
; Kernel info:
; codeLenInByte = 42252
; TotalNumSgprs: 48
; NumVgprs: 27
; ScratchSize: 0
; MemoryBound: 0
; FloatMode: 240
; IeeeMode: 1
; LDSByteSize: 0 bytes/workgroup (compile time only)
; SGPRBlocks: 5
; VGPRBlocks: 6
; NumSGPRsForWavesPerEU: 48
; NumVGPRsForWavesPerEU: 27
; Occupancy: 9
; WaveLimiterHint : 0
; COMPUTE_PGM_RSRC2:SCRATCH_EN: 0
; COMPUTE_PGM_RSRC2:USER_SGPR: 6
; COMPUTE_PGM_RSRC2:TRAP_HANDLER: 0
; COMPUTE_PGM_RSRC2:TGID_X_EN: 1
; COMPUTE_PGM_RSRC2:TGID_Y_EN: 0
; COMPUTE_PGM_RSRC2:TGID_Z_EN: 0
; COMPUTE_PGM_RSRC2:TIDIG_COMP_CNT: 0
	.section	.text._ZN2at6native32elementwise_kernel_manual_unrollILi128ELi4EZNS0_15gpu_kernel_implIZZZNS0_15sin_kernel_cudaERNS_18TensorIteratorBaseEENKUlvE0_clEvENKUlvE1_clEvEUlN3c104HalfEE_EEvS4_RKT_EUlibE0_EEviT1_,"axG",@progbits,_ZN2at6native32elementwise_kernel_manual_unrollILi128ELi4EZNS0_15gpu_kernel_implIZZZNS0_15sin_kernel_cudaERNS_18TensorIteratorBaseEENKUlvE0_clEvENKUlvE1_clEvEUlN3c104HalfEE_EEvS4_RKT_EUlibE0_EEviT1_,comdat
	.globl	_ZN2at6native32elementwise_kernel_manual_unrollILi128ELi4EZNS0_15gpu_kernel_implIZZZNS0_15sin_kernel_cudaERNS_18TensorIteratorBaseEENKUlvE0_clEvENKUlvE1_clEvEUlN3c104HalfEE_EEvS4_RKT_EUlibE0_EEviT1_ ; -- Begin function _ZN2at6native32elementwise_kernel_manual_unrollILi128ELi4EZNS0_15gpu_kernel_implIZZZNS0_15sin_kernel_cudaERNS_18TensorIteratorBaseEENKUlvE0_clEvENKUlvE1_clEvEUlN3c104HalfEE_EEvS4_RKT_EUlibE0_EEviT1_
	.p2align	8
	.type	_ZN2at6native32elementwise_kernel_manual_unrollILi128ELi4EZNS0_15gpu_kernel_implIZZZNS0_15sin_kernel_cudaERNS_18TensorIteratorBaseEENKUlvE0_clEvENKUlvE1_clEvEUlN3c104HalfEE_EEvS4_RKT_EUlibE0_EEviT1_,@function
_ZN2at6native32elementwise_kernel_manual_unrollILi128ELi4EZNS0_15gpu_kernel_implIZZZNS0_15sin_kernel_cudaERNS_18TensorIteratorBaseEENKUlvE0_clEvENKUlvE1_clEvEUlN3c104HalfEE_EEvS4_RKT_EUlibE0_EEviT1_: ; @_ZN2at6native32elementwise_kernel_manual_unrollILi128ELi4EZNS0_15gpu_kernel_implIZZZNS0_15sin_kernel_cudaERNS_18TensorIteratorBaseEENKUlvE0_clEvENKUlvE1_clEvEUlN3c104HalfEE_EEvS4_RKT_EUlibE0_EEviT1_
; %bb.0:
	s_load_dword s70, s[4:5], 0x0
	s_load_dword s33, s[4:5], 0x8
	s_add_u32 s34, s4, 8
	s_addc_u32 s35, s5, 0
	v_lshl_or_b32 v8, s6, 9, v0
	v_or_b32_e32 v15, 0x180, v8
	s_waitcnt lgkmcnt(0)
	s_add_i32 s72, s33, -1
	s_cmp_gt_u32 s72, 1
	v_cmp_le_i32_e32 vcc, s70, v15
	s_cselect_b64 s[42:43], -1, 0
	s_mov_b64 s[40:41], 0
	s_mov_b64 s[6:7], 0
	s_and_saveexec_b64 s[0:1], vcc
	s_xor_b64 s[44:45], exec, s[0:1]
	s_cbranch_execz .LBB25_1102
; %bb.1:
	v_mov_b32_e32 v0, 0
	global_load_ushort v0, v0, s[34:35] offset:345
	s_load_dwordx4 s[36:39], s[34:35], 0x4
	s_load_dwordx2 s[46:47], s[34:35], 0x14
	s_load_dwordx4 s[28:31], s[34:35], 0xc4
	s_load_dwordx4 s[24:27], s[34:35], 0x148
	s_cmp_lg_u32 s33, 0
	s_cselect_b64 s[52:53], -1, 0
	s_add_u32 s50, s34, 0xc4
	s_addc_u32 s51, s35, 0
	s_min_u32 s75, s72, 15
	s_cmp_gt_u32 s33, 1
	s_cselect_b64 s[48:49], -1, 0
	v_cmp_gt_i32_e32 vcc, s70, v8
	s_mov_b64 s[2:3], -1
	s_mov_b64 s[62:63], 0
	s_mov_b64 s[56:57], 0
	s_mov_b64 s[54:55], 0
	s_waitcnt vmcnt(0)
	v_readfirstlane_b32 s73, v0
	s_and_b32 s0, 0xffff, s73
	s_lshr_b32 s74, s0, 8
	s_and_saveexec_b64 s[58:59], vcc
	s_cbranch_execz .LBB25_270
; %bb.2:
	s_andn2_b64 vcc, exec, s[42:43]
	s_cbranch_vccnz .LBB25_7
; %bb.3:
	s_andn2_b64 vcc, exec, s[52:53]
	s_cbranch_vccnz .LBB25_8
; %bb.4:
	s_add_i32 s57, s75, 1
	s_cmp_eq_u32 s72, 2
	s_cbranch_scc1 .LBB25_9
; %bb.5:
	s_and_b32 s56, s57, 28
	v_mov_b32_e32 v2, 0
	s_mov_b32 s60, 0
	s_mov_b64 s[6:7], s[34:35]
	s_mov_b64 s[54:55], s[50:51]
	v_mov_b32_e32 v0, 0
	v_mov_b32_e32 v1, v8
.LBB25_6:                               ; =>This Inner Loop Header: Depth=1
	s_load_dwordx8 s[16:23], s[6:7], 0x4
	s_load_dwordx4 s[0:3], s[6:7], 0x24
	s_load_dwordx8 s[8:15], s[54:55], 0x0
	s_add_u32 s6, s6, 48
	s_addc_u32 s7, s7, 0
	s_waitcnt lgkmcnt(0)
	v_mul_hi_u32 v3, s17, v1
	s_add_i32 s60, s60, 4
	s_add_u32 s54, s54, 32
	s_addc_u32 s55, s55, 0
	v_add_u32_e32 v3, v1, v3
	v_lshrrev_b32_e32 v3, s18, v3
	v_mul_lo_u32 v4, v3, s16
	v_mul_hi_u32 v5, s20, v3
	s_cmp_lg_u32 s56, s60
	v_sub_u32_e32 v1, v1, v4
	v_add_u32_e32 v4, v3, v5
	v_mul_lo_u32 v5, v1, s8
	v_mul_lo_u32 v6, v1, s9
	v_lshrrev_b32_e32 v1, s21, v4
	v_mul_lo_u32 v4, v1, s19
	v_mul_hi_u32 v7, s23, v1
	v_sub_u32_e32 v3, v3, v4
	v_add_u32_e32 v4, v1, v7
	v_lshrrev_b32_e32 v4, s0, v4
	v_mul_hi_u32 v9, s2, v4
	v_mul_lo_u32 v10, v4, s22
	v_mul_lo_u32 v7, v3, s10
	v_mul_lo_u32 v3, v3, s11
	v_sub_u32_e32 v10, v1, v10
	v_add_u32_e32 v1, v4, v9
	v_lshrrev_b32_e32 v1, s3, v1
	v_mul_lo_u32 v9, v1, s1
	v_mul_lo_u32 v11, v10, s12
	v_mul_lo_u32 v10, v10, s13
	v_add3_u32 v0, v5, v0, v7
	v_sub_u32_e32 v4, v4, v9
	v_mul_lo_u32 v9, v4, s14
	v_mul_lo_u32 v4, v4, s15
	v_add3_u32 v2, v6, v2, v3
	v_add3_u32 v0, v11, v0, v9
	;; [unrolled: 1-line block ×3, first 2 shown]
	s_cbranch_scc1 .LBB25_6
	s_branch .LBB25_10
.LBB25_7:
                                        ; implicit-def: $vgpr0
                                        ; implicit-def: $vgpr2
	s_branch .LBB25_14
.LBB25_8:
	v_mov_b32_e32 v0, 0
	v_mov_b32_e32 v2, 0
	s_branch .LBB25_13
.LBB25_9:
	s_mov_b32 s56, 0
	v_mov_b32_e32 v0, 0
	v_mov_b32_e32 v2, 0
	;; [unrolled: 1-line block ×3, first 2 shown]
.LBB25_10:
	s_and_b32 s6, s57, 3
	s_cmp_eq_u32 s6, 0
	s_cbranch_scc1 .LBB25_13
; %bb.11:
	s_lshl_b32 s0, s56, 3
	s_add_u32 s0, s34, s0
	s_addc_u32 s1, s35, 0
	s_add_u32 s0, s0, 0xc4
	s_addc_u32 s1, s1, 0
	s_mul_i32 s2, s56, 12
	s_add_u32 s2, s34, s2
	s_addc_u32 s3, s35, 0
.LBB25_12:                              ; =>This Inner Loop Header: Depth=1
	s_load_dwordx2 s[8:9], s[2:3], 0x4
	s_load_dword s7, s[2:3], 0xc
	s_load_dwordx2 s[10:11], s[0:1], 0x0
	s_add_u32 s2, s2, 12
	s_addc_u32 s3, s3, 0
	s_waitcnt lgkmcnt(0)
	v_mul_hi_u32 v3, s9, v1
	s_add_u32 s0, s0, 8
	s_addc_u32 s1, s1, 0
	s_add_i32 s6, s6, -1
	v_add_u32_e32 v3, v1, v3
	v_lshrrev_b32_e32 v4, s7, v3
	v_mul_lo_u32 v3, v4, s8
	s_cmp_lg_u32 s6, 0
	v_sub_u32_e32 v3, v1, v3
	v_mad_u64_u32 v[0:1], s[8:9], v3, s10, v[0:1]
	v_mad_u64_u32 v[2:3], s[8:9], v3, s11, v[2:3]
	v_mov_b32_e32 v1, v4
	s_cbranch_scc1 .LBB25_12
.LBB25_13:
	s_cbranch_execnz .LBB25_16
.LBB25_14:
	s_waitcnt lgkmcnt(0)
	v_mul_hi_u32 v0, s37, v8
	s_andn2_b64 vcc, exec, s[48:49]
	v_add_u32_e32 v0, v8, v0
	v_lshrrev_b32_e32 v1, s38, v0
	v_mul_lo_u32 v0, v1, s36
	v_sub_u32_e32 v2, v8, v0
	v_mul_lo_u32 v0, v2, s28
	v_mul_lo_u32 v2, v2, s29
	s_cbranch_vccnz .LBB25_16
; %bb.15:
	v_mul_hi_u32 v3, s46, v1
	v_add_u32_e32 v3, v1, v3
	v_lshrrev_b32_e32 v3, s47, v3
	v_mul_lo_u32 v3, v3, s39
	v_sub_u32_e32 v3, v1, v3
	v_mad_u64_u32 v[0:1], s[0:1], v3, s30, v[0:1]
	v_mad_u64_u32 v[2:3], s[0:1], v3, s31, v[2:3]
.LBB25_16:
	s_waitcnt lgkmcnt(0)
	v_mov_b32_e32 v3, s27
	s_and_b32 s10, 0xffff, s74
	v_add_co_u32_e32 v1, vcc, s26, v2
	s_cmp_lt_i32 s10, 11
	v_addc_co_u32_e32 v2, vcc, 0, v3, vcc
	s_cbranch_scc1 .LBB25_23
; %bb.17:
	s_cmp_gt_i32 s10, 25
	s_cbranch_scc0 .LBB25_36
; %bb.18:
	s_cmp_gt_i32 s10, 28
	s_cbranch_scc0 .LBB25_39
	;; [unrolled: 3-line block ×4, first 2 shown]
; %bb.21:
	s_cmp_eq_u32 s10, 46
	s_mov_b64 s[2:3], 0
	s_cbranch_scc0 .LBB25_45
; %bb.22:
	global_load_dword v3, v[1:2], off
	s_mov_b64 s[0:1], -1
	s_mov_b64 s[8:9], 0
	s_waitcnt vmcnt(0)
	v_lshlrev_b32_e32 v3, 16, v3
	v_cvt_f16_f32_e32 v3, v3
	s_branch .LBB25_47
.LBB25_23:
	s_mov_b64 s[8:9], 0
                                        ; implicit-def: $vgpr3
	s_mov_b64 s[0:1], 0
	s_cbranch_execnz .LBB25_220
.LBB25_24:
	s_andn2_b64 vcc, exec, s[0:1]
	s_cbranch_vccnz .LBB25_267
.LBB25_25:
	s_waitcnt vmcnt(0)
	v_cvt_f32_f16_e32 v1, v3
	s_brev_b32 s0, 18
                                        ; implicit-def: $vgpr3
                                        ; implicit-def: $vgpr4
	v_and_b32_e32 v2, 0x7fffffff, v1
	v_cmp_nlt_f32_e64 s[0:1], |v1|, s0
	s_and_saveexec_b64 s[2:3], s[0:1]
	s_xor_b64 s[10:11], exec, s[2:3]
	s_cbranch_execz .LBB25_27
; %bb.26:
	v_and_b32_e32 v3, 0x7fffff, v2
	v_or_b32_e32 v14, 0x800000, v3
	s_mov_b32 s0, 0xfe5163ab
	v_mad_u64_u32 v[3:4], s[0:1], v14, s0, 0
	v_mov_b32_e32 v5, 0
	s_mov_b32 s0, 0x3c439041
	v_mad_u64_u32 v[6:7], s[0:1], v14, s0, v[4:5]
	s_mov_b32 s0, 0xdb629599
	v_not_b32_e32 v15, 31
	v_mov_b32_e32 v4, v7
	v_mad_u64_u32 v[9:10], s[0:1], v14, s0, v[4:5]
	s_mov_b32 s0, 0xf534ddc0
	v_not_b32_e32 v7, 63
	v_mov_b32_e32 v4, v10
	v_mad_u64_u32 v[10:11], s[0:1], v14, s0, v[4:5]
	v_lshrrev_b32_e32 v4, 23, v2
	v_add_u32_e32 v13, 0xffffff88, v4
	v_mov_b32_e32 v4, v11
	s_mov_b32 s0, 0xfc2757d1
	v_mad_u64_u32 v[11:12], s[0:1], v14, s0, v[4:5]
	v_cmp_lt_u32_e32 vcc, 63, v13
	v_cndmask_b32_e32 v4, 0, v7, vcc
	v_add_u32_e32 v7, v4, v13
	v_mov_b32_e32 v4, v12
	s_mov_b32 s0, 0x4e441529
	v_mad_u64_u32 v[12:13], s[0:1], v14, s0, v[4:5]
	v_cmp_lt_u32_e64 s[0:1], 31, v7
	v_cndmask_b32_e64 v4, 0, v15, s[0:1]
	v_add_u32_e32 v7, v4, v7
	v_mov_b32_e32 v4, v13
	s_mov_b32 s2, 0xa2f9836e
	v_mad_u64_u32 v[4:5], s[2:3], v14, s2, v[4:5]
	v_cmp_lt_u32_e64 s[2:3], 31, v7
	v_cndmask_b32_e64 v13, 0, v15, s[2:3]
	v_add_u32_e32 v7, v13, v7
	v_cndmask_b32_e32 v13, v12, v10, vcc
	v_cndmask_b32_e32 v4, v4, v11, vcc
	;; [unrolled: 1-line block ×3, first 2 shown]
	v_cndmask_b32_e64 v14, v4, v13, s[0:1]
	v_cndmask_b32_e64 v4, v5, v4, s[0:1]
	v_cndmask_b32_e32 v5, v11, v9, vcc
	v_cndmask_b32_e64 v11, v13, v5, s[0:1]
	v_cndmask_b32_e64 v4, v4, v14, s[2:3]
	;; [unrolled: 1-line block ×3, first 2 shown]
	v_sub_u32_e32 v13, 32, v7
	v_alignbit_b32 v14, v4, v12, v13
	v_cmp_eq_u32_e64 s[6:7], 0, v7
	v_cndmask_b32_e64 v7, v14, v4, s[6:7]
	v_cndmask_b32_e32 v4, v10, v6, vcc
	v_cndmask_b32_e64 v5, v5, v4, s[0:1]
	v_cndmask_b32_e64 v6, v11, v5, s[2:3]
	v_alignbit_b32 v10, v12, v6, v13
	v_cndmask_b32_e32 v3, v9, v3, vcc
	v_cndmask_b32_e64 v10, v10, v12, s[6:7]
	v_bfe_u32 v14, v7, 29, 1
	v_cndmask_b32_e64 v3, v4, v3, s[0:1]
	v_alignbit_b32 v11, v7, v10, 30
	v_sub_u32_e32 v15, 0, v14
	v_cndmask_b32_e64 v3, v5, v3, s[2:3]
	v_xor_b32_e32 v11, v11, v15
	v_alignbit_b32 v4, v6, v3, v13
	v_cndmask_b32_e64 v4, v4, v6, s[6:7]
	v_ffbh_u32_e32 v6, v11
	v_alignbit_b32 v5, v10, v4, 30
	v_min_u32_e32 v6, 32, v6
	v_alignbit_b32 v3, v4, v3, 30
	v_xor_b32_e32 v5, v5, v15
	v_sub_u32_e32 v9, 31, v6
	v_xor_b32_e32 v3, v3, v15
	v_alignbit_b32 v10, v11, v5, v9
	v_alignbit_b32 v3, v5, v3, v9
	;; [unrolled: 1-line block ×3, first 2 shown]
	v_ffbh_u32_e32 v5, v4
	v_min_u32_e32 v5, 32, v5
	v_lshrrev_b32_e32 v12, 29, v7
	v_not_b32_e32 v9, v5
	v_alignbit_b32 v3, v4, v3, v9
	v_lshlrev_b32_e32 v4, 31, v12
	v_or_b32_e32 v9, 0x33000000, v4
	v_add_lshl_u32 v5, v5, v6, 23
	v_lshrrev_b32_e32 v3, 9, v3
	v_sub_u32_e32 v5, v9, v5
	v_or_b32_e32 v4, 0.5, v4
	v_lshlrev_b32_e32 v6, 23, v6
	v_or_b32_e32 v3, v5, v3
	v_lshrrev_b32_e32 v5, 9, v10
	v_sub_u32_e32 v4, v4, v6
	v_or_b32_e32 v4, v5, v4
	s_mov_b32 s0, 0x3fc90fda
	v_mul_f32_e32 v5, 0x3fc90fda, v4
	v_fma_f32 v6, v4, s0, -v5
	v_fmac_f32_e32 v6, 0x33a22168, v4
	v_fmac_f32_e32 v6, 0x3fc90fda, v3
	v_lshrrev_b32_e32 v3, 30, v7
	v_add_f32_e32 v4, v5, v6
	v_add_u32_e32 v3, v14, v3
.LBB25_27:
	s_andn2_saveexec_b64 s[0:1], s[10:11]
	s_cbranch_execz .LBB25_29
; %bb.28:
	s_mov_b32 s2, 0x3f22f983
	v_mul_f32_e64 v3, |v1|, s2
	v_rndne_f32_e32 v5, v3
	s_mov_b32 s2, 0xbfc90fda
	v_cvt_i32_f32_e32 v3, v5
	v_fma_f32 v4, v5, s2, |v1|
	v_fmac_f32_e32 v4, 0xb3a22168, v5
	v_fmac_f32_e32 v4, 0xa7c234c4, v5
.LBB25_29:
	s_or_b64 exec, exec, s[0:1]
	v_mul_f32_e32 v5, v4, v4
	v_mov_b32_e32 v6, 0x3c0881c4
	v_fmac_f32_e32 v6, 0xb94c1982, v5
	v_mov_b32_e32 v7, 0xbe2aaa9d
	v_fmac_f32_e32 v7, v5, v6
	v_mul_f32_e32 v6, v5, v7
	v_fmac_f32_e32 v4, v4, v6
	v_mov_b32_e32 v6, 0xbab64f3b
	v_fmac_f32_e32 v6, 0x37d75334, v5
	v_mov_b32_e32 v7, 0x3d2aabf7
	v_fmac_f32_e32 v7, v5, v6
	v_mov_b32_e32 v6, 0xbf000004
	v_fmac_f32_e32 v6, v5, v7
	v_fma_f32 v5, v5, v6, 1.0
	v_and_b32_e32 v6, 1, v3
	v_lshlrev_b32_e32 v3, 30, v3
	v_cmp_eq_u32_e32 vcc, 0, v6
	v_and_b32_e32 v3, 0x80000000, v3
	v_xor_b32_e32 v2, v2, v1
	v_cndmask_b32_e32 v4, v5, v4, vcc
	v_xor_b32_e32 v2, v2, v3
	s_movk_i32 s0, 0x1f8
	v_xor_b32_e32 v2, v2, v4
	v_mov_b32_e32 v3, 0x7fc00000
	v_cmp_class_f32_e64 vcc, v1, s0
	v_cndmask_b32_e32 v1, v3, v2, vcc
	v_cvt_f16_f32_e32 v2, v1
	v_mov_b32_e32 v1, s25
	s_and_b32 s12, s73, 0xff
	v_add_co_u32_e32 v0, vcc, s24, v0
	s_cmp_lt_i32 s12, 11
	v_addc_co_u32_e32 v1, vcc, 0, v1, vcc
	s_cbranch_scc1 .LBB25_37
; %bb.30:
	s_and_b32 s13, 0xffff, s12
	s_cmp_gt_i32 s13, 25
	s_cbranch_scc0 .LBB25_40
; %bb.31:
	s_cmp_gt_i32 s13, 28
	s_cbranch_scc0 .LBB25_42
; %bb.32:
	s_cmp_gt_i32 s13, 43
	s_cbranch_scc0 .LBB25_44
; %bb.33:
	s_cmp_gt_i32 s13, 45
	s_cbranch_scc0 .LBB25_50
; %bb.34:
	s_mov_b64 s[6:7], 0
	s_mov_b64 s[0:1], -1
	s_cmp_eq_u32 s13, 46
	s_mov_b64 s[2:3], 0
	s_cbranch_scc0 .LBB25_51
; %bb.35:
	v_cvt_f32_f16_e32 v3, v2
	s_movk_i32 s0, 0x7fff
	v_cmp_o_f16_e32 vcc, v2, v2
	v_mov_b32_e32 v4, 0x7fc0
	v_bfe_u32 v5, v3, 16, 1
	v_add3_u32 v3, v3, v5, s0
	v_cndmask_b32_sdwa v3, v4, v3, vcc dst_sel:DWORD dst_unused:UNUSED_PAD src0_sel:DWORD src1_sel:WORD_1
	global_store_dword v[0:1], v3, off
	s_mov_b64 s[2:3], -1
	s_mov_b64 s[0:1], 0
	s_branch .LBB25_51
.LBB25_36:
	s_mov_b64 s[8:9], 0
	s_mov_b64 s[0:1], 0
                                        ; implicit-def: $vgpr3
	s_cbranch_execnz .LBB25_185
	s_branch .LBB25_219
.LBB25_37:
	s_mov_b64 s[0:1], 0
	s_mov_b64 s[2:3], 0
	s_cbranch_execnz .LBB25_120
.LBB25_38:
	s_andn2_b64 vcc, exec, s[2:3]
	s_cbranch_vccnz .LBB25_268
	s_branch .LBB25_158
.LBB25_39:
	s_mov_b64 s[2:3], -1
	s_mov_b64 s[8:9], 0
	s_mov_b64 s[0:1], 0
                                        ; implicit-def: $vgpr3
	s_branch .LBB25_166
.LBB25_40:
	s_mov_b64 s[6:7], -1
	s_mov_b64 s[0:1], 0
	s_mov_b64 s[2:3], 0
	s_branch .LBB25_78
.LBB25_41:
	s_mov_b64 s[2:3], -1
	s_mov_b64 s[8:9], 0
	s_mov_b64 s[0:1], 0
                                        ; implicit-def: $vgpr3
	s_branch .LBB25_161
.LBB25_42:
	s_mov_b64 s[6:7], -1
	s_mov_b64 s[0:1], 0
	s_mov_b64 s[2:3], 0
	s_branch .LBB25_61
.LBB25_43:
	s_mov_b64 s[2:3], -1
	s_mov_b64 s[8:9], 0
	s_branch .LBB25_46
.LBB25_44:
	s_mov_b64 s[6:7], -1
	s_mov_b64 s[0:1], 0
	s_mov_b64 s[2:3], 0
	s_branch .LBB25_57
.LBB25_45:
	s_mov_b64 s[8:9], -1
.LBB25_46:
	s_mov_b64 s[0:1], 0
                                        ; implicit-def: $vgpr3
.LBB25_47:
	s_and_b64 vcc, exec, s[2:3]
	s_cbranch_vccz .LBB25_160
; %bb.48:
	s_cmp_eq_u32 s10, 44
	s_cbranch_scc0 .LBB25_159
; %bb.49:
	global_load_ubyte v3, v[1:2], off
	s_movk_i32 s2, 0xff
	v_mov_b32_e32 v5, 0x7e00
	s_mov_b64 s[0:1], -1
	s_mov_b64 s[8:9], 0
	s_waitcnt vmcnt(0)
	v_lshlrev_b32_e32 v4, 23, v3
	v_cvt_f16_f32_e32 v4, v4
	v_cmp_ne_u32_e32 vcc, s2, v3
	v_cndmask_b32_e32 v4, v5, v4, vcc
	v_cmp_ne_u32_e32 vcc, 0, v3
	v_cndmask_b32_e32 v3, 0, v4, vcc
	s_branch .LBB25_160
.LBB25_50:
	s_mov_b64 s[6:7], -1
	s_mov_b64 s[0:1], 0
	s_mov_b64 s[2:3], 0
.LBB25_51:
	s_and_b64 vcc, exec, s[6:7]
	s_cbranch_vccz .LBB25_56
; %bb.52:
	s_cmp_eq_u32 s13, 44
	s_mov_b64 s[0:1], -1
	s_cbranch_scc0 .LBB25_56
; %bb.53:
	v_cvt_f32_f16_e32 v3, v2
	s_movk_i32 s0, 0xff
	v_mov_b32_e32 v5, 0xff
	v_bfe_u32 v4, v3, 23, 8
	v_cmp_ne_u32_e32 vcc, s0, v4
	s_and_saveexec_b64 s[2:3], vcc
; %bb.54:
	s_mov_b32 s0, 0x3fffff
	v_lshrrev_b32_e32 v5, 23, v3
	v_and_b32_e32 v6, 0x400000, v3
	v_and_or_b32 v3, v3, s0, v4
	v_cmp_ne_u32_e32 vcc, 0, v6
	v_cmp_ne_u32_e64 s[0:1], 0, v3
	s_and_b64 s[0:1], vcc, s[0:1]
	v_cndmask_b32_e64 v3, 0, 1, s[0:1]
	v_add_u32_e32 v5, v5, v3
; %bb.55:
	s_or_b64 exec, exec, s[2:3]
	s_mov_b64 s[2:3], -1
	s_mov_b64 s[0:1], 0
	global_store_byte v[0:1], v5, off
.LBB25_56:
	s_mov_b64 s[6:7], 0
.LBB25_57:
	s_and_b64 vcc, exec, s[6:7]
	s_cbranch_vccz .LBB25_60
; %bb.58:
	s_cmp_eq_u32 s13, 29
	s_mov_b64 s[0:1], -1
	s_cbranch_scc0 .LBB25_60
; %bb.59:
	v_cvt_f32_f16_e32 v3, v2
	v_mov_b32_e32 v4, 0
	s_mov_b64 s[2:3], -1
	s_mov_b64 s[0:1], 0
	v_cvt_u32_f32_e32 v3, v3
	s_mov_b64 s[6:7], 0
	global_store_dwordx2 v[0:1], v[3:4], off
	s_branch .LBB25_61
.LBB25_60:
	s_mov_b64 s[6:7], 0
.LBB25_61:
	s_and_b64 vcc, exec, s[6:7]
	s_cbranch_vccz .LBB25_77
; %bb.62:
	s_cmp_lt_i32 s13, 27
	s_mov_b64 s[2:3], -1
	s_cbranch_scc1 .LBB25_68
; %bb.63:
	s_cmp_gt_i32 s13, 27
	s_cbranch_scc0 .LBB25_65
; %bb.64:
	v_cvt_f32_f16_e32 v3, v2
	s_mov_b64 s[2:3], 0
	v_cvt_u32_f32_e32 v3, v3
	global_store_dword v[0:1], v3, off
.LBB25_65:
	s_andn2_b64 vcc, exec, s[2:3]
	s_cbranch_vccnz .LBB25_67
; %bb.66:
	v_cvt_u16_f16_e32 v3, v2
	global_store_short v[0:1], v3, off
.LBB25_67:
	s_mov_b64 s[2:3], 0
.LBB25_68:
	s_andn2_b64 vcc, exec, s[2:3]
	s_cbranch_vccnz .LBB25_76
; %bb.69:
	v_cvt_f32_f16_e32 v3, v2
	s_mov_b32 s2, 0x43800000
	v_mov_b32_e32 v5, 0x80
	v_and_b32_e32 v4, 0x7fffffff, v3
	v_cmp_gt_u32_e32 vcc, s2, v4
	s_and_saveexec_b64 s[2:3], vcc
	s_cbranch_execz .LBB25_75
; %bb.70:
	s_mov_b32 s6, 0x3bffffff
	v_cmp_lt_u32_e32 vcc, s6, v4
	s_mov_b64 s[6:7], 0
                                        ; implicit-def: $vgpr4
	s_and_saveexec_b64 s[10:11], vcc
	s_xor_b64 s[10:11], exec, s[10:11]
	s_cbranch_execz .LBB25_315
; %bb.71:
	v_bfe_u32 v4, v3, 20, 1
	s_mov_b32 s14, 0x487ffff
	v_add3_u32 v4, v3, v4, s14
	s_mov_b64 s[6:7], exec
	v_lshrrev_b32_e32 v4, 20, v4
	s_andn2_saveexec_b64 s[10:11], s[10:11]
	s_cbranch_execnz .LBB25_316
.LBB25_72:
	s_or_b64 exec, exec, s[10:11]
	v_mov_b32_e32 v5, 0
	s_and_saveexec_b64 s[10:11], s[6:7]
.LBB25_73:
	v_lshrrev_b32_e32 v3, 24, v3
	s_movk_i32 s6, 0x80
	v_and_or_b32 v5, v3, s6, v4
.LBB25_74:
	s_or_b64 exec, exec, s[10:11]
.LBB25_75:
	s_or_b64 exec, exec, s[2:3]
	global_store_byte v[0:1], v5, off
.LBB25_76:
	s_mov_b64 s[2:3], -1
.LBB25_77:
	s_mov_b64 s[6:7], 0
.LBB25_78:
	s_and_b64 vcc, exec, s[6:7]
	s_cbranch_vccz .LBB25_119
; %bb.79:
	s_cmp_gt_i32 s13, 22
	s_mov_b64 s[6:7], -1
	s_cbranch_scc0 .LBB25_111
; %bb.80:
	s_cmp_lt_i32 s13, 24
	s_mov_b64 s[2:3], -1
	s_cbranch_scc1 .LBB25_100
; %bb.81:
	s_cmp_gt_i32 s13, 24
	s_cbranch_scc0 .LBB25_89
; %bb.82:
	v_cvt_f32_f16_e32 v3, v2
	s_mov_b32 s2, 0x47800000
	v_mov_b32_e32 v5, 0x80
	v_and_b32_e32 v4, 0x7fffffff, v3
	v_cmp_gt_u32_e32 vcc, s2, v4
	s_and_saveexec_b64 s[2:3], vcc
	s_cbranch_execz .LBB25_88
; %bb.83:
	s_mov_b32 s6, 0x37ffffff
	v_cmp_lt_u32_e32 vcc, s6, v4
	s_mov_b64 s[6:7], 0
                                        ; implicit-def: $vgpr4
	s_and_saveexec_b64 s[10:11], vcc
	s_xor_b64 s[10:11], exec, s[10:11]
	s_cbranch_execz .LBB25_319
; %bb.84:
	v_bfe_u32 v4, v3, 21, 1
	s_mov_b32 s14, 0x88fffff
	v_add3_u32 v4, v3, v4, s14
	s_mov_b64 s[6:7], exec
	v_lshrrev_b32_e32 v4, 21, v4
	s_andn2_saveexec_b64 s[10:11], s[10:11]
	s_cbranch_execnz .LBB25_320
.LBB25_85:
	s_or_b64 exec, exec, s[10:11]
	v_mov_b32_e32 v5, 0
	s_and_saveexec_b64 s[10:11], s[6:7]
.LBB25_86:
	v_lshrrev_b32_e32 v3, 24, v3
	s_movk_i32 s6, 0x80
	v_and_or_b32 v5, v3, s6, v4
.LBB25_87:
	s_or_b64 exec, exec, s[10:11]
.LBB25_88:
	s_or_b64 exec, exec, s[2:3]
	s_mov_b64 s[2:3], 0
	global_store_byte v[0:1], v5, off
.LBB25_89:
	s_and_b64 vcc, exec, s[2:3]
	s_cbranch_vccz .LBB25_99
; %bb.90:
	v_cvt_f32_f16_e32 v3, v2
	s_mov_b32 s2, 0x43f00000
                                        ; implicit-def: $vgpr4
	v_and_b32_e32 v5, 0x7fffffff, v3
	v_cmp_gt_u32_e32 vcc, s2, v5
	s_and_saveexec_b64 s[2:3], vcc
	s_xor_b64 s[2:3], exec, s[2:3]
	s_cbranch_execz .LBB25_96
; %bb.91:
	s_mov_b32 s6, 0x3c7fffff
	v_cmp_lt_u32_e32 vcc, s6, v5
                                        ; implicit-def: $vgpr4
	s_and_saveexec_b64 s[6:7], vcc
	s_xor_b64 s[6:7], exec, s[6:7]
; %bb.92:
	v_bfe_u32 v4, v3, 20, 1
	s_mov_b32 s10, 0x407ffff
	v_add3_u32 v4, v3, v4, s10
	v_lshrrev_b32_e32 v5, 20, v4
	v_and_b32_e32 v4, 0xff00000, v4
	s_mov_b32 s10, 0x7f00000
	v_mov_b32_e32 v6, 0x7e
	v_cmp_ne_u32_e32 vcc, s10, v4
	v_cndmask_b32_e32 v4, v6, v5, vcc
; %bb.93:
	s_andn2_saveexec_b64 s[6:7], s[6:7]
; %bb.94:
	s_mov_b32 s10, 0x46800000
	v_add_f32_e64 v4, |v3|, s10
; %bb.95:
	s_or_b64 exec, exec, s[6:7]
                                        ; implicit-def: $vgpr5
.LBB25_96:
	s_andn2_saveexec_b64 s[2:3], s[2:3]
; %bb.97:
	s_mov_b32 s6, 0x7f800000
	v_mov_b32_e32 v4, 0x7e
	v_mov_b32_e32 v6, 0x7f
	v_cmp_lt_u32_e32 vcc, s6, v5
	v_cndmask_b32_e32 v4, v4, v6, vcc
; %bb.98:
	s_or_b64 exec, exec, s[2:3]
	v_lshrrev_b32_e32 v3, 24, v3
	s_movk_i32 s2, 0x80
	v_and_or_b32 v3, v3, s2, v4
	global_store_byte v[0:1], v3, off
.LBB25_99:
	s_mov_b64 s[2:3], 0
.LBB25_100:
	s_andn2_b64 vcc, exec, s[2:3]
	s_cbranch_vccnz .LBB25_110
; %bb.101:
	v_cvt_f32_f16_e32 v3, v2
	s_mov_b32 s2, 0x47800000
                                        ; implicit-def: $vgpr4
	v_and_b32_e32 v5, 0x7fffffff, v3
	v_cmp_gt_u32_e32 vcc, s2, v5
	s_and_saveexec_b64 s[2:3], vcc
	s_xor_b64 s[2:3], exec, s[2:3]
	s_cbranch_execz .LBB25_107
; %bb.102:
	s_mov_b32 s6, 0x387fffff
	v_cmp_lt_u32_e32 vcc, s6, v5
                                        ; implicit-def: $vgpr4
	s_and_saveexec_b64 s[6:7], vcc
	s_xor_b64 s[6:7], exec, s[6:7]
; %bb.103:
	v_bfe_u32 v4, v3, 21, 1
	s_mov_b32 s10, 0x80fffff
	v_add3_u32 v4, v3, v4, s10
	v_lshrrev_b32_e32 v4, 21, v4
; %bb.104:
	s_andn2_saveexec_b64 s[6:7], s[6:7]
; %bb.105:
	s_mov_b32 s10, 0x43000000
	v_add_f32_e64 v4, |v3|, s10
; %bb.106:
	s_or_b64 exec, exec, s[6:7]
                                        ; implicit-def: $vgpr5
.LBB25_107:
	s_andn2_saveexec_b64 s[2:3], s[2:3]
; %bb.108:
	s_mov_b32 s6, 0x7f800000
	v_mov_b32_e32 v4, 0x7c
	v_mov_b32_e32 v6, 0x7f
	v_cmp_lt_u32_e32 vcc, s6, v5
	v_cndmask_b32_e32 v4, v4, v6, vcc
; %bb.109:
	s_or_b64 exec, exec, s[2:3]
	v_lshrrev_b32_e32 v3, 24, v3
	s_movk_i32 s2, 0x80
	v_and_or_b32 v3, v3, s2, v4
	global_store_byte v[0:1], v3, off
.LBB25_110:
	s_mov_b64 s[6:7], 0
	s_mov_b64 s[2:3], -1
.LBB25_111:
	s_andn2_b64 vcc, exec, s[6:7]
	s_cbranch_vccnz .LBB25_119
; %bb.112:
	s_cmp_gt_i32 s13, 14
	s_mov_b64 s[6:7], -1
	s_cbranch_scc0 .LBB25_116
; %bb.113:
	s_cmp_eq_u32 s13, 15
	s_mov_b64 s[0:1], -1
	s_cbranch_scc0 .LBB25_115
; %bb.114:
	v_cvt_f32_f16_e32 v3, v2
	s_movk_i32 s0, 0x7fff
	v_cmp_o_f16_e32 vcc, v2, v2
	v_mov_b32_e32 v4, 0x7fc0
	v_bfe_u32 v5, v3, 16, 1
	v_add3_u32 v3, v3, v5, s0
	v_cndmask_b32_sdwa v3, v4, v3, vcc dst_sel:DWORD dst_unused:UNUSED_PAD src0_sel:DWORD src1_sel:WORD_1
	global_store_short v[0:1], v3, off
	s_mov_b64 s[2:3], -1
	s_mov_b64 s[0:1], 0
.LBB25_115:
	s_mov_b64 s[6:7], 0
.LBB25_116:
	s_and_b64 vcc, exec, s[6:7]
	s_cbranch_vccz .LBB25_119
; %bb.117:
	s_cmp_eq_u32 s13, 11
	s_mov_b64 s[0:1], -1
	s_cbranch_scc0 .LBB25_119
; %bb.118:
	v_cmp_neq_f16_e32 vcc, 0, v2
	v_cndmask_b32_e64 v3, 0, 1, vcc
	s_mov_b64 s[2:3], -1
	s_mov_b64 s[0:1], 0
	global_store_byte v[0:1], v3, off
.LBB25_119:
	s_branch .LBB25_38
.LBB25_120:
	s_and_b32 s6, 0xffff, s12
	s_cmp_lt_i32 s6, 5
	s_mov_b64 s[2:3], -1
	s_cbranch_scc1 .LBB25_141
; %bb.121:
	s_cmp_lt_i32 s6, 8
	s_cbranch_scc1 .LBB25_131
; %bb.122:
	s_cmp_lt_i32 s6, 9
	s_cbranch_scc1 .LBB25_128
; %bb.123:
	s_cmp_gt_i32 s6, 9
	s_cbranch_scc0 .LBB25_125
; %bb.124:
	v_cvt_f32_f16_e32 v3, v2
	v_mov_b32_e32 v5, 0
	v_mov_b32_e32 v6, v5
	s_mov_b64 s[2:3], 0
	v_cvt_f64_f32_e32 v[3:4], v3
	global_store_dwordx4 v[0:1], v[3:6], off
.LBB25_125:
	s_andn2_b64 vcc, exec, s[2:3]
	s_cbranch_vccnz .LBB25_127
; %bb.126:
	v_cvt_f32_f16_e32 v3, v2
	v_mov_b32_e32 v4, 0
	global_store_dwordx2 v[0:1], v[3:4], off
.LBB25_127:
	s_mov_b64 s[2:3], 0
.LBB25_128:
	s_andn2_b64 vcc, exec, s[2:3]
	s_cbranch_vccnz .LBB25_130
; %bb.129:
	global_store_dword v[0:1], v2, off
.LBB25_130:
	s_mov_b64 s[2:3], 0
.LBB25_131:
	s_andn2_b64 vcc, exec, s[2:3]
	s_cbranch_vccnz .LBB25_140
; %bb.132:
	s_cmp_lt_i32 s6, 6
	s_mov_b64 s[2:3], -1
	s_cbranch_scc1 .LBB25_138
; %bb.133:
	s_cmp_gt_i32 s6, 6
	s_cbranch_scc0 .LBB25_135
; %bb.134:
	v_cvt_f32_f16_e32 v3, v2
	s_mov_b64 s[2:3], 0
	v_cvt_f64_f32_e32 v[3:4], v3
	global_store_dwordx2 v[0:1], v[3:4], off
.LBB25_135:
	s_andn2_b64 vcc, exec, s[2:3]
	s_cbranch_vccnz .LBB25_137
; %bb.136:
	v_cvt_f32_f16_e32 v3, v2
	global_store_dword v[0:1], v3, off
.LBB25_137:
	s_mov_b64 s[2:3], 0
.LBB25_138:
	s_andn2_b64 vcc, exec, s[2:3]
	s_cbranch_vccnz .LBB25_140
; %bb.139:
	global_store_short v[0:1], v2, off
.LBB25_140:
	s_mov_b64 s[2:3], 0
.LBB25_141:
	s_andn2_b64 vcc, exec, s[2:3]
	s_cbranch_vccnz .LBB25_157
; %bb.142:
	s_cmp_lt_i32 s6, 2
	s_mov_b64 s[2:3], -1
	s_cbranch_scc1 .LBB25_152
; %bb.143:
	s_cmp_lt_i32 s6, 3
	s_cbranch_scc1 .LBB25_149
; %bb.144:
	s_cmp_gt_i32 s6, 3
	s_cbranch_scc0 .LBB25_146
; %bb.145:
	v_cvt_f32_f16_e32 v3, v2
	s_mov_b64 s[2:3], 0
	v_cvt_i32_f32_e32 v3, v3
	v_ashrrev_i32_e32 v4, 31, v3
	global_store_dwordx2 v[0:1], v[3:4], off
.LBB25_146:
	s_andn2_b64 vcc, exec, s[2:3]
	s_cbranch_vccnz .LBB25_148
; %bb.147:
	v_cvt_f32_f16_e32 v3, v2
	v_cvt_i32_f32_e32 v3, v3
	global_store_dword v[0:1], v3, off
.LBB25_148:
	s_mov_b64 s[2:3], 0
.LBB25_149:
	s_andn2_b64 vcc, exec, s[2:3]
	s_cbranch_vccnz .LBB25_151
; %bb.150:
	v_cvt_i16_f16_e32 v3, v2
	global_store_short v[0:1], v3, off
.LBB25_151:
	s_mov_b64 s[2:3], 0
.LBB25_152:
	s_andn2_b64 vcc, exec, s[2:3]
	s_cbranch_vccnz .LBB25_157
; %bb.153:
	s_cmp_gt_i32 s6, 0
	s_mov_b64 s[2:3], -1
	s_cbranch_scc0 .LBB25_155
; %bb.154:
	v_cvt_i16_f16_e32 v3, v2
	global_store_byte v[0:1], v3, off
	s_mov_b64 s[2:3], 0
.LBB25_155:
	s_andn2_b64 vcc, exec, s[2:3]
	s_cbranch_vccnz .LBB25_157
; %bb.156:
	v_cvt_f32_f16_e32 v2, v2
	v_cvt_i32_f32_e32 v2, v2
	global_store_byte v[0:1], v2, off
.LBB25_157:
.LBB25_158:
	v_add_u32_e32 v8, 0x80, v8
	s_mov_b64 s[2:3], -1
	s_branch .LBB25_269
.LBB25_159:
	s_mov_b64 s[8:9], -1
                                        ; implicit-def: $vgpr3
.LBB25_160:
	s_mov_b64 s[2:3], 0
.LBB25_161:
	s_and_b64 vcc, exec, s[2:3]
	s_cbranch_vccz .LBB25_165
; %bb.162:
	s_cmp_eq_u32 s10, 29
	s_cbranch_scc0 .LBB25_164
; %bb.163:
	global_load_dwordx2 v[3:4], v[1:2], off
	s_mov_b64 s[0:1], -1
	s_mov_b64 s[8:9], 0
	s_mov_b64 s[2:3], 0
	s_waitcnt vmcnt(0)
	v_ffbh_u32_e32 v5, v4
	v_min_u32_e32 v5, 32, v5
	v_lshlrev_b64 v[3:4], v5, v[3:4]
	v_min_u32_e32 v3, 1, v3
	v_or_b32_e32 v3, v4, v3
	v_cvt_f32_u32_e32 v3, v3
	v_sub_u32_e32 v4, 32, v5
	v_ldexp_f32 v3, v3, v4
	v_cvt_f16_f32_e32 v3, v3
	s_branch .LBB25_166
.LBB25_164:
	s_mov_b64 s[8:9], -1
                                        ; implicit-def: $vgpr3
.LBB25_165:
	s_mov_b64 s[2:3], 0
.LBB25_166:
	s_and_b64 vcc, exec, s[2:3]
	s_cbranch_vccz .LBB25_184
; %bb.167:
	s_cmp_lt_i32 s10, 27
	s_cbranch_scc1 .LBB25_170
; %bb.168:
	s_cmp_gt_i32 s10, 27
	s_cbranch_scc0 .LBB25_171
; %bb.169:
	global_load_dword v3, v[1:2], off
	s_mov_b64 s[0:1], 0
	s_waitcnt vmcnt(0)
	v_cvt_f32_u32_e32 v3, v3
	v_cvt_f16_f32_e32 v3, v3
	s_branch .LBB25_172
.LBB25_170:
	s_mov_b64 s[0:1], -1
                                        ; implicit-def: $vgpr3
	s_branch .LBB25_175
.LBB25_171:
	s_mov_b64 s[0:1], -1
                                        ; implicit-def: $vgpr3
.LBB25_172:
	s_andn2_b64 vcc, exec, s[0:1]
	s_cbranch_vccnz .LBB25_174
; %bb.173:
	global_load_ushort v3, v[1:2], off
	s_waitcnt vmcnt(0)
	v_cvt_f16_u16_e32 v3, v3
.LBB25_174:
	s_mov_b64 s[0:1], 0
.LBB25_175:
	s_andn2_b64 vcc, exec, s[0:1]
	s_cbranch_vccnz .LBB25_183
; %bb.176:
	global_load_ubyte v4, v[1:2], off
	s_movk_i32 s0, 0x7f
	s_waitcnt vmcnt(0)
	v_cmp_lt_i16_e32 vcc, s0, v4
	s_mov_b64 s[0:1], 0
	s_and_saveexec_b64 s[2:3], vcc
	s_xor_b64 s[2:3], exec, s[2:3]
	s_cbranch_execz .LBB25_196
; %bb.177:
	s_movk_i32 s0, 0x80
	v_cmp_eq_u16_e32 vcc, s0, v4
	s_mov_b64 s[0:1], -1
	s_and_saveexec_b64 s[6:7], vcc
; %bb.178:
	s_xor_b64 s[0:1], exec, -1
; %bb.179:
	s_or_b64 exec, exec, s[6:7]
	s_and_b64 s[0:1], s[0:1], exec
	s_or_saveexec_b64 s[2:3], s[2:3]
	v_mov_b32_e32 v3, 0x7e00
	s_xor_b64 exec, exec, s[2:3]
	s_cbranch_execnz .LBB25_197
.LBB25_180:
	s_or_b64 exec, exec, s[2:3]
	s_and_saveexec_b64 s[2:3], s[0:1]
	s_cbranch_execz .LBB25_182
.LBB25_181:
	v_lshlrev_b32_e32 v3, 24, v4
	v_and_b32_e32 v4, 0xffff, v4
	v_and_b32_e32 v5, 7, v4
	v_ffbh_u32_e32 v7, v5
	v_min_u32_e32 v7, 32, v7
	v_subrev_u32_e32 v9, 28, v7
	v_bfe_u32 v6, v4, 3, 4
	v_lshlrev_b32_e32 v4, v9, v4
	v_sub_u32_e32 v7, 29, v7
	v_and_b32_e32 v4, 7, v4
	v_cmp_eq_u32_e32 vcc, 0, v6
	v_cndmask_b32_e32 v6, v6, v7, vcc
	v_cndmask_b32_e32 v4, v5, v4, vcc
	v_mov_b32_e32 v5, 0x3b800000
	v_lshlrev_b32_e32 v4, 20, v4
	v_and_b32_e32 v3, 0x80000000, v3
	v_lshl_add_u32 v5, v6, 23, v5
	v_or3_b32 v3, v3, v5, v4
	v_cvt_f16_f32_e32 v3, v3
.LBB25_182:
	s_or_b64 exec, exec, s[2:3]
.LBB25_183:
	s_mov_b64 s[0:1], -1
.LBB25_184:
	s_branch .LBB25_219
.LBB25_185:
	s_cmp_gt_i32 s10, 22
	s_cbranch_scc0 .LBB25_195
; %bb.186:
	s_cmp_lt_i32 s10, 24
	s_cbranch_scc1 .LBB25_198
; %bb.187:
	s_cmp_gt_i32 s10, 24
	s_cbranch_scc0 .LBB25_199
; %bb.188:
	global_load_ubyte v4, v[1:2], off
	s_movk_i32 s0, 0x7f
	s_waitcnt vmcnt(0)
	v_cmp_lt_i16_e32 vcc, s0, v4
	s_mov_b64 s[0:1], 0
	s_and_saveexec_b64 s[2:3], vcc
	s_xor_b64 s[2:3], exec, s[2:3]
	s_cbranch_execz .LBB25_211
; %bb.189:
	s_movk_i32 s0, 0x80
	v_cmp_eq_u16_e32 vcc, s0, v4
	s_mov_b64 s[0:1], -1
	s_and_saveexec_b64 s[6:7], vcc
; %bb.190:
	s_xor_b64 s[0:1], exec, -1
; %bb.191:
	s_or_b64 exec, exec, s[6:7]
	s_and_b64 s[0:1], s[0:1], exec
	s_or_saveexec_b64 s[2:3], s[2:3]
	v_mov_b32_e32 v3, 0x7e00
	s_xor_b64 exec, exec, s[2:3]
	s_cbranch_execnz .LBB25_212
.LBB25_192:
	s_or_b64 exec, exec, s[2:3]
	s_and_saveexec_b64 s[2:3], s[0:1]
	s_cbranch_execz .LBB25_194
.LBB25_193:
	v_lshlrev_b32_e32 v3, 24, v4
	v_and_b32_e32 v4, 0xffff, v4
	v_and_b32_e32 v5, 3, v4
	v_ffbh_u32_e32 v7, v5
	v_min_u32_e32 v7, 32, v7
	v_subrev_u32_e32 v9, 29, v7
	v_bfe_u32 v6, v4, 2, 5
	v_lshlrev_b32_e32 v4, v9, v4
	v_sub_u32_e32 v7, 30, v7
	v_and_b32_e32 v4, 3, v4
	v_cmp_eq_u32_e32 vcc, 0, v6
	v_cndmask_b32_e32 v6, v6, v7, vcc
	v_cndmask_b32_e32 v4, v5, v4, vcc
	v_mov_b32_e32 v5, 0x37800000
	v_lshlrev_b32_e32 v4, 21, v4
	v_and_b32_e32 v3, 0x80000000, v3
	v_lshl_add_u32 v5, v6, 23, v5
	v_or3_b32 v3, v3, v5, v4
	v_cvt_f16_f32_e32 v3, v3
.LBB25_194:
	s_or_b64 exec, exec, s[2:3]
	s_mov_b64 s[0:1], 0
	s_branch .LBB25_200
.LBB25_195:
	s_mov_b64 s[2:3], -1
                                        ; implicit-def: $vgpr3
	s_branch .LBB25_206
.LBB25_196:
	s_or_saveexec_b64 s[2:3], s[2:3]
	v_mov_b32_e32 v3, 0x7e00
	s_xor_b64 exec, exec, s[2:3]
	s_cbranch_execz .LBB25_180
.LBB25_197:
	v_cmp_ne_u16_e32 vcc, 0, v4
	s_andn2_b64 s[0:1], s[0:1], exec
	s_and_b64 s[6:7], vcc, exec
	s_or_b64 s[0:1], s[0:1], s[6:7]
	v_mov_b32_e32 v3, v4
	s_or_b64 exec, exec, s[2:3]
	s_and_saveexec_b64 s[2:3], s[0:1]
	s_cbranch_execnz .LBB25_181
	s_branch .LBB25_182
.LBB25_198:
	s_mov_b64 s[0:1], -1
                                        ; implicit-def: $vgpr3
	s_branch .LBB25_203
.LBB25_199:
	s_mov_b64 s[0:1], -1
                                        ; implicit-def: $vgpr3
.LBB25_200:
	s_and_b64 vcc, exec, s[0:1]
	s_cbranch_vccz .LBB25_202
; %bb.201:
	global_load_ubyte v3, v[1:2], off
	s_mov_b32 s0, 0x7f800000
	s_waitcnt vmcnt(0)
	v_lshlrev_b32_e32 v3, 24, v3
	v_and_b32_e32 v4, 0x7f000000, v3
	v_ffbh_u32_e32 v5, v4
	v_min_u32_e32 v5, 32, v5
	v_sub_u32_e64 v5, v5, 4 clamp
	v_lshlrev_b32_e32 v7, v5, v4
	v_lshlrev_b32_e32 v5, 23, v5
	v_lshrrev_b32_e32 v7, 4, v7
	v_add_u32_e32 v6, 0x1000000, v4
	v_sub_u32_e32 v5, v7, v5
	v_ashrrev_i32_e32 v6, 8, v6
	v_add_u32_e32 v5, 0x3c000000, v5
	v_and_or_b32 v5, v6, s0, v5
	v_cmp_ne_u32_e32 vcc, 0, v4
	v_cndmask_b32_e32 v4, 0, v5, vcc
	s_brev_b32 s0, 1
	v_and_or_b32 v3, v3, s0, v4
	v_cvt_f16_f32_e32 v3, v3
.LBB25_202:
	s_mov_b64 s[0:1], 0
.LBB25_203:
	s_andn2_b64 vcc, exec, s[0:1]
	s_cbranch_vccnz .LBB25_205
; %bb.204:
	global_load_ubyte v3, v[1:2], off
	s_movk_i32 s0, 0x7f00
	s_brev_b32 s1, 16
	s_waitcnt vmcnt(0)
	v_lshlrev_b16_e32 v4, 8, v3
	v_lshlrev_b32_e32 v3, 25, v3
	v_lshrrev_b32_e32 v5, 4, v3
	v_and_or_b32 v6, v4, s0, 0.5
	v_or_b32_e32 v5, 0x70000000, v5
	v_add_f32_e32 v6, -0.5, v6
	v_mul_f32_e32 v5, 0x7800000, v5
	v_cmp_gt_u32_e32 vcc, s1, v3
	v_bfe_i32 v4, v4, 0, 16
	v_cndmask_b32_e32 v3, v5, v6, vcc
	s_brev_b32 s0, 1
	v_and_or_b32 v3, v4, s0, v3
	v_cvt_f16_f32_e32 v3, v3
.LBB25_205:
	s_mov_b64 s[2:3], 0
	s_mov_b64 s[0:1], -1
.LBB25_206:
	s_andn2_b64 vcc, exec, s[2:3]
	s_cbranch_vccnz .LBB25_219
; %bb.207:
	s_cmp_gt_i32 s10, 14
	s_cbranch_scc0 .LBB25_210
; %bb.208:
	s_cmp_eq_u32 s10, 15
	s_cbranch_scc0 .LBB25_213
; %bb.209:
	global_load_ushort v3, v[1:2], off
	s_mov_b64 s[0:1], -1
	s_mov_b64 s[8:9], 0
	s_waitcnt vmcnt(0)
	v_lshlrev_b32_e32 v3, 16, v3
	v_cvt_f16_f32_e32 v3, v3
	s_branch .LBB25_214
.LBB25_210:
	s_mov_b64 s[2:3], -1
                                        ; implicit-def: $vgpr3
	s_branch .LBB25_215
.LBB25_211:
	s_or_saveexec_b64 s[2:3], s[2:3]
	v_mov_b32_e32 v3, 0x7e00
	s_xor_b64 exec, exec, s[2:3]
	s_cbranch_execz .LBB25_192
.LBB25_212:
	v_cmp_ne_u16_e32 vcc, 0, v4
	s_andn2_b64 s[0:1], s[0:1], exec
	s_and_b64 s[6:7], vcc, exec
	s_or_b64 s[0:1], s[0:1], s[6:7]
	v_mov_b32_e32 v3, v4
	s_or_b64 exec, exec, s[2:3]
	s_and_saveexec_b64 s[2:3], s[0:1]
	s_cbranch_execnz .LBB25_193
	s_branch .LBB25_194
.LBB25_213:
	s_mov_b64 s[8:9], -1
                                        ; implicit-def: $vgpr3
.LBB25_214:
	s_mov_b64 s[2:3], 0
.LBB25_215:
	s_and_b64 vcc, exec, s[2:3]
	s_cbranch_vccz .LBB25_219
; %bb.216:
	s_cmp_eq_u32 s10, 11
	s_cbranch_scc0 .LBB25_218
; %bb.217:
	global_load_ubyte v3, v[1:2], off
	v_mov_b32_e32 v4, 0x3c00
	s_mov_b64 s[0:1], -1
	s_mov_b64 s[8:9], 0
	s_waitcnt vmcnt(0)
	v_cmp_ne_u16_e32 vcc, 0, v3
	v_cndmask_b32_e32 v3, 0, v4, vcc
	s_branch .LBB25_219
.LBB25_218:
	s_mov_b64 s[8:9], -1
                                        ; implicit-def: $vgpr3
.LBB25_219:
	s_branch .LBB25_24
.LBB25_220:
	s_cmp_lt_i32 s10, 5
	s_cbranch_scc1 .LBB25_225
; %bb.221:
	s_cmp_lt_i32 s10, 8
	s_cbranch_scc1 .LBB25_226
; %bb.222:
	;; [unrolled: 3-line block ×3, first 2 shown]
	s_cmp_gt_i32 s10, 9
	s_cbranch_scc0 .LBB25_228
; %bb.224:
	global_load_dwordx2 v[3:4], v[1:2], off
	s_movk_i32 s0, 0x1ff
	s_movk_i32 s1, 0xffe
	v_mov_b32_e32 v5, 0x7c00
	v_mov_b32_e32 v6, 0x7e00
	s_movk_i32 s2, 0x40f
	s_mov_b32 s3, 0x8000
	s_waitcnt vmcnt(0)
	v_and_or_b32 v3, v4, s0, v3
	v_cmp_ne_u32_e32 vcc, 0, v3
	v_lshrrev_b32_e32 v7, 8, v4
	v_bfe_u32 v9, v4, 20, 11
	v_cndmask_b32_e64 v3, 0, 1, vcc
	v_sub_u32_e32 v10, 0x3f1, v9
	v_and_or_b32 v3, v7, s1, v3
	v_add_u32_e32 v9, 0xfffffc10, v9
	v_med3_i32 v7, v10, 0, 13
	v_or_b32_e32 v10, 0x1000, v3
	v_cmp_ne_u32_e32 vcc, 0, v3
	v_lshl_or_b32 v11, v9, 12, v3
	v_cndmask_b32_e32 v3, v5, v6, vcc
	v_lshrrev_b32_e32 v6, v7, v10
	v_lshlrev_b32_e32 v7, v7, v6
	v_cmp_ne_u32_e32 vcc, v7, v10
	v_cndmask_b32_e64 v7, 0, 1, vcc
	v_or_b32_e32 v6, v6, v7
	v_cmp_gt_i32_e32 vcc, 1, v9
	v_cndmask_b32_e32 v6, v11, v6, vcc
	v_and_b32_e32 v7, 7, v6
	v_cmp_lt_i32_e32 vcc, 5, v7
	v_cndmask_b32_e64 v10, 0, 1, vcc
	v_cmp_eq_u32_e32 vcc, 3, v7
	v_cndmask_b32_e64 v7, 0, 1, vcc
	v_lshrrev_b32_e32 v6, 2, v6
	v_or_b32_e32 v7, v7, v10
	v_add_u32_e32 v6, v6, v7
	v_cmp_gt_i32_e32 vcc, 31, v9
	v_cndmask_b32_e32 v5, v5, v6, vcc
	v_cmp_eq_u32_e32 vcc, s2, v9
	v_lshrrev_b32_e32 v4, 16, v4
	v_cndmask_b32_e32 v3, v5, v3, vcc
	v_and_or_b32 v3, v4, s3, v3
	s_mov_b64 s[0:1], 0
	s_branch .LBB25_229
.LBB25_225:
                                        ; implicit-def: $vgpr3
	s_branch .LBB25_247
.LBB25_226:
	s_mov_b64 s[0:1], -1
                                        ; implicit-def: $vgpr3
	s_branch .LBB25_235
.LBB25_227:
	s_mov_b64 s[0:1], -1
                                        ; implicit-def: $vgpr3
	s_branch .LBB25_232
.LBB25_228:
	s_mov_b64 s[0:1], -1
                                        ; implicit-def: $vgpr3
.LBB25_229:
	s_andn2_b64 vcc, exec, s[0:1]
	s_cbranch_vccnz .LBB25_231
; %bb.230:
	global_load_dword v3, v[1:2], off
	s_waitcnt vmcnt(0)
	v_cvt_f16_f32_e32 v3, v3
.LBB25_231:
	s_mov_b64 s[0:1], 0
.LBB25_232:
	s_andn2_b64 vcc, exec, s[0:1]
	s_cbranch_vccnz .LBB25_234
; %bb.233:
	global_load_dword v3, v[1:2], off
.LBB25_234:
	s_mov_b64 s[0:1], 0
.LBB25_235:
	s_andn2_b64 vcc, exec, s[0:1]
	s_cbranch_vccnz .LBB25_246
; %bb.236:
	s_cmp_lt_i32 s10, 6
	s_cbranch_scc1 .LBB25_239
; %bb.237:
	s_cmp_gt_i32 s10, 6
	s_cbranch_scc0 .LBB25_240
; %bb.238:
	global_load_dwordx2 v[3:4], v[1:2], off
	s_movk_i32 s0, 0x1ff
	s_movk_i32 s1, 0xffe
	v_mov_b32_e32 v5, 0x7c00
	v_mov_b32_e32 v6, 0x7e00
	s_movk_i32 s2, 0x40f
	s_mov_b32 s3, 0x8000
	s_waitcnt vmcnt(0)
	v_and_or_b32 v3, v4, s0, v3
	v_cmp_ne_u32_e32 vcc, 0, v3
	v_lshrrev_b32_e32 v7, 8, v4
	v_bfe_u32 v9, v4, 20, 11
	v_cndmask_b32_e64 v3, 0, 1, vcc
	v_sub_u32_e32 v10, 0x3f1, v9
	v_and_or_b32 v3, v7, s1, v3
	v_add_u32_e32 v9, 0xfffffc10, v9
	v_med3_i32 v7, v10, 0, 13
	v_or_b32_e32 v10, 0x1000, v3
	v_cmp_ne_u32_e32 vcc, 0, v3
	v_lshl_or_b32 v11, v9, 12, v3
	v_cndmask_b32_e32 v3, v5, v6, vcc
	v_lshrrev_b32_e32 v6, v7, v10
	v_lshlrev_b32_e32 v7, v7, v6
	v_cmp_ne_u32_e32 vcc, v7, v10
	v_cndmask_b32_e64 v7, 0, 1, vcc
	v_or_b32_e32 v6, v6, v7
	v_cmp_gt_i32_e32 vcc, 1, v9
	v_cndmask_b32_e32 v6, v11, v6, vcc
	v_and_b32_e32 v7, 7, v6
	v_cmp_lt_i32_e32 vcc, 5, v7
	v_cndmask_b32_e64 v10, 0, 1, vcc
	v_cmp_eq_u32_e32 vcc, 3, v7
	v_cndmask_b32_e64 v7, 0, 1, vcc
	v_lshrrev_b32_e32 v6, 2, v6
	v_or_b32_e32 v7, v7, v10
	v_add_u32_e32 v6, v6, v7
	v_cmp_gt_i32_e32 vcc, 31, v9
	v_cndmask_b32_e32 v5, v5, v6, vcc
	v_cmp_eq_u32_e32 vcc, s2, v9
	v_lshrrev_b32_e32 v4, 16, v4
	v_cndmask_b32_e32 v3, v5, v3, vcc
	v_and_or_b32 v3, v4, s3, v3
	s_mov_b64 s[0:1], 0
	s_branch .LBB25_241
.LBB25_239:
	s_mov_b64 s[0:1], -1
                                        ; implicit-def: $vgpr3
	s_branch .LBB25_244
.LBB25_240:
	s_mov_b64 s[0:1], -1
                                        ; implicit-def: $vgpr3
.LBB25_241:
	s_andn2_b64 vcc, exec, s[0:1]
	s_cbranch_vccnz .LBB25_243
; %bb.242:
	global_load_dword v3, v[1:2], off
	s_waitcnt vmcnt(0)
	v_cvt_f16_f32_e32 v3, v3
.LBB25_243:
	s_mov_b64 s[0:1], 0
.LBB25_244:
	s_andn2_b64 vcc, exec, s[0:1]
	s_cbranch_vccnz .LBB25_246
; %bb.245:
	global_load_ushort v3, v[1:2], off
.LBB25_246:
	s_cbranch_execnz .LBB25_266
.LBB25_247:
	s_cmp_lt_i32 s10, 2
	s_cbranch_scc1 .LBB25_251
; %bb.248:
	s_cmp_lt_i32 s10, 3
	s_cbranch_scc1 .LBB25_252
; %bb.249:
	s_cmp_gt_i32 s10, 3
	s_cbranch_scc0 .LBB25_253
; %bb.250:
	global_load_dwordx2 v[3:4], v[1:2], off
	s_mov_b64 s[0:1], 0
	s_waitcnt vmcnt(0)
	v_xor_b32_e32 v6, v3, v4
	v_ffbh_i32_e32 v5, v4
	v_ashrrev_i32_e32 v6, 31, v6
	v_add_u32_e32 v5, -1, v5
	v_add_u32_e32 v6, 32, v6
	v_min_u32_e32 v5, v5, v6
	v_lshlrev_b64 v[3:4], v5, v[3:4]
	v_min_u32_e32 v3, 1, v3
	v_or_b32_e32 v3, v4, v3
	v_cvt_f32_i32_e32 v3, v3
	v_sub_u32_e32 v4, 32, v5
	v_ldexp_f32 v3, v3, v4
	v_cvt_f16_f32_e32 v3, v3
	s_branch .LBB25_254
.LBB25_251:
	s_mov_b64 s[0:1], -1
                                        ; implicit-def: $vgpr3
	s_branch .LBB25_260
.LBB25_252:
	s_mov_b64 s[0:1], -1
                                        ; implicit-def: $vgpr3
	s_branch .LBB25_257
.LBB25_253:
	s_mov_b64 s[0:1], -1
                                        ; implicit-def: $vgpr3
.LBB25_254:
	s_andn2_b64 vcc, exec, s[0:1]
	s_cbranch_vccnz .LBB25_256
; %bb.255:
	global_load_dword v3, v[1:2], off
	s_waitcnt vmcnt(0)
	v_cvt_f32_i32_e32 v3, v3
	v_cvt_f16_f32_e32 v3, v3
.LBB25_256:
	s_mov_b64 s[0:1], 0
.LBB25_257:
	s_andn2_b64 vcc, exec, s[0:1]
	s_cbranch_vccnz .LBB25_259
; %bb.258:
	global_load_ushort v3, v[1:2], off
	s_waitcnt vmcnt(0)
	v_cvt_f16_i16_e32 v3, v3
.LBB25_259:
	s_mov_b64 s[0:1], 0
.LBB25_260:
	s_andn2_b64 vcc, exec, s[0:1]
	s_cbranch_vccnz .LBB25_266
; %bb.261:
	s_cmp_gt_i32 s10, 0
	s_cbranch_scc0 .LBB25_263
; %bb.262:
	global_load_sbyte v3, v[1:2], off
	s_mov_b64 s[0:1], 0
	s_waitcnt vmcnt(0)
	v_cvt_f16_i16_e32 v3, v3
	s_branch .LBB25_264
.LBB25_263:
	s_mov_b64 s[0:1], -1
                                        ; implicit-def: $vgpr3
.LBB25_264:
	s_andn2_b64 vcc, exec, s[0:1]
	s_cbranch_vccnz .LBB25_266
; %bb.265:
	global_load_ubyte v1, v[1:2], off
	s_waitcnt vmcnt(0)
	v_cvt_f16_u16_e32 v3, v1
.LBB25_266:
	s_branch .LBB25_25
.LBB25_267:
	s_mov_b64 s[0:1], 0
.LBB25_268:
	s_mov_b64 s[2:3], 0
                                        ; implicit-def: $vgpr8
.LBB25_269:
	s_and_b64 s[54:55], s[0:1], exec
	s_and_b64 s[56:57], s[8:9], exec
	s_orn2_b64 s[2:3], s[2:3], exec
.LBB25_270:
	s_or_b64 exec, exec, s[58:59]
	s_mov_b64 s[6:7], 0
	s_mov_b64 s[0:1], 0
                                        ; implicit-def: $vgpr1_vgpr2
                                        ; implicit-def: $vgpr0
                                        ; implicit-def: $vgpr4
	s_and_saveexec_b64 s[58:59], s[2:3]
	s_cbranch_execz .LBB25_277
; %bb.271:
	v_cmp_gt_i32_e32 vcc, s70, v8
	s_mov_b64 s[0:1], -1
	s_mov_b64 s[60:61], s[56:57]
	s_mov_b64 s[62:63], s[54:55]
	s_and_saveexec_b64 s[64:65], vcc
	s_cbranch_execz .LBB25_550
; %bb.272:
	s_andn2_b64 vcc, exec, s[42:43]
	s_cbranch_vccnz .LBB25_280
; %bb.273:
	s_andn2_b64 vcc, exec, s[52:53]
	s_cbranch_vccnz .LBB25_281
; %bb.274:
	s_add_i32 s63, s75, 1
	s_cmp_eq_u32 s72, 2
	s_cbranch_scc1 .LBB25_282
; %bb.275:
	s_and_b32 s62, s63, 28
	v_mov_b32_e32 v2, 0
	s_mov_b32 s66, 0
	s_mov_b64 s[6:7], s[34:35]
	s_mov_b64 s[60:61], s[50:51]
	v_mov_b32_e32 v0, 0
	v_mov_b32_e32 v1, v8
.LBB25_276:                             ; =>This Inner Loop Header: Depth=1
	s_load_dwordx8 s[16:23], s[6:7], 0x4
	s_load_dwordx4 s[0:3], s[6:7], 0x24
	s_load_dwordx8 s[8:15], s[60:61], 0x0
	s_add_u32 s6, s6, 48
	s_addc_u32 s7, s7, 0
	s_waitcnt vmcnt(0) lgkmcnt(0)
	v_mul_hi_u32 v3, s17, v1
	s_add_i32 s66, s66, 4
	s_add_u32 s60, s60, 32
	s_addc_u32 s61, s61, 0
	v_add_u32_e32 v3, v1, v3
	v_lshrrev_b32_e32 v3, s18, v3
	v_mul_lo_u32 v4, v3, s16
	v_mul_hi_u32 v5, s20, v3
	s_cmp_eq_u32 s62, s66
	v_sub_u32_e32 v1, v1, v4
	v_add_u32_e32 v4, v3, v5
	v_mul_lo_u32 v5, v1, s8
	v_mul_lo_u32 v6, v1, s9
	v_lshrrev_b32_e32 v1, s21, v4
	v_mul_lo_u32 v4, v1, s19
	v_mul_hi_u32 v7, s23, v1
	v_sub_u32_e32 v3, v3, v4
	v_add_u32_e32 v4, v1, v7
	v_lshrrev_b32_e32 v4, s0, v4
	v_mul_hi_u32 v9, s2, v4
	v_mul_lo_u32 v10, v4, s22
	v_mul_lo_u32 v7, v3, s10
	v_mul_lo_u32 v3, v3, s11
	v_sub_u32_e32 v10, v1, v10
	v_add_u32_e32 v1, v4, v9
	v_lshrrev_b32_e32 v1, s3, v1
	v_mul_lo_u32 v9, v1, s1
	v_mul_lo_u32 v11, v10, s12
	;; [unrolled: 1-line block ×3, first 2 shown]
	v_add3_u32 v0, v5, v0, v7
	v_sub_u32_e32 v4, v4, v9
	v_mul_lo_u32 v9, v4, s14
	v_mul_lo_u32 v4, v4, s15
	v_add3_u32 v2, v6, v2, v3
	v_add3_u32 v0, v11, v0, v9
	;; [unrolled: 1-line block ×3, first 2 shown]
	s_cbranch_scc0 .LBB25_276
	s_branch .LBB25_283
.LBB25_277:
	s_or_b64 exec, exec, s[58:59]
	s_mov_b64 s[8:9], 0
	s_and_saveexec_b64 s[2:3], s[56:57]
	s_cbranch_execnz .LBB25_930
.LBB25_278:
	s_or_b64 exec, exec, s[2:3]
	s_and_saveexec_b64 s[2:3], s[62:63]
	s_xor_b64 s[2:3], exec, s[2:3]
	s_cbranch_execz .LBB25_931
.LBB25_279:
	global_load_ubyte v3, v[1:2], off
	v_mov_b32_e32 v4, 0x3c00
	s_or_b64 s[0:1], s[0:1], exec
	s_waitcnt vmcnt(0)
	v_cmp_ne_u16_e32 vcc, 0, v3
	v_cndmask_b32_e32 v4, 0, v4, vcc
	s_or_b64 exec, exec, s[2:3]
	s_and_saveexec_b64 s[2:3], s[6:7]
	s_cbranch_execz .LBB25_977
	s_branch .LBB25_932
.LBB25_280:
                                        ; implicit-def: $vgpr0
                                        ; implicit-def: $vgpr2
	s_andn2_b64 vcc, exec, s[0:1]
	s_cbranch_vccz .LBB25_287
	s_branch .LBB25_289
.LBB25_281:
	v_mov_b32_e32 v0, 0
	v_mov_b32_e32 v2, 0
	s_branch .LBB25_286
.LBB25_282:
	s_mov_b32 s62, 0
	v_mov_b32_e32 v0, 0
	v_mov_b32_e32 v2, 0
	;; [unrolled: 1-line block ×3, first 2 shown]
.LBB25_283:
	s_and_b32 s6, s63, 3
	s_cmp_eq_u32 s6, 0
	s_cbranch_scc1 .LBB25_286
; %bb.284:
	s_lshl_b32 s0, s62, 3
	s_add_u32 s0, s34, s0
	s_addc_u32 s1, s35, 0
	s_add_u32 s0, s0, 0xc4
	s_addc_u32 s1, s1, 0
	s_mul_i32 s2, s62, 12
	s_add_u32 s2, s34, s2
	s_addc_u32 s3, s35, 0
.LBB25_285:                             ; =>This Inner Loop Header: Depth=1
	s_load_dwordx2 s[8:9], s[2:3], 0x4
	s_load_dword s7, s[2:3], 0xc
	s_load_dwordx2 s[10:11], s[0:1], 0x0
	s_add_u32 s2, s2, 12
	s_addc_u32 s3, s3, 0
	s_waitcnt vmcnt(0) lgkmcnt(0)
	v_mul_hi_u32 v3, s9, v1
	s_add_u32 s0, s0, 8
	s_addc_u32 s1, s1, 0
	s_add_i32 s6, s6, -1
	v_add_u32_e32 v3, v1, v3
	v_lshrrev_b32_e32 v4, s7, v3
	v_mul_lo_u32 v3, v4, s8
	s_cmp_lg_u32 s6, 0
	v_sub_u32_e32 v3, v1, v3
	v_mad_u64_u32 v[0:1], s[8:9], v3, s10, v[0:1]
	v_mad_u64_u32 v[2:3], s[8:9], v3, s11, v[2:3]
	v_mov_b32_e32 v1, v4
	s_cbranch_scc1 .LBB25_285
.LBB25_286:
	s_cbranch_execnz .LBB25_289
.LBB25_287:
	s_waitcnt lgkmcnt(0)
	v_mul_hi_u32 v0, s37, v8
	s_andn2_b64 vcc, exec, s[48:49]
	v_add_u32_e32 v0, v8, v0
	v_lshrrev_b32_e32 v1, s38, v0
	v_mul_lo_u32 v0, v1, s36
	v_sub_u32_e32 v2, v8, v0
	v_mul_lo_u32 v0, v2, s28
	v_mul_lo_u32 v2, v2, s29
	s_cbranch_vccnz .LBB25_289
; %bb.288:
	s_waitcnt vmcnt(0)
	v_mul_hi_u32 v3, s46, v1
	v_add_u32_e32 v3, v1, v3
	v_lshrrev_b32_e32 v3, s47, v3
	v_mul_lo_u32 v3, v3, s39
	v_sub_u32_e32 v3, v1, v3
	v_mad_u64_u32 v[0:1], s[0:1], v3, s30, v[0:1]
	v_mad_u64_u32 v[2:3], s[0:1], v3, s31, v[2:3]
.LBB25_289:
	s_waitcnt vmcnt(0) lgkmcnt(0)
	v_mov_b32_e32 v3, s27
	s_and_b32 s10, 0xffff, s74
	v_add_co_u32_e32 v1, vcc, s26, v2
	s_cmp_lt_i32 s10, 11
	v_addc_co_u32_e32 v2, vcc, 0, v3, vcc
	s_cbranch_scc1 .LBB25_296
; %bb.290:
	s_cmp_gt_i32 s10, 25
	s_cbranch_scc0 .LBB25_309
; %bb.291:
	s_cmp_gt_i32 s10, 28
	s_cbranch_scc0 .LBB25_311
	;; [unrolled: 3-line block ×4, first 2 shown]
; %bb.294:
	s_cmp_eq_u32 s10, 46
	s_mov_b64 s[2:3], 0
	s_cbranch_scc0 .LBB25_321
; %bb.295:
	global_load_dword v3, v[1:2], off
	s_mov_b64 s[0:1], -1
	s_mov_b64 s[8:9], 0
	s_waitcnt vmcnt(0)
	v_lshlrev_b32_e32 v3, 16, v3
	v_cvt_f16_f32_e32 v3, v3
	s_branch .LBB25_322
.LBB25_296:
	s_mov_b64 s[0:1], 0
                                        ; implicit-def: $vgpr3
	s_mov_b64 s[8:9], s[56:57]
	s_cbranch_execnz .LBB25_499
.LBB25_297:
	s_andn2_b64 vcc, exec, s[0:1]
	s_cbranch_vccnz .LBB25_547
.LBB25_298:
	s_waitcnt vmcnt(0)
	v_cvt_f32_f16_e32 v1, v3
	s_brev_b32 s0, 18
                                        ; implicit-def: $vgpr3
                                        ; implicit-def: $vgpr4
	v_and_b32_e32 v2, 0x7fffffff, v1
	v_cmp_nlt_f32_e64 s[0:1], |v1|, s0
	s_and_saveexec_b64 s[2:3], s[0:1]
	s_xor_b64 s[10:11], exec, s[2:3]
	s_cbranch_execz .LBB25_300
; %bb.299:
	v_and_b32_e32 v3, 0x7fffff, v2
	v_or_b32_e32 v14, 0x800000, v3
	s_mov_b32 s0, 0xfe5163ab
	v_mad_u64_u32 v[3:4], s[0:1], v14, s0, 0
	v_mov_b32_e32 v5, 0
	s_mov_b32 s0, 0x3c439041
	v_mad_u64_u32 v[6:7], s[0:1], v14, s0, v[4:5]
	s_mov_b32 s0, 0xdb629599
	v_not_b32_e32 v15, 31
	v_mov_b32_e32 v4, v7
	v_mad_u64_u32 v[9:10], s[0:1], v14, s0, v[4:5]
	s_mov_b32 s0, 0xf534ddc0
	v_not_b32_e32 v7, 63
	v_mov_b32_e32 v4, v10
	v_mad_u64_u32 v[10:11], s[0:1], v14, s0, v[4:5]
	v_lshrrev_b32_e32 v4, 23, v2
	v_add_u32_e32 v13, 0xffffff88, v4
	v_mov_b32_e32 v4, v11
	s_mov_b32 s0, 0xfc2757d1
	v_mad_u64_u32 v[11:12], s[0:1], v14, s0, v[4:5]
	v_cmp_lt_u32_e32 vcc, 63, v13
	v_cndmask_b32_e32 v4, 0, v7, vcc
	v_add_u32_e32 v7, v4, v13
	v_mov_b32_e32 v4, v12
	s_mov_b32 s0, 0x4e441529
	v_mad_u64_u32 v[12:13], s[0:1], v14, s0, v[4:5]
	v_cmp_lt_u32_e64 s[0:1], 31, v7
	v_cndmask_b32_e64 v4, 0, v15, s[0:1]
	v_add_u32_e32 v7, v4, v7
	v_mov_b32_e32 v4, v13
	s_mov_b32 s2, 0xa2f9836e
	v_mad_u64_u32 v[4:5], s[2:3], v14, s2, v[4:5]
	v_cmp_lt_u32_e64 s[2:3], 31, v7
	v_cndmask_b32_e64 v13, 0, v15, s[2:3]
	v_add_u32_e32 v7, v13, v7
	v_cndmask_b32_e32 v13, v12, v10, vcc
	v_cndmask_b32_e32 v4, v4, v11, vcc
	;; [unrolled: 1-line block ×3, first 2 shown]
	v_cndmask_b32_e64 v14, v4, v13, s[0:1]
	v_cndmask_b32_e64 v4, v5, v4, s[0:1]
	v_cndmask_b32_e32 v5, v11, v9, vcc
	v_cndmask_b32_e64 v11, v13, v5, s[0:1]
	v_cndmask_b32_e64 v4, v4, v14, s[2:3]
	;; [unrolled: 1-line block ×3, first 2 shown]
	v_sub_u32_e32 v13, 32, v7
	v_alignbit_b32 v14, v4, v12, v13
	v_cmp_eq_u32_e64 s[6:7], 0, v7
	v_cndmask_b32_e64 v7, v14, v4, s[6:7]
	v_cndmask_b32_e32 v4, v10, v6, vcc
	v_cndmask_b32_e64 v5, v5, v4, s[0:1]
	v_cndmask_b32_e64 v6, v11, v5, s[2:3]
	v_alignbit_b32 v10, v12, v6, v13
	v_cndmask_b32_e32 v3, v9, v3, vcc
	v_cndmask_b32_e64 v10, v10, v12, s[6:7]
	v_bfe_u32 v14, v7, 29, 1
	v_cndmask_b32_e64 v3, v4, v3, s[0:1]
	v_alignbit_b32 v11, v7, v10, 30
	v_sub_u32_e32 v15, 0, v14
	v_cndmask_b32_e64 v3, v5, v3, s[2:3]
	v_xor_b32_e32 v11, v11, v15
	v_alignbit_b32 v4, v6, v3, v13
	v_cndmask_b32_e64 v4, v4, v6, s[6:7]
	v_ffbh_u32_e32 v6, v11
	v_alignbit_b32 v5, v10, v4, 30
	v_min_u32_e32 v6, 32, v6
	v_alignbit_b32 v3, v4, v3, 30
	v_xor_b32_e32 v5, v5, v15
	v_sub_u32_e32 v9, 31, v6
	v_xor_b32_e32 v3, v3, v15
	v_alignbit_b32 v10, v11, v5, v9
	v_alignbit_b32 v3, v5, v3, v9
	v_alignbit_b32 v4, v10, v3, 9
	v_ffbh_u32_e32 v5, v4
	v_min_u32_e32 v5, 32, v5
	v_lshrrev_b32_e32 v12, 29, v7
	v_not_b32_e32 v9, v5
	v_alignbit_b32 v3, v4, v3, v9
	v_lshlrev_b32_e32 v4, 31, v12
	v_or_b32_e32 v9, 0x33000000, v4
	v_add_lshl_u32 v5, v5, v6, 23
	v_lshrrev_b32_e32 v3, 9, v3
	v_sub_u32_e32 v5, v9, v5
	v_or_b32_e32 v4, 0.5, v4
	v_lshlrev_b32_e32 v6, 23, v6
	v_or_b32_e32 v3, v5, v3
	v_lshrrev_b32_e32 v5, 9, v10
	v_sub_u32_e32 v4, v4, v6
	v_or_b32_e32 v4, v5, v4
	s_mov_b32 s0, 0x3fc90fda
	v_mul_f32_e32 v5, 0x3fc90fda, v4
	v_fma_f32 v6, v4, s0, -v5
	v_fmac_f32_e32 v6, 0x33a22168, v4
	v_fmac_f32_e32 v6, 0x3fc90fda, v3
	v_lshrrev_b32_e32 v3, 30, v7
	v_add_f32_e32 v4, v5, v6
	v_add_u32_e32 v3, v14, v3
.LBB25_300:
	s_andn2_saveexec_b64 s[0:1], s[10:11]
	s_cbranch_execz .LBB25_302
; %bb.301:
	s_mov_b32 s2, 0x3f22f983
	v_mul_f32_e64 v3, |v1|, s2
	v_rndne_f32_e32 v5, v3
	s_mov_b32 s2, 0xbfc90fda
	v_cvt_i32_f32_e32 v3, v5
	v_fma_f32 v4, v5, s2, |v1|
	v_fmac_f32_e32 v4, 0xb3a22168, v5
	v_fmac_f32_e32 v4, 0xa7c234c4, v5
.LBB25_302:
	s_or_b64 exec, exec, s[0:1]
	v_mul_f32_e32 v5, v4, v4
	v_mov_b32_e32 v6, 0x3c0881c4
	v_fmac_f32_e32 v6, 0xb94c1982, v5
	v_mov_b32_e32 v7, 0xbe2aaa9d
	v_fmac_f32_e32 v7, v5, v6
	v_mul_f32_e32 v6, v5, v7
	v_fmac_f32_e32 v4, v4, v6
	v_mov_b32_e32 v6, 0xbab64f3b
	v_fmac_f32_e32 v6, 0x37d75334, v5
	v_mov_b32_e32 v7, 0x3d2aabf7
	;; [unrolled: 2-line block ×3, first 2 shown]
	v_fmac_f32_e32 v6, v5, v7
	v_fma_f32 v5, v5, v6, 1.0
	v_and_b32_e32 v6, 1, v3
	v_lshlrev_b32_e32 v3, 30, v3
	v_cmp_eq_u32_e32 vcc, 0, v6
	v_and_b32_e32 v3, 0x80000000, v3
	v_xor_b32_e32 v2, v2, v1
	v_cndmask_b32_e32 v4, v5, v4, vcc
	v_xor_b32_e32 v2, v2, v3
	s_movk_i32 s0, 0x1f8
	v_xor_b32_e32 v2, v2, v4
	v_mov_b32_e32 v3, 0x7fc00000
	v_cmp_class_f32_e64 vcc, v1, s0
	v_cndmask_b32_e32 v1, v3, v2, vcc
	v_cvt_f16_f32_e32 v2, v1
	v_mov_b32_e32 v1, s25
	s_and_b32 s12, s73, 0xff
	v_add_co_u32_e32 v0, vcc, s24, v0
	s_cmp_lt_i32 s12, 11
	v_addc_co_u32_e32 v1, vcc, 0, v1, vcc
	s_cbranch_scc1 .LBB25_310
; %bb.303:
	s_and_b32 s13, 0xffff, s12
	s_cmp_gt_i32 s13, 25
	s_cbranch_scc0 .LBB25_312
; %bb.304:
	s_cmp_gt_i32 s13, 28
	s_cbranch_scc0 .LBB25_314
; %bb.305:
	;; [unrolled: 3-line block ×4, first 2 shown]
	s_mov_b64 s[6:7], 0
	s_mov_b64 s[0:1], -1
	s_cmp_eq_u32 s13, 46
	s_mov_b64 s[2:3], 0
	s_cbranch_scc0 .LBB25_326
; %bb.308:
	v_cvt_f32_f16_e32 v3, v2
	s_movk_i32 s0, 0x7fff
	v_cmp_o_f16_e32 vcc, v2, v2
	v_mov_b32_e32 v4, 0x7fc0
	v_bfe_u32 v5, v3, 16, 1
	v_add3_u32 v3, v3, v5, s0
	v_cndmask_b32_sdwa v3, v4, v3, vcc dst_sel:DWORD dst_unused:UNUSED_PAD src0_sel:DWORD src1_sel:WORD_1
	global_store_dword v[0:1], v3, off
	s_mov_b64 s[2:3], -1
	s_mov_b64 s[0:1], 0
	s_branch .LBB25_326
.LBB25_309:
	s_mov_b64 s[2:3], -1
	s_mov_b64 s[0:1], 0
	s_mov_b64 s[8:9], s[56:57]
                                        ; implicit-def: $vgpr3
	s_branch .LBB25_463
.LBB25_310:
	s_mov_b64 s[6:7], -1
	s_mov_b64 s[2:3], 0
	s_mov_b64 s[0:1], s[54:55]
	s_branch .LBB25_395
.LBB25_311:
	s_mov_b64 s[2:3], -1
	s_mov_b64 s[0:1], 0
	s_mov_b64 s[8:9], s[56:57]
                                        ; implicit-def: $vgpr3
	s_branch .LBB25_444
.LBB25_312:
	s_mov_b64 s[6:7], -1
	s_mov_b64 s[2:3], 0
	s_mov_b64 s[0:1], s[54:55]
	s_branch .LBB25_353
.LBB25_313:
	s_mov_b64 s[2:3], -1
	s_mov_b64 s[0:1], 0
	s_mov_b64 s[8:9], s[56:57]
                                        ; implicit-def: $vgpr3
	s_branch .LBB25_439
.LBB25_314:
	s_mov_b64 s[6:7], -1
	s_mov_b64 s[2:3], 0
	s_mov_b64 s[0:1], s[54:55]
	s_branch .LBB25_336
.LBB25_315:
	s_andn2_saveexec_b64 s[10:11], s[10:11]
	s_cbranch_execz .LBB25_72
.LBB25_316:
	s_mov_b32 s14, 0x46000000
	v_add_f32_e64 v4, |v3|, s14
	v_and_b32_e32 v4, 0xff, v4
	v_cmp_ne_u32_e32 vcc, 0, v4
	s_andn2_b64 s[6:7], s[6:7], exec
	s_and_b64 s[14:15], vcc, exec
	s_or_b64 s[6:7], s[6:7], s[14:15]
	s_or_b64 exec, exec, s[10:11]
	v_mov_b32_e32 v5, 0
	s_and_saveexec_b64 s[10:11], s[6:7]
	s_cbranch_execnz .LBB25_73
	s_branch .LBB25_74
.LBB25_317:
	s_mov_b64 s[2:3], -1
	s_mov_b64 s[0:1], 0
	s_mov_b64 s[8:9], s[56:57]
                                        ; implicit-def: $vgpr3
	s_branch .LBB25_322
.LBB25_318:
	s_mov_b64 s[6:7], -1
	s_mov_b64 s[2:3], 0
	s_mov_b64 s[0:1], s[54:55]
	s_branch .LBB25_332
.LBB25_319:
	s_andn2_saveexec_b64 s[10:11], s[10:11]
	s_cbranch_execz .LBB25_85
.LBB25_320:
	s_mov_b32 s14, 0x42800000
	v_add_f32_e64 v4, |v3|, s14
	v_and_b32_e32 v4, 0xff, v4
	v_cmp_ne_u32_e32 vcc, 0, v4
	s_andn2_b64 s[6:7], s[6:7], exec
	s_and_b64 s[14:15], vcc, exec
	s_or_b64 s[6:7], s[6:7], s[14:15]
	s_or_b64 exec, exec, s[10:11]
	v_mov_b32_e32 v5, 0
	s_and_saveexec_b64 s[10:11], s[6:7]
	s_cbranch_execnz .LBB25_86
	s_branch .LBB25_87
.LBB25_321:
	s_mov_b64 s[8:9], -1
                                        ; implicit-def: $vgpr3
	s_mov_b64 s[0:1], 0
.LBB25_322:
	s_and_b64 vcc, exec, s[2:3]
	s_cbranch_vccz .LBB25_438
; %bb.323:
	s_cmp_eq_u32 s10, 44
	s_cbranch_scc0 .LBB25_437
; %bb.324:
	global_load_ubyte v3, v[1:2], off
	s_movk_i32 s2, 0xff
	v_mov_b32_e32 v5, 0x7e00
	s_mov_b64 s[0:1], -1
	s_mov_b64 s[8:9], 0
	s_waitcnt vmcnt(0)
	v_lshlrev_b32_e32 v4, 23, v3
	v_cvt_f16_f32_e32 v4, v4
	v_cmp_ne_u32_e32 vcc, s2, v3
	v_cndmask_b32_e32 v4, v5, v4, vcc
	v_cmp_ne_u32_e32 vcc, 0, v3
	v_cndmask_b32_e32 v3, 0, v4, vcc
	s_branch .LBB25_438
.LBB25_325:
	s_mov_b64 s[6:7], -1
	s_mov_b64 s[2:3], 0
	s_mov_b64 s[0:1], s[54:55]
.LBB25_326:
	s_and_b64 vcc, exec, s[6:7]
	s_cbranch_vccz .LBB25_331
; %bb.327:
	s_cmp_eq_u32 s13, 44
	s_mov_b64 s[0:1], -1
	s_cbranch_scc0 .LBB25_331
; %bb.328:
	v_cvt_f32_f16_e32 v3, v2
	s_movk_i32 s0, 0xff
	v_mov_b32_e32 v5, 0xff
	v_bfe_u32 v4, v3, 23, 8
	v_cmp_ne_u32_e32 vcc, s0, v4
	s_and_saveexec_b64 s[2:3], vcc
; %bb.329:
	s_mov_b32 s0, 0x3fffff
	v_lshrrev_b32_e32 v5, 23, v3
	v_and_b32_e32 v6, 0x400000, v3
	v_and_or_b32 v3, v3, s0, v4
	v_cmp_ne_u32_e32 vcc, 0, v6
	v_cmp_ne_u32_e64 s[0:1], 0, v3
	s_and_b64 s[0:1], vcc, s[0:1]
	v_cndmask_b32_e64 v3, 0, 1, s[0:1]
	v_add_u32_e32 v5, v5, v3
; %bb.330:
	s_or_b64 exec, exec, s[2:3]
	s_mov_b64 s[2:3], -1
	s_mov_b64 s[0:1], 0
	global_store_byte v[0:1], v5, off
.LBB25_331:
	s_mov_b64 s[6:7], 0
.LBB25_332:
	s_and_b64 vcc, exec, s[6:7]
	s_cbranch_vccz .LBB25_335
; %bb.333:
	s_cmp_eq_u32 s13, 29
	s_mov_b64 s[0:1], -1
	s_cbranch_scc0 .LBB25_335
; %bb.334:
	v_cvt_f32_f16_e32 v3, v2
	v_mov_b32_e32 v4, 0
	s_mov_b64 s[2:3], -1
	s_mov_b64 s[0:1], 0
	v_cvt_u32_f32_e32 v3, v3
	s_mov_b64 s[6:7], 0
	global_store_dwordx2 v[0:1], v[3:4], off
	s_branch .LBB25_336
.LBB25_335:
	s_mov_b64 s[6:7], 0
.LBB25_336:
	s_and_b64 vcc, exec, s[6:7]
	s_cbranch_vccz .LBB25_352
; %bb.337:
	s_cmp_lt_i32 s13, 27
	s_mov_b64 s[2:3], -1
	s_cbranch_scc1 .LBB25_343
; %bb.338:
	s_cmp_gt_i32 s13, 27
	s_cbranch_scc0 .LBB25_340
; %bb.339:
	v_cvt_f32_f16_e32 v3, v2
	s_mov_b64 s[2:3], 0
	v_cvt_u32_f32_e32 v3, v3
	global_store_dword v[0:1], v3, off
.LBB25_340:
	s_andn2_b64 vcc, exec, s[2:3]
	s_cbranch_vccnz .LBB25_342
; %bb.341:
	v_cvt_u16_f16_e32 v3, v2
	global_store_short v[0:1], v3, off
.LBB25_342:
	s_mov_b64 s[2:3], 0
.LBB25_343:
	s_andn2_b64 vcc, exec, s[2:3]
	s_cbranch_vccnz .LBB25_351
; %bb.344:
	v_cvt_f32_f16_e32 v3, v2
	s_mov_b32 s2, 0x43800000
	v_mov_b32_e32 v5, 0x80
	v_and_b32_e32 v4, 0x7fffffff, v3
	v_cmp_gt_u32_e32 vcc, s2, v4
	s_and_saveexec_b64 s[2:3], vcc
	s_cbranch_execz .LBB25_350
; %bb.345:
	s_mov_b32 s6, 0x3bffffff
	v_cmp_lt_u32_e32 vcc, s6, v4
	s_mov_b64 s[6:7], 0
                                        ; implicit-def: $vgpr4
	s_and_saveexec_b64 s[10:11], vcc
	s_xor_b64 s[10:11], exec, s[10:11]
	s_cbranch_execz .LBB25_578
; %bb.346:
	v_bfe_u32 v4, v3, 20, 1
	s_mov_b32 s14, 0x487ffff
	v_add3_u32 v4, v3, v4, s14
	s_mov_b64 s[6:7], exec
	v_lshrrev_b32_e32 v4, 20, v4
	s_andn2_saveexec_b64 s[10:11], s[10:11]
	s_cbranch_execnz .LBB25_579
.LBB25_347:
	s_or_b64 exec, exec, s[10:11]
	v_mov_b32_e32 v5, 0
	s_and_saveexec_b64 s[10:11], s[6:7]
.LBB25_348:
	v_lshrrev_b32_e32 v3, 24, v3
	s_movk_i32 s6, 0x80
	v_and_or_b32 v5, v3, s6, v4
.LBB25_349:
	s_or_b64 exec, exec, s[10:11]
.LBB25_350:
	s_or_b64 exec, exec, s[2:3]
	global_store_byte v[0:1], v5, off
.LBB25_351:
	s_mov_b64 s[2:3], -1
.LBB25_352:
	s_mov_b64 s[6:7], 0
.LBB25_353:
	s_and_b64 vcc, exec, s[6:7]
	s_cbranch_vccz .LBB25_394
; %bb.354:
	s_cmp_gt_i32 s13, 22
	s_mov_b64 s[6:7], -1
	s_cbranch_scc0 .LBB25_386
; %bb.355:
	s_cmp_lt_i32 s13, 24
	s_mov_b64 s[2:3], -1
	s_cbranch_scc1 .LBB25_375
; %bb.356:
	s_cmp_gt_i32 s13, 24
	s_cbranch_scc0 .LBB25_364
; %bb.357:
	v_cvt_f32_f16_e32 v3, v2
	s_mov_b32 s2, 0x47800000
	v_mov_b32_e32 v5, 0x80
	v_and_b32_e32 v4, 0x7fffffff, v3
	v_cmp_gt_u32_e32 vcc, s2, v4
	s_and_saveexec_b64 s[2:3], vcc
	s_cbranch_execz .LBB25_363
; %bb.358:
	s_mov_b32 s6, 0x37ffffff
	v_cmp_lt_u32_e32 vcc, s6, v4
	s_mov_b64 s[6:7], 0
                                        ; implicit-def: $vgpr4
	s_and_saveexec_b64 s[10:11], vcc
	s_xor_b64 s[10:11], exec, s[10:11]
	s_cbranch_execz .LBB25_581
; %bb.359:
	v_bfe_u32 v4, v3, 21, 1
	s_mov_b32 s14, 0x88fffff
	v_add3_u32 v4, v3, v4, s14
	s_mov_b64 s[6:7], exec
	v_lshrrev_b32_e32 v4, 21, v4
	s_andn2_saveexec_b64 s[10:11], s[10:11]
	s_cbranch_execnz .LBB25_582
.LBB25_360:
	s_or_b64 exec, exec, s[10:11]
	v_mov_b32_e32 v5, 0
	s_and_saveexec_b64 s[10:11], s[6:7]
.LBB25_361:
	v_lshrrev_b32_e32 v3, 24, v3
	s_movk_i32 s6, 0x80
	v_and_or_b32 v5, v3, s6, v4
.LBB25_362:
	s_or_b64 exec, exec, s[10:11]
.LBB25_363:
	s_or_b64 exec, exec, s[2:3]
	s_mov_b64 s[2:3], 0
	global_store_byte v[0:1], v5, off
.LBB25_364:
	s_and_b64 vcc, exec, s[2:3]
	s_cbranch_vccz .LBB25_374
; %bb.365:
	v_cvt_f32_f16_e32 v3, v2
	s_mov_b32 s2, 0x43f00000
                                        ; implicit-def: $vgpr4
	v_and_b32_e32 v5, 0x7fffffff, v3
	v_cmp_gt_u32_e32 vcc, s2, v5
	s_and_saveexec_b64 s[2:3], vcc
	s_xor_b64 s[2:3], exec, s[2:3]
	s_cbranch_execz .LBB25_371
; %bb.366:
	s_mov_b32 s6, 0x3c7fffff
	v_cmp_lt_u32_e32 vcc, s6, v5
                                        ; implicit-def: $vgpr4
	s_and_saveexec_b64 s[6:7], vcc
	s_xor_b64 s[6:7], exec, s[6:7]
; %bb.367:
	v_bfe_u32 v4, v3, 20, 1
	s_mov_b32 s10, 0x407ffff
	v_add3_u32 v4, v3, v4, s10
	v_lshrrev_b32_e32 v5, 20, v4
	v_and_b32_e32 v4, 0xff00000, v4
	s_mov_b32 s10, 0x7f00000
	v_mov_b32_e32 v6, 0x7e
	v_cmp_ne_u32_e32 vcc, s10, v4
	v_cndmask_b32_e32 v4, v6, v5, vcc
; %bb.368:
	s_andn2_saveexec_b64 s[6:7], s[6:7]
; %bb.369:
	s_mov_b32 s10, 0x46800000
	v_add_f32_e64 v4, |v3|, s10
; %bb.370:
	s_or_b64 exec, exec, s[6:7]
                                        ; implicit-def: $vgpr5
.LBB25_371:
	s_andn2_saveexec_b64 s[2:3], s[2:3]
; %bb.372:
	s_mov_b32 s6, 0x7f800000
	v_mov_b32_e32 v4, 0x7e
	v_mov_b32_e32 v6, 0x7f
	v_cmp_lt_u32_e32 vcc, s6, v5
	v_cndmask_b32_e32 v4, v4, v6, vcc
; %bb.373:
	s_or_b64 exec, exec, s[2:3]
	v_lshrrev_b32_e32 v3, 24, v3
	s_movk_i32 s2, 0x80
	v_and_or_b32 v3, v3, s2, v4
	global_store_byte v[0:1], v3, off
.LBB25_374:
	s_mov_b64 s[2:3], 0
.LBB25_375:
	s_andn2_b64 vcc, exec, s[2:3]
	s_cbranch_vccnz .LBB25_385
; %bb.376:
	v_cvt_f32_f16_e32 v3, v2
	s_mov_b32 s2, 0x47800000
                                        ; implicit-def: $vgpr4
	v_and_b32_e32 v5, 0x7fffffff, v3
	v_cmp_gt_u32_e32 vcc, s2, v5
	s_and_saveexec_b64 s[2:3], vcc
	s_xor_b64 s[2:3], exec, s[2:3]
	s_cbranch_execz .LBB25_382
; %bb.377:
	s_mov_b32 s6, 0x387fffff
	v_cmp_lt_u32_e32 vcc, s6, v5
                                        ; implicit-def: $vgpr4
	s_and_saveexec_b64 s[6:7], vcc
	s_xor_b64 s[6:7], exec, s[6:7]
; %bb.378:
	v_bfe_u32 v4, v3, 21, 1
	s_mov_b32 s10, 0x80fffff
	v_add3_u32 v4, v3, v4, s10
	v_lshrrev_b32_e32 v4, 21, v4
; %bb.379:
	s_andn2_saveexec_b64 s[6:7], s[6:7]
; %bb.380:
	s_mov_b32 s10, 0x43000000
	v_add_f32_e64 v4, |v3|, s10
; %bb.381:
	s_or_b64 exec, exec, s[6:7]
                                        ; implicit-def: $vgpr5
.LBB25_382:
	s_andn2_saveexec_b64 s[2:3], s[2:3]
; %bb.383:
	s_mov_b32 s6, 0x7f800000
	v_mov_b32_e32 v4, 0x7c
	v_mov_b32_e32 v6, 0x7f
	v_cmp_lt_u32_e32 vcc, s6, v5
	v_cndmask_b32_e32 v4, v4, v6, vcc
; %bb.384:
	s_or_b64 exec, exec, s[2:3]
	v_lshrrev_b32_e32 v3, 24, v3
	s_movk_i32 s2, 0x80
	v_and_or_b32 v3, v3, s2, v4
	global_store_byte v[0:1], v3, off
.LBB25_385:
	s_mov_b64 s[6:7], 0
	s_mov_b64 s[2:3], -1
.LBB25_386:
	s_andn2_b64 vcc, exec, s[6:7]
	s_cbranch_vccnz .LBB25_394
; %bb.387:
	s_cmp_gt_i32 s13, 14
	s_mov_b64 s[6:7], -1
	s_cbranch_scc0 .LBB25_391
; %bb.388:
	s_cmp_eq_u32 s13, 15
	s_mov_b64 s[0:1], -1
	s_cbranch_scc0 .LBB25_390
; %bb.389:
	v_cvt_f32_f16_e32 v3, v2
	s_movk_i32 s0, 0x7fff
	v_cmp_o_f16_e32 vcc, v2, v2
	v_mov_b32_e32 v4, 0x7fc0
	v_bfe_u32 v5, v3, 16, 1
	v_add3_u32 v3, v3, v5, s0
	v_cndmask_b32_sdwa v3, v4, v3, vcc dst_sel:DWORD dst_unused:UNUSED_PAD src0_sel:DWORD src1_sel:WORD_1
	global_store_short v[0:1], v3, off
	s_mov_b64 s[2:3], -1
	s_mov_b64 s[0:1], 0
.LBB25_390:
	s_mov_b64 s[6:7], 0
.LBB25_391:
	s_and_b64 vcc, exec, s[6:7]
	s_cbranch_vccz .LBB25_394
; %bb.392:
	s_cmp_eq_u32 s13, 11
	s_mov_b64 s[0:1], -1
	s_cbranch_scc0 .LBB25_394
; %bb.393:
	v_cmp_neq_f16_e32 vcc, 0, v2
	v_cndmask_b32_e64 v3, 0, 1, vcc
	s_mov_b64 s[2:3], -1
	s_mov_b64 s[0:1], 0
	global_store_byte v[0:1], v3, off
.LBB25_394:
	s_mov_b64 s[6:7], 0
.LBB25_395:
	s_and_b64 vcc, exec, s[6:7]
	s_cbranch_vccz .LBB25_434
; %bb.396:
	s_and_b32 s6, 0xffff, s12
	s_cmp_lt_i32 s6, 5
	s_mov_b64 s[2:3], -1
	s_cbranch_scc1 .LBB25_417
; %bb.397:
	s_cmp_lt_i32 s6, 8
	s_cbranch_scc1 .LBB25_407
; %bb.398:
	s_cmp_lt_i32 s6, 9
	s_cbranch_scc1 .LBB25_404
; %bb.399:
	s_cmp_gt_i32 s6, 9
	s_cbranch_scc0 .LBB25_401
; %bb.400:
	v_cvt_f32_f16_e32 v3, v2
	v_mov_b32_e32 v5, 0
	v_mov_b32_e32 v6, v5
	s_mov_b64 s[2:3], 0
	v_cvt_f64_f32_e32 v[3:4], v3
	global_store_dwordx4 v[0:1], v[3:6], off
.LBB25_401:
	s_andn2_b64 vcc, exec, s[2:3]
	s_cbranch_vccnz .LBB25_403
; %bb.402:
	v_cvt_f32_f16_e32 v3, v2
	v_mov_b32_e32 v4, 0
	global_store_dwordx2 v[0:1], v[3:4], off
.LBB25_403:
	s_mov_b64 s[2:3], 0
.LBB25_404:
	s_andn2_b64 vcc, exec, s[2:3]
	s_cbranch_vccnz .LBB25_406
; %bb.405:
	global_store_dword v[0:1], v2, off
.LBB25_406:
	s_mov_b64 s[2:3], 0
.LBB25_407:
	s_andn2_b64 vcc, exec, s[2:3]
	s_cbranch_vccnz .LBB25_416
; %bb.408:
	s_cmp_lt_i32 s6, 6
	s_mov_b64 s[2:3], -1
	s_cbranch_scc1 .LBB25_414
; %bb.409:
	s_cmp_gt_i32 s6, 6
	s_cbranch_scc0 .LBB25_411
; %bb.410:
	v_cvt_f32_f16_e32 v3, v2
	s_mov_b64 s[2:3], 0
	v_cvt_f64_f32_e32 v[3:4], v3
	global_store_dwordx2 v[0:1], v[3:4], off
.LBB25_411:
	s_andn2_b64 vcc, exec, s[2:3]
	s_cbranch_vccnz .LBB25_413
; %bb.412:
	v_cvt_f32_f16_e32 v3, v2
	global_store_dword v[0:1], v3, off
.LBB25_413:
	s_mov_b64 s[2:3], 0
.LBB25_414:
	s_andn2_b64 vcc, exec, s[2:3]
	s_cbranch_vccnz .LBB25_416
; %bb.415:
	global_store_short v[0:1], v2, off
.LBB25_416:
	s_mov_b64 s[2:3], 0
.LBB25_417:
	s_andn2_b64 vcc, exec, s[2:3]
	s_cbranch_vccnz .LBB25_433
; %bb.418:
	s_cmp_lt_i32 s6, 2
	s_mov_b64 s[2:3], -1
	s_cbranch_scc1 .LBB25_428
; %bb.419:
	s_cmp_lt_i32 s6, 3
	s_cbranch_scc1 .LBB25_425
; %bb.420:
	s_cmp_gt_i32 s6, 3
	s_cbranch_scc0 .LBB25_422
; %bb.421:
	v_cvt_f32_f16_e32 v3, v2
	s_mov_b64 s[2:3], 0
	v_cvt_i32_f32_e32 v3, v3
	v_ashrrev_i32_e32 v4, 31, v3
	global_store_dwordx2 v[0:1], v[3:4], off
.LBB25_422:
	s_andn2_b64 vcc, exec, s[2:3]
	s_cbranch_vccnz .LBB25_424
; %bb.423:
	v_cvt_f32_f16_e32 v3, v2
	v_cvt_i32_f32_e32 v3, v3
	global_store_dword v[0:1], v3, off
.LBB25_424:
	s_mov_b64 s[2:3], 0
.LBB25_425:
	s_andn2_b64 vcc, exec, s[2:3]
	s_cbranch_vccnz .LBB25_427
; %bb.426:
	v_cvt_i16_f16_e32 v3, v2
	global_store_short v[0:1], v3, off
.LBB25_427:
	s_mov_b64 s[2:3], 0
.LBB25_428:
	s_andn2_b64 vcc, exec, s[2:3]
	s_cbranch_vccnz .LBB25_433
; %bb.429:
	s_cmp_gt_i32 s6, 0
	s_mov_b64 s[2:3], -1
	s_cbranch_scc0 .LBB25_431
; %bb.430:
	v_cvt_i16_f16_e32 v3, v2
	s_mov_b64 s[2:3], 0
	global_store_byte v[0:1], v3, off
.LBB25_431:
	s_andn2_b64 vcc, exec, s[2:3]
	s_cbranch_vccnz .LBB25_433
; %bb.432:
	v_cvt_f32_f16_e32 v2, v2
	v_cvt_i32_f32_e32 v2, v2
	global_store_byte v[0:1], v2, off
.LBB25_433:
	s_mov_b64 s[2:3], -1
.LBB25_434:
	s_andn2_b64 vcc, exec, s[2:3]
	s_cbranch_vccnz .LBB25_436
; %bb.435:
	v_add_u32_e32 v8, 0x80, v8
	s_mov_b64 s[2:3], -1
	s_branch .LBB25_549
.LBB25_436:
	s_mov_b64 s[2:3], 0
	s_branch .LBB25_548
.LBB25_437:
	s_mov_b64 s[8:9], -1
                                        ; implicit-def: $vgpr3
.LBB25_438:
	s_mov_b64 s[2:3], 0
.LBB25_439:
	s_and_b64 vcc, exec, s[2:3]
	s_cbranch_vccz .LBB25_443
; %bb.440:
	s_cmp_eq_u32 s10, 29
	s_cbranch_scc0 .LBB25_442
; %bb.441:
	global_load_dwordx2 v[3:4], v[1:2], off
	s_mov_b64 s[0:1], -1
	s_mov_b64 s[8:9], 0
	s_mov_b64 s[2:3], 0
	s_waitcnt vmcnt(0)
	v_ffbh_u32_e32 v5, v4
	v_min_u32_e32 v5, 32, v5
	v_lshlrev_b64 v[3:4], v5, v[3:4]
	v_min_u32_e32 v3, 1, v3
	v_or_b32_e32 v3, v4, v3
	v_cvt_f32_u32_e32 v3, v3
	v_sub_u32_e32 v4, 32, v5
	v_ldexp_f32 v3, v3, v4
	v_cvt_f16_f32_e32 v3, v3
	s_branch .LBB25_444
.LBB25_442:
	s_mov_b64 s[8:9], -1
                                        ; implicit-def: $vgpr3
.LBB25_443:
	s_mov_b64 s[2:3], 0
.LBB25_444:
	s_and_b64 vcc, exec, s[2:3]
	s_cbranch_vccz .LBB25_462
; %bb.445:
	s_cmp_lt_i32 s10, 27
	s_cbranch_scc1 .LBB25_448
; %bb.446:
	s_cmp_gt_i32 s10, 27
	s_cbranch_scc0 .LBB25_449
; %bb.447:
	global_load_dword v3, v[1:2], off
	s_mov_b64 s[0:1], 0
	s_waitcnt vmcnt(0)
	v_cvt_f32_u32_e32 v3, v3
	v_cvt_f16_f32_e32 v3, v3
	s_branch .LBB25_450
.LBB25_448:
	s_mov_b64 s[0:1], -1
                                        ; implicit-def: $vgpr3
	s_branch .LBB25_453
.LBB25_449:
	s_mov_b64 s[0:1], -1
                                        ; implicit-def: $vgpr3
.LBB25_450:
	s_andn2_b64 vcc, exec, s[0:1]
	s_cbranch_vccnz .LBB25_452
; %bb.451:
	global_load_ushort v3, v[1:2], off
	s_waitcnt vmcnt(0)
	v_cvt_f16_u16_e32 v3, v3
.LBB25_452:
	s_mov_b64 s[0:1], 0
.LBB25_453:
	s_andn2_b64 vcc, exec, s[0:1]
	s_cbranch_vccnz .LBB25_461
; %bb.454:
	global_load_ubyte v4, v[1:2], off
	s_movk_i32 s0, 0x7f
	s_waitcnt vmcnt(0)
	v_cmp_lt_i16_e32 vcc, s0, v4
	s_mov_b64 s[0:1], 0
	s_and_saveexec_b64 s[2:3], vcc
	s_xor_b64 s[2:3], exec, s[2:3]
	s_cbranch_execz .LBB25_475
; %bb.455:
	s_movk_i32 s0, 0x80
	v_cmp_eq_u16_e32 vcc, s0, v4
	s_mov_b64 s[0:1], -1
	s_and_saveexec_b64 s[6:7], vcc
; %bb.456:
	s_xor_b64 s[0:1], exec, -1
; %bb.457:
	s_or_b64 exec, exec, s[6:7]
	s_and_b64 s[0:1], s[0:1], exec
	s_or_saveexec_b64 s[2:3], s[2:3]
	v_mov_b32_e32 v3, 0x7e00
	s_xor_b64 exec, exec, s[2:3]
	s_cbranch_execnz .LBB25_476
.LBB25_458:
	s_or_b64 exec, exec, s[2:3]
	s_and_saveexec_b64 s[2:3], s[0:1]
	s_cbranch_execz .LBB25_460
.LBB25_459:
	v_lshlrev_b32_e32 v3, 24, v4
	v_and_b32_e32 v4, 0xffff, v4
	v_and_b32_e32 v5, 7, v4
	v_ffbh_u32_e32 v7, v5
	v_min_u32_e32 v7, 32, v7
	v_subrev_u32_e32 v9, 28, v7
	v_bfe_u32 v6, v4, 3, 4
	v_lshlrev_b32_e32 v4, v9, v4
	v_sub_u32_e32 v7, 29, v7
	v_and_b32_e32 v4, 7, v4
	v_cmp_eq_u32_e32 vcc, 0, v6
	v_cndmask_b32_e32 v6, v6, v7, vcc
	v_cndmask_b32_e32 v4, v5, v4, vcc
	v_mov_b32_e32 v5, 0x3b800000
	v_lshlrev_b32_e32 v4, 20, v4
	v_and_b32_e32 v3, 0x80000000, v3
	v_lshl_add_u32 v5, v6, 23, v5
	v_or3_b32 v3, v3, v5, v4
	v_cvt_f16_f32_e32 v3, v3
.LBB25_460:
	s_or_b64 exec, exec, s[2:3]
.LBB25_461:
	s_mov_b64 s[0:1], -1
.LBB25_462:
	s_mov_b64 s[2:3], 0
.LBB25_463:
	s_and_b64 vcc, exec, s[2:3]
	s_cbranch_vccz .LBB25_498
; %bb.464:
	s_cmp_gt_i32 s10, 22
	s_cbranch_scc0 .LBB25_474
; %bb.465:
	s_cmp_lt_i32 s10, 24
	s_cbranch_scc1 .LBB25_477
; %bb.466:
	s_cmp_gt_i32 s10, 24
	s_cbranch_scc0 .LBB25_478
; %bb.467:
	global_load_ubyte v4, v[1:2], off
	s_movk_i32 s0, 0x7f
	s_waitcnt vmcnt(0)
	v_cmp_lt_i16_e32 vcc, s0, v4
	s_mov_b64 s[0:1], 0
	s_and_saveexec_b64 s[2:3], vcc
	s_xor_b64 s[2:3], exec, s[2:3]
	s_cbranch_execz .LBB25_490
; %bb.468:
	s_movk_i32 s0, 0x80
	v_cmp_eq_u16_e32 vcc, s0, v4
	s_mov_b64 s[0:1], -1
	s_and_saveexec_b64 s[6:7], vcc
; %bb.469:
	s_xor_b64 s[0:1], exec, -1
; %bb.470:
	s_or_b64 exec, exec, s[6:7]
	s_and_b64 s[0:1], s[0:1], exec
	s_or_saveexec_b64 s[2:3], s[2:3]
	v_mov_b32_e32 v3, 0x7e00
	s_xor_b64 exec, exec, s[2:3]
	s_cbranch_execnz .LBB25_491
.LBB25_471:
	s_or_b64 exec, exec, s[2:3]
	s_and_saveexec_b64 s[2:3], s[0:1]
	s_cbranch_execz .LBB25_473
.LBB25_472:
	v_lshlrev_b32_e32 v3, 24, v4
	v_and_b32_e32 v4, 0xffff, v4
	v_and_b32_e32 v5, 3, v4
	v_ffbh_u32_e32 v7, v5
	v_min_u32_e32 v7, 32, v7
	v_subrev_u32_e32 v9, 29, v7
	v_bfe_u32 v6, v4, 2, 5
	v_lshlrev_b32_e32 v4, v9, v4
	v_sub_u32_e32 v7, 30, v7
	v_and_b32_e32 v4, 3, v4
	v_cmp_eq_u32_e32 vcc, 0, v6
	v_cndmask_b32_e32 v6, v6, v7, vcc
	v_cndmask_b32_e32 v4, v5, v4, vcc
	v_mov_b32_e32 v5, 0x37800000
	v_lshlrev_b32_e32 v4, 21, v4
	v_and_b32_e32 v3, 0x80000000, v3
	v_lshl_add_u32 v5, v6, 23, v5
	v_or3_b32 v3, v3, v5, v4
	v_cvt_f16_f32_e32 v3, v3
.LBB25_473:
	s_or_b64 exec, exec, s[2:3]
	s_mov_b64 s[0:1], 0
	s_branch .LBB25_479
.LBB25_474:
	s_mov_b64 s[2:3], -1
                                        ; implicit-def: $vgpr3
	s_branch .LBB25_485
.LBB25_475:
	s_or_saveexec_b64 s[2:3], s[2:3]
	v_mov_b32_e32 v3, 0x7e00
	s_xor_b64 exec, exec, s[2:3]
	s_cbranch_execz .LBB25_458
.LBB25_476:
	v_cmp_ne_u16_e32 vcc, 0, v4
	s_andn2_b64 s[0:1], s[0:1], exec
	s_and_b64 s[6:7], vcc, exec
	s_or_b64 s[0:1], s[0:1], s[6:7]
	v_mov_b32_e32 v3, v4
	s_or_b64 exec, exec, s[2:3]
	s_and_saveexec_b64 s[2:3], s[0:1]
	s_cbranch_execnz .LBB25_459
	s_branch .LBB25_460
.LBB25_477:
	s_mov_b64 s[0:1], -1
                                        ; implicit-def: $vgpr3
	s_branch .LBB25_482
.LBB25_478:
	s_mov_b64 s[0:1], -1
                                        ; implicit-def: $vgpr3
.LBB25_479:
	s_and_b64 vcc, exec, s[0:1]
	s_cbranch_vccz .LBB25_481
; %bb.480:
	global_load_ubyte v3, v[1:2], off
	s_mov_b32 s0, 0x7f800000
	s_waitcnt vmcnt(0)
	v_lshlrev_b32_e32 v3, 24, v3
	v_and_b32_e32 v4, 0x7f000000, v3
	v_ffbh_u32_e32 v5, v4
	v_min_u32_e32 v5, 32, v5
	v_sub_u32_e64 v5, v5, 4 clamp
	v_lshlrev_b32_e32 v7, v5, v4
	v_lshlrev_b32_e32 v5, 23, v5
	v_lshrrev_b32_e32 v7, 4, v7
	v_add_u32_e32 v6, 0x1000000, v4
	v_sub_u32_e32 v5, v7, v5
	v_ashrrev_i32_e32 v6, 8, v6
	v_add_u32_e32 v5, 0x3c000000, v5
	v_and_or_b32 v5, v6, s0, v5
	v_cmp_ne_u32_e32 vcc, 0, v4
	v_cndmask_b32_e32 v4, 0, v5, vcc
	s_brev_b32 s0, 1
	v_and_or_b32 v3, v3, s0, v4
	v_cvt_f16_f32_e32 v3, v3
.LBB25_481:
	s_mov_b64 s[0:1], 0
.LBB25_482:
	s_andn2_b64 vcc, exec, s[0:1]
	s_cbranch_vccnz .LBB25_484
; %bb.483:
	global_load_ubyte v3, v[1:2], off
	s_movk_i32 s0, 0x7f00
	s_brev_b32 s1, 16
	s_waitcnt vmcnt(0)
	v_lshlrev_b16_e32 v4, 8, v3
	v_lshlrev_b32_e32 v3, 25, v3
	v_lshrrev_b32_e32 v5, 4, v3
	v_and_or_b32 v6, v4, s0, 0.5
	v_or_b32_e32 v5, 0x70000000, v5
	v_add_f32_e32 v6, -0.5, v6
	v_mul_f32_e32 v5, 0x7800000, v5
	v_cmp_gt_u32_e32 vcc, s1, v3
	v_bfe_i32 v4, v4, 0, 16
	v_cndmask_b32_e32 v3, v5, v6, vcc
	s_brev_b32 s0, 1
	v_and_or_b32 v3, v4, s0, v3
	v_cvt_f16_f32_e32 v3, v3
.LBB25_484:
	s_mov_b64 s[2:3], 0
	s_mov_b64 s[0:1], -1
.LBB25_485:
	s_andn2_b64 vcc, exec, s[2:3]
	s_cbranch_vccnz .LBB25_498
; %bb.486:
	s_cmp_gt_i32 s10, 14
	s_cbranch_scc0 .LBB25_489
; %bb.487:
	s_cmp_eq_u32 s10, 15
	s_cbranch_scc0 .LBB25_492
; %bb.488:
	global_load_ushort v3, v[1:2], off
	s_mov_b64 s[0:1], -1
	s_mov_b64 s[8:9], 0
	s_waitcnt vmcnt(0)
	v_lshlrev_b32_e32 v3, 16, v3
	v_cvt_f16_f32_e32 v3, v3
	s_branch .LBB25_493
.LBB25_489:
	s_mov_b64 s[2:3], -1
                                        ; implicit-def: $vgpr3
	s_branch .LBB25_494
.LBB25_490:
	s_or_saveexec_b64 s[2:3], s[2:3]
	v_mov_b32_e32 v3, 0x7e00
	s_xor_b64 exec, exec, s[2:3]
	s_cbranch_execz .LBB25_471
.LBB25_491:
	v_cmp_ne_u16_e32 vcc, 0, v4
	s_andn2_b64 s[0:1], s[0:1], exec
	s_and_b64 s[6:7], vcc, exec
	s_or_b64 s[0:1], s[0:1], s[6:7]
	v_mov_b32_e32 v3, v4
	s_or_b64 exec, exec, s[2:3]
	s_and_saveexec_b64 s[2:3], s[0:1]
	s_cbranch_execnz .LBB25_472
	s_branch .LBB25_473
.LBB25_492:
	s_mov_b64 s[8:9], -1
                                        ; implicit-def: $vgpr3
.LBB25_493:
	s_mov_b64 s[2:3], 0
.LBB25_494:
	s_and_b64 vcc, exec, s[2:3]
	s_cbranch_vccz .LBB25_498
; %bb.495:
	s_cmp_eq_u32 s10, 11
	s_cbranch_scc0 .LBB25_497
; %bb.496:
	global_load_ubyte v3, v[1:2], off
	v_mov_b32_e32 v4, 0x3c00
	s_mov_b64 s[0:1], -1
	s_mov_b64 s[8:9], 0
	s_waitcnt vmcnt(0)
	v_cmp_ne_u16_e32 vcc, 0, v3
	v_cndmask_b32_e32 v3, 0, v4, vcc
	s_branch .LBB25_498
.LBB25_497:
	s_mov_b64 s[8:9], -1
                                        ; implicit-def: $vgpr3
.LBB25_498:
	s_branch .LBB25_297
.LBB25_499:
	s_cmp_lt_i32 s10, 5
	s_cbranch_scc1 .LBB25_504
; %bb.500:
	s_cmp_lt_i32 s10, 8
	s_cbranch_scc1 .LBB25_505
; %bb.501:
	;; [unrolled: 3-line block ×3, first 2 shown]
	s_cmp_gt_i32 s10, 9
	s_cbranch_scc0 .LBB25_507
; %bb.503:
	global_load_dwordx2 v[3:4], v[1:2], off
	s_movk_i32 s0, 0x1ff
	s_movk_i32 s1, 0xffe
	v_mov_b32_e32 v5, 0x7c00
	v_mov_b32_e32 v6, 0x7e00
	s_movk_i32 s2, 0x40f
	s_mov_b32 s3, 0x8000
	s_waitcnt vmcnt(0)
	v_and_or_b32 v3, v4, s0, v3
	v_cmp_ne_u32_e32 vcc, 0, v3
	v_lshrrev_b32_e32 v7, 8, v4
	v_bfe_u32 v9, v4, 20, 11
	v_cndmask_b32_e64 v3, 0, 1, vcc
	v_sub_u32_e32 v10, 0x3f1, v9
	v_and_or_b32 v3, v7, s1, v3
	v_add_u32_e32 v9, 0xfffffc10, v9
	v_med3_i32 v7, v10, 0, 13
	v_or_b32_e32 v10, 0x1000, v3
	v_cmp_ne_u32_e32 vcc, 0, v3
	v_lshl_or_b32 v11, v9, 12, v3
	v_cndmask_b32_e32 v3, v5, v6, vcc
	v_lshrrev_b32_e32 v6, v7, v10
	v_lshlrev_b32_e32 v7, v7, v6
	v_cmp_ne_u32_e32 vcc, v7, v10
	v_cndmask_b32_e64 v7, 0, 1, vcc
	v_or_b32_e32 v6, v6, v7
	v_cmp_gt_i32_e32 vcc, 1, v9
	v_cndmask_b32_e32 v6, v11, v6, vcc
	v_and_b32_e32 v7, 7, v6
	v_cmp_lt_i32_e32 vcc, 5, v7
	v_cndmask_b32_e64 v10, 0, 1, vcc
	v_cmp_eq_u32_e32 vcc, 3, v7
	v_cndmask_b32_e64 v7, 0, 1, vcc
	v_lshrrev_b32_e32 v6, 2, v6
	v_or_b32_e32 v7, v7, v10
	v_add_u32_e32 v6, v6, v7
	v_cmp_gt_i32_e32 vcc, 31, v9
	v_cndmask_b32_e32 v5, v5, v6, vcc
	v_cmp_eq_u32_e32 vcc, s2, v9
	v_lshrrev_b32_e32 v4, 16, v4
	v_cndmask_b32_e32 v3, v5, v3, vcc
	v_and_or_b32 v3, v4, s3, v3
	s_mov_b64 s[0:1], 0
	s_branch .LBB25_508
.LBB25_504:
	s_mov_b64 s[0:1], -1
                                        ; implicit-def: $vgpr3
	s_branch .LBB25_526
.LBB25_505:
	s_mov_b64 s[0:1], -1
                                        ; implicit-def: $vgpr3
	s_branch .LBB25_514
.LBB25_506:
	s_mov_b64 s[0:1], -1
                                        ; implicit-def: $vgpr3
	s_branch .LBB25_511
.LBB25_507:
	s_mov_b64 s[0:1], -1
                                        ; implicit-def: $vgpr3
.LBB25_508:
	s_andn2_b64 vcc, exec, s[0:1]
	s_cbranch_vccnz .LBB25_510
; %bb.509:
	global_load_dword v3, v[1:2], off
	s_waitcnt vmcnt(0)
	v_cvt_f16_f32_e32 v3, v3
.LBB25_510:
	s_mov_b64 s[0:1], 0
.LBB25_511:
	s_andn2_b64 vcc, exec, s[0:1]
	s_cbranch_vccnz .LBB25_513
; %bb.512:
	global_load_dword v3, v[1:2], off
.LBB25_513:
	s_mov_b64 s[0:1], 0
.LBB25_514:
	s_andn2_b64 vcc, exec, s[0:1]
	s_cbranch_vccnz .LBB25_525
; %bb.515:
	s_cmp_lt_i32 s10, 6
	s_cbranch_scc1 .LBB25_518
; %bb.516:
	s_cmp_gt_i32 s10, 6
	s_cbranch_scc0 .LBB25_519
; %bb.517:
	global_load_dwordx2 v[3:4], v[1:2], off
	s_movk_i32 s0, 0x1ff
	s_movk_i32 s1, 0xffe
	v_mov_b32_e32 v5, 0x7c00
	v_mov_b32_e32 v6, 0x7e00
	s_movk_i32 s2, 0x40f
	s_mov_b32 s3, 0x8000
	s_waitcnt vmcnt(0)
	v_and_or_b32 v3, v4, s0, v3
	v_cmp_ne_u32_e32 vcc, 0, v3
	v_lshrrev_b32_e32 v7, 8, v4
	v_bfe_u32 v9, v4, 20, 11
	v_cndmask_b32_e64 v3, 0, 1, vcc
	v_sub_u32_e32 v10, 0x3f1, v9
	v_and_or_b32 v3, v7, s1, v3
	v_add_u32_e32 v9, 0xfffffc10, v9
	v_med3_i32 v7, v10, 0, 13
	v_or_b32_e32 v10, 0x1000, v3
	v_cmp_ne_u32_e32 vcc, 0, v3
	v_lshl_or_b32 v11, v9, 12, v3
	v_cndmask_b32_e32 v3, v5, v6, vcc
	v_lshrrev_b32_e32 v6, v7, v10
	v_lshlrev_b32_e32 v7, v7, v6
	v_cmp_ne_u32_e32 vcc, v7, v10
	v_cndmask_b32_e64 v7, 0, 1, vcc
	v_or_b32_e32 v6, v6, v7
	v_cmp_gt_i32_e32 vcc, 1, v9
	v_cndmask_b32_e32 v6, v11, v6, vcc
	v_and_b32_e32 v7, 7, v6
	v_cmp_lt_i32_e32 vcc, 5, v7
	v_cndmask_b32_e64 v10, 0, 1, vcc
	v_cmp_eq_u32_e32 vcc, 3, v7
	v_cndmask_b32_e64 v7, 0, 1, vcc
	v_lshrrev_b32_e32 v6, 2, v6
	v_or_b32_e32 v7, v7, v10
	v_add_u32_e32 v6, v6, v7
	v_cmp_gt_i32_e32 vcc, 31, v9
	v_cndmask_b32_e32 v5, v5, v6, vcc
	v_cmp_eq_u32_e32 vcc, s2, v9
	v_lshrrev_b32_e32 v4, 16, v4
	v_cndmask_b32_e32 v3, v5, v3, vcc
	v_and_or_b32 v3, v4, s3, v3
	s_mov_b64 s[0:1], 0
	s_branch .LBB25_520
.LBB25_518:
	s_mov_b64 s[0:1], -1
                                        ; implicit-def: $vgpr3
	s_branch .LBB25_523
.LBB25_519:
	s_mov_b64 s[0:1], -1
                                        ; implicit-def: $vgpr3
.LBB25_520:
	s_andn2_b64 vcc, exec, s[0:1]
	s_cbranch_vccnz .LBB25_522
; %bb.521:
	global_load_dword v3, v[1:2], off
	s_waitcnt vmcnt(0)
	v_cvt_f16_f32_e32 v3, v3
.LBB25_522:
	s_mov_b64 s[0:1], 0
.LBB25_523:
	s_andn2_b64 vcc, exec, s[0:1]
	s_cbranch_vccnz .LBB25_525
; %bb.524:
	global_load_ushort v3, v[1:2], off
.LBB25_525:
	s_mov_b64 s[0:1], 0
.LBB25_526:
	s_andn2_b64 vcc, exec, s[0:1]
	s_cbranch_vccnz .LBB25_546
; %bb.527:
	s_cmp_lt_i32 s10, 2
	s_cbranch_scc1 .LBB25_531
; %bb.528:
	s_cmp_lt_i32 s10, 3
	s_cbranch_scc1 .LBB25_532
; %bb.529:
	s_cmp_gt_i32 s10, 3
	s_cbranch_scc0 .LBB25_533
; %bb.530:
	global_load_dwordx2 v[3:4], v[1:2], off
	s_mov_b64 s[0:1], 0
	s_waitcnt vmcnt(0)
	v_xor_b32_e32 v6, v3, v4
	v_ffbh_i32_e32 v5, v4
	v_ashrrev_i32_e32 v6, 31, v6
	v_add_u32_e32 v5, -1, v5
	v_add_u32_e32 v6, 32, v6
	v_min_u32_e32 v5, v5, v6
	v_lshlrev_b64 v[3:4], v5, v[3:4]
	v_min_u32_e32 v3, 1, v3
	v_or_b32_e32 v3, v4, v3
	v_cvt_f32_i32_e32 v3, v3
	v_sub_u32_e32 v4, 32, v5
	v_ldexp_f32 v3, v3, v4
	v_cvt_f16_f32_e32 v3, v3
	s_branch .LBB25_534
.LBB25_531:
	s_mov_b64 s[0:1], -1
                                        ; implicit-def: $vgpr3
	s_branch .LBB25_540
.LBB25_532:
	s_mov_b64 s[0:1], -1
                                        ; implicit-def: $vgpr3
	s_branch .LBB25_537
.LBB25_533:
	s_mov_b64 s[0:1], -1
                                        ; implicit-def: $vgpr3
.LBB25_534:
	s_andn2_b64 vcc, exec, s[0:1]
	s_cbranch_vccnz .LBB25_536
; %bb.535:
	global_load_dword v3, v[1:2], off
	s_waitcnt vmcnt(0)
	v_cvt_f32_i32_e32 v3, v3
	v_cvt_f16_f32_e32 v3, v3
.LBB25_536:
	s_mov_b64 s[0:1], 0
.LBB25_537:
	s_andn2_b64 vcc, exec, s[0:1]
	s_cbranch_vccnz .LBB25_539
; %bb.538:
	global_load_ushort v3, v[1:2], off
	s_waitcnt vmcnt(0)
	v_cvt_f16_i16_e32 v3, v3
.LBB25_539:
	s_mov_b64 s[0:1], 0
.LBB25_540:
	s_andn2_b64 vcc, exec, s[0:1]
	s_cbranch_vccnz .LBB25_546
; %bb.541:
	s_cmp_gt_i32 s10, 0
	s_cbranch_scc0 .LBB25_543
; %bb.542:
	global_load_sbyte v3, v[1:2], off
	s_mov_b64 s[0:1], 0
	s_waitcnt vmcnt(0)
	v_cvt_f16_i16_e32 v3, v3
	s_branch .LBB25_544
.LBB25_543:
	s_mov_b64 s[0:1], -1
                                        ; implicit-def: $vgpr3
.LBB25_544:
	s_andn2_b64 vcc, exec, s[0:1]
	s_cbranch_vccnz .LBB25_546
; %bb.545:
	global_load_ubyte v1, v[1:2], off
	s_waitcnt vmcnt(0)
	v_cvt_f16_u16_e32 v3, v1
.LBB25_546:
	s_branch .LBB25_298
.LBB25_547:
	s_mov_b64 s[2:3], 0
	s_mov_b64 s[0:1], s[54:55]
.LBB25_548:
                                        ; implicit-def: $vgpr8
.LBB25_549:
	s_andn2_b64 s[6:7], s[54:55], exec
	s_and_b64 s[0:1], s[0:1], exec
	s_or_b64 s[62:63], s[6:7], s[0:1]
	s_andn2_b64 s[0:1], s[56:57], exec
	s_and_b64 s[6:7], s[8:9], exec
	s_or_b64 s[60:61], s[0:1], s[6:7]
	s_orn2_b64 s[0:1], s[2:3], exec
.LBB25_550:
	s_or_b64 exec, exec, s[64:65]
	s_mov_b64 s[2:3], 0
	s_mov_b64 s[8:9], 0
	;; [unrolled: 1-line block ×3, first 2 shown]
                                        ; implicit-def: $vgpr1_vgpr2
                                        ; implicit-def: $vgpr0
                                        ; implicit-def: $vgpr4
	s_and_saveexec_b64 s[64:65], s[0:1]
	s_cbranch_execz .LBB25_929
; %bb.551:
	v_cmp_gt_i32_e32 vcc, s70, v8
	s_mov_b64 s[2:3], -1
	s_mov_b64 s[6:7], s[60:61]
	s_mov_b64 s[68:69], s[62:63]
	s_and_saveexec_b64 s[66:67], vcc
	s_cbranch_execz .LBB25_829
; %bb.552:
	s_andn2_b64 vcc, exec, s[42:43]
	s_cbranch_vccnz .LBB25_557
; %bb.553:
	s_andn2_b64 vcc, exec, s[52:53]
	s_cbranch_vccnz .LBB25_558
; %bb.554:
	s_add_i32 s76, s75, 1
	s_cmp_eq_u32 s72, 2
	s_cbranch_scc1 .LBB25_559
; %bb.555:
	s_and_b32 s71, s76, 28
	v_mov_b32_e32 v2, 0
	s_mov_b32 s77, 0
	s_mov_b64 s[6:7], s[34:35]
	s_mov_b64 s[68:69], s[50:51]
	v_mov_b32_e32 v0, 0
	v_mov_b32_e32 v1, v8
.LBB25_556:                             ; =>This Inner Loop Header: Depth=1
	s_load_dwordx8 s[16:23], s[6:7], 0x4
	s_load_dwordx4 s[0:3], s[6:7], 0x24
	s_load_dwordx8 s[8:15], s[68:69], 0x0
	s_add_u32 s6, s6, 48
	s_addc_u32 s7, s7, 0
	s_waitcnt vmcnt(0) lgkmcnt(0)
	v_mul_hi_u32 v3, s17, v1
	s_add_i32 s77, s77, 4
	s_add_u32 s68, s68, 32
	s_addc_u32 s69, s69, 0
	v_add_u32_e32 v3, v1, v3
	v_lshrrev_b32_e32 v3, s18, v3
	v_mul_lo_u32 v4, v3, s16
	v_mul_hi_u32 v5, s20, v3
	s_cmp_eq_u32 s71, s77
	v_sub_u32_e32 v1, v1, v4
	v_add_u32_e32 v4, v3, v5
	v_mul_lo_u32 v5, v1, s8
	v_mul_lo_u32 v6, v1, s9
	v_lshrrev_b32_e32 v1, s21, v4
	v_mul_lo_u32 v4, v1, s19
	v_mul_hi_u32 v7, s23, v1
	v_sub_u32_e32 v3, v3, v4
	v_add_u32_e32 v4, v1, v7
	v_lshrrev_b32_e32 v4, s0, v4
	v_mul_hi_u32 v9, s2, v4
	v_mul_lo_u32 v10, v4, s22
	v_mul_lo_u32 v7, v3, s10
	;; [unrolled: 1-line block ×3, first 2 shown]
	v_sub_u32_e32 v10, v1, v10
	v_add_u32_e32 v1, v4, v9
	v_lshrrev_b32_e32 v1, s3, v1
	v_mul_lo_u32 v9, v1, s1
	v_mul_lo_u32 v11, v10, s12
	;; [unrolled: 1-line block ×3, first 2 shown]
	v_add3_u32 v0, v5, v0, v7
	v_sub_u32_e32 v4, v4, v9
	v_mul_lo_u32 v9, v4, s14
	v_mul_lo_u32 v4, v4, s15
	v_add3_u32 v2, v6, v2, v3
	v_add3_u32 v0, v11, v0, v9
	v_add3_u32 v2, v10, v2, v4
	s_cbranch_scc0 .LBB25_556
	s_branch .LBB25_560
.LBB25_557:
	s_mov_b64 s[0:1], -1
                                        ; implicit-def: $vgpr0
                                        ; implicit-def: $vgpr2
	s_branch .LBB25_564
.LBB25_558:
	v_mov_b32_e32 v0, 0
	v_mov_b32_e32 v2, 0
	s_branch .LBB25_563
.LBB25_559:
	s_mov_b32 s71, 0
	v_mov_b32_e32 v0, 0
	v_mov_b32_e32 v2, 0
	;; [unrolled: 1-line block ×3, first 2 shown]
.LBB25_560:
	s_and_b32 s6, s76, 3
	s_cmp_eq_u32 s6, 0
	s_cbranch_scc1 .LBB25_563
; %bb.561:
	s_lshl_b32 s0, s71, 3
	s_add_u32 s0, s34, s0
	s_addc_u32 s1, s35, 0
	s_add_u32 s0, s0, 0xc4
	s_addc_u32 s1, s1, 0
	s_mul_i32 s2, s71, 12
	s_add_u32 s2, s34, s2
	s_addc_u32 s3, s35, 0
.LBB25_562:                             ; =>This Inner Loop Header: Depth=1
	s_load_dwordx2 s[8:9], s[2:3], 0x4
	s_load_dword s7, s[2:3], 0xc
	s_load_dwordx2 s[10:11], s[0:1], 0x0
	s_add_u32 s2, s2, 12
	s_addc_u32 s3, s3, 0
	s_waitcnt vmcnt(0) lgkmcnt(0)
	v_mul_hi_u32 v3, s9, v1
	s_add_u32 s0, s0, 8
	s_addc_u32 s1, s1, 0
	s_add_i32 s6, s6, -1
	v_add_u32_e32 v3, v1, v3
	v_lshrrev_b32_e32 v4, s7, v3
	v_mul_lo_u32 v3, v4, s8
	s_cmp_lg_u32 s6, 0
	v_sub_u32_e32 v3, v1, v3
	v_mad_u64_u32 v[0:1], s[8:9], v3, s10, v[0:1]
	v_mad_u64_u32 v[2:3], s[8:9], v3, s11, v[2:3]
	v_mov_b32_e32 v1, v4
	s_cbranch_scc1 .LBB25_562
.LBB25_563:
	s_mov_b64 s[0:1], 0
.LBB25_564:
	s_andn2_b64 vcc, exec, s[0:1]
	s_cbranch_vccnz .LBB25_567
; %bb.565:
	s_waitcnt lgkmcnt(0)
	v_mul_hi_u32 v0, s37, v8
	s_andn2_b64 vcc, exec, s[48:49]
	v_add_u32_e32 v0, v8, v0
	v_lshrrev_b32_e32 v1, s38, v0
	v_mul_lo_u32 v0, v1, s36
	v_sub_u32_e32 v2, v8, v0
	v_mul_lo_u32 v0, v2, s28
	v_mul_lo_u32 v2, v2, s29
	s_cbranch_vccnz .LBB25_567
; %bb.566:
	s_waitcnt vmcnt(0)
	v_mul_hi_u32 v3, s46, v1
	v_add_u32_e32 v3, v1, v3
	v_lshrrev_b32_e32 v3, s47, v3
	v_mul_lo_u32 v3, v3, s39
	v_sub_u32_e32 v3, v1, v3
	v_mad_u64_u32 v[0:1], s[0:1], v3, s30, v[0:1]
	v_mad_u64_u32 v[2:3], s[0:1], v3, s31, v[2:3]
.LBB25_567:
	s_waitcnt vmcnt(0) lgkmcnt(0)
	v_mov_b32_e32 v3, s27
	s_and_b32 s10, 0xffff, s74
	v_add_co_u32_e32 v1, vcc, s26, v2
	s_cmp_lt_i32 s10, 11
	v_addc_co_u32_e32 v2, vcc, 0, v3, vcc
	s_cbranch_scc1 .LBB25_574
; %bb.568:
	s_cmp_gt_i32 s10, 25
	s_cbranch_scc0 .LBB25_575
; %bb.569:
	s_cmp_gt_i32 s10, 28
	s_cbranch_scc0 .LBB25_576
	;; [unrolled: 3-line block ×4, first 2 shown]
; %bb.572:
	s_cmp_eq_u32 s10, 46
	s_mov_b64 s[2:3], 0
	s_cbranch_scc0 .LBB25_583
; %bb.573:
	global_load_dword v3, v[1:2], off
	s_mov_b64 s[0:1], -1
	s_mov_b64 s[8:9], 0
	s_waitcnt vmcnt(0)
	v_lshlrev_b32_e32 v3, 16, v3
	v_cvt_f16_f32_e32 v3, v3
	s_branch .LBB25_584
.LBB25_574:
	s_mov_b64 s[2:3], -1
	s_mov_b64 s[0:1], 0
                                        ; implicit-def: $vgpr3
	s_mov_b64 s[8:9], s[60:61]
	s_branch .LBB25_649
.LBB25_575:
	s_mov_b64 s[2:3], -1
	s_mov_b64 s[0:1], 0
	s_mov_b64 s[8:9], s[60:61]
                                        ; implicit-def: $vgpr3
	s_branch .LBB25_613
.LBB25_576:
	s_mov_b64 s[2:3], -1
	s_mov_b64 s[0:1], 0
	s_mov_b64 s[8:9], s[60:61]
                                        ; implicit-def: $vgpr3
	s_branch .LBB25_594
.LBB25_577:
	s_mov_b64 s[2:3], -1
	s_mov_b64 s[0:1], 0
	s_mov_b64 s[8:9], s[60:61]
                                        ; implicit-def: $vgpr3
	s_branch .LBB25_589
.LBB25_578:
	s_andn2_saveexec_b64 s[10:11], s[10:11]
	s_cbranch_execz .LBB25_347
.LBB25_579:
	s_mov_b32 s14, 0x46000000
	v_add_f32_e64 v4, |v3|, s14
	v_and_b32_e32 v4, 0xff, v4
	v_cmp_ne_u32_e32 vcc, 0, v4
	s_andn2_b64 s[6:7], s[6:7], exec
	s_and_b64 s[14:15], vcc, exec
	s_or_b64 s[6:7], s[6:7], s[14:15]
	s_or_b64 exec, exec, s[10:11]
	v_mov_b32_e32 v5, 0
	s_and_saveexec_b64 s[10:11], s[6:7]
	s_cbranch_execnz .LBB25_348
	s_branch .LBB25_349
.LBB25_580:
	s_mov_b64 s[2:3], -1
	s_mov_b64 s[0:1], 0
	s_mov_b64 s[8:9], s[60:61]
                                        ; implicit-def: $vgpr3
	s_branch .LBB25_584
.LBB25_581:
	s_andn2_saveexec_b64 s[10:11], s[10:11]
	s_cbranch_execz .LBB25_360
.LBB25_582:
	s_mov_b32 s14, 0x42800000
	v_add_f32_e64 v4, |v3|, s14
	v_and_b32_e32 v4, 0xff, v4
	v_cmp_ne_u32_e32 vcc, 0, v4
	s_andn2_b64 s[6:7], s[6:7], exec
	s_and_b64 s[14:15], vcc, exec
	s_or_b64 s[6:7], s[6:7], s[14:15]
	s_or_b64 exec, exec, s[10:11]
	v_mov_b32_e32 v5, 0
	s_and_saveexec_b64 s[10:11], s[6:7]
	s_cbranch_execnz .LBB25_361
	s_branch .LBB25_362
.LBB25_583:
	s_mov_b64 s[8:9], -1
                                        ; implicit-def: $vgpr3
	s_mov_b64 s[0:1], 0
.LBB25_584:
	s_and_b64 vcc, exec, s[2:3]
	s_cbranch_vccz .LBB25_588
; %bb.585:
	s_cmp_eq_u32 s10, 44
	s_cbranch_scc0 .LBB25_587
; %bb.586:
	global_load_ubyte v3, v[1:2], off
	s_movk_i32 s2, 0xff
	v_mov_b32_e32 v5, 0x7e00
	s_mov_b64 s[0:1], -1
	s_mov_b64 s[8:9], 0
	s_waitcnt vmcnt(0)
	v_lshlrev_b32_e32 v4, 23, v3
	v_cvt_f16_f32_e32 v4, v4
	v_cmp_ne_u32_e32 vcc, s2, v3
	v_cndmask_b32_e32 v4, v5, v4, vcc
	v_cmp_ne_u32_e32 vcc, 0, v3
	v_cndmask_b32_e32 v3, 0, v4, vcc
	s_branch .LBB25_588
.LBB25_587:
	s_mov_b64 s[8:9], -1
                                        ; implicit-def: $vgpr3
.LBB25_588:
	s_mov_b64 s[2:3], 0
.LBB25_589:
	s_and_b64 vcc, exec, s[2:3]
	s_cbranch_vccz .LBB25_593
; %bb.590:
	s_cmp_eq_u32 s10, 29
	s_cbranch_scc0 .LBB25_592
; %bb.591:
	global_load_dwordx2 v[3:4], v[1:2], off
	s_mov_b64 s[0:1], -1
	s_mov_b64 s[8:9], 0
	s_mov_b64 s[2:3], 0
	s_waitcnt vmcnt(0)
	v_ffbh_u32_e32 v5, v4
	v_min_u32_e32 v5, 32, v5
	v_lshlrev_b64 v[3:4], v5, v[3:4]
	v_min_u32_e32 v3, 1, v3
	v_or_b32_e32 v3, v4, v3
	v_cvt_f32_u32_e32 v3, v3
	v_sub_u32_e32 v4, 32, v5
	v_ldexp_f32 v3, v3, v4
	v_cvt_f16_f32_e32 v3, v3
	s_branch .LBB25_594
.LBB25_592:
	s_mov_b64 s[8:9], -1
                                        ; implicit-def: $vgpr3
.LBB25_593:
	s_mov_b64 s[2:3], 0
.LBB25_594:
	s_and_b64 vcc, exec, s[2:3]
	s_cbranch_vccz .LBB25_612
; %bb.595:
	s_cmp_lt_i32 s10, 27
	s_cbranch_scc1 .LBB25_598
; %bb.596:
	s_cmp_gt_i32 s10, 27
	s_cbranch_scc0 .LBB25_599
; %bb.597:
	global_load_dword v3, v[1:2], off
	s_mov_b64 s[0:1], 0
	s_waitcnt vmcnt(0)
	v_cvt_f32_u32_e32 v3, v3
	v_cvt_f16_f32_e32 v3, v3
	s_branch .LBB25_600
.LBB25_598:
	s_mov_b64 s[0:1], -1
                                        ; implicit-def: $vgpr3
	s_branch .LBB25_603
.LBB25_599:
	s_mov_b64 s[0:1], -1
                                        ; implicit-def: $vgpr3
.LBB25_600:
	s_andn2_b64 vcc, exec, s[0:1]
	s_cbranch_vccnz .LBB25_602
; %bb.601:
	global_load_ushort v3, v[1:2], off
	s_waitcnt vmcnt(0)
	v_cvt_f16_u16_e32 v3, v3
.LBB25_602:
	s_mov_b64 s[0:1], 0
.LBB25_603:
	s_andn2_b64 vcc, exec, s[0:1]
	s_cbranch_vccnz .LBB25_611
; %bb.604:
	global_load_ubyte v4, v[1:2], off
	s_movk_i32 s0, 0x7f
	s_waitcnt vmcnt(0)
	v_cmp_lt_i16_e32 vcc, s0, v4
	s_mov_b64 s[0:1], 0
	s_and_saveexec_b64 s[2:3], vcc
	s_xor_b64 s[2:3], exec, s[2:3]
	s_cbranch_execz .LBB25_625
; %bb.605:
	s_movk_i32 s0, 0x80
	v_cmp_eq_u16_e32 vcc, s0, v4
	s_mov_b64 s[0:1], -1
	s_and_saveexec_b64 s[6:7], vcc
; %bb.606:
	s_xor_b64 s[0:1], exec, -1
; %bb.607:
	s_or_b64 exec, exec, s[6:7]
	s_and_b64 s[0:1], s[0:1], exec
	s_or_saveexec_b64 s[2:3], s[2:3]
	v_mov_b32_e32 v3, 0x7e00
	s_xor_b64 exec, exec, s[2:3]
	s_cbranch_execnz .LBB25_626
.LBB25_608:
	s_or_b64 exec, exec, s[2:3]
	s_and_saveexec_b64 s[2:3], s[0:1]
	s_cbranch_execz .LBB25_610
.LBB25_609:
	v_lshlrev_b32_e32 v3, 24, v4
	v_and_b32_e32 v4, 0xffff, v4
	v_and_b32_e32 v5, 7, v4
	v_ffbh_u32_e32 v7, v5
	v_min_u32_e32 v7, 32, v7
	v_subrev_u32_e32 v9, 28, v7
	v_bfe_u32 v6, v4, 3, 4
	v_lshlrev_b32_e32 v4, v9, v4
	v_sub_u32_e32 v7, 29, v7
	v_and_b32_e32 v4, 7, v4
	v_cmp_eq_u32_e32 vcc, 0, v6
	v_cndmask_b32_e32 v6, v6, v7, vcc
	v_cndmask_b32_e32 v4, v5, v4, vcc
	v_mov_b32_e32 v5, 0x3b800000
	v_lshlrev_b32_e32 v4, 20, v4
	v_and_b32_e32 v3, 0x80000000, v3
	v_lshl_add_u32 v5, v6, 23, v5
	v_or3_b32 v3, v3, v5, v4
	v_cvt_f16_f32_e32 v3, v3
.LBB25_610:
	s_or_b64 exec, exec, s[2:3]
.LBB25_611:
	s_mov_b64 s[0:1], -1
.LBB25_612:
	s_mov_b64 s[2:3], 0
.LBB25_613:
	s_and_b64 vcc, exec, s[2:3]
	s_cbranch_vccz .LBB25_648
; %bb.614:
	s_cmp_gt_i32 s10, 22
	s_cbranch_scc0 .LBB25_624
; %bb.615:
	s_cmp_lt_i32 s10, 24
	s_cbranch_scc1 .LBB25_627
; %bb.616:
	s_cmp_gt_i32 s10, 24
	s_cbranch_scc0 .LBB25_628
; %bb.617:
	global_load_ubyte v4, v[1:2], off
	s_movk_i32 s0, 0x7f
	s_waitcnt vmcnt(0)
	v_cmp_lt_i16_e32 vcc, s0, v4
	s_mov_b64 s[0:1], 0
	s_and_saveexec_b64 s[2:3], vcc
	s_xor_b64 s[2:3], exec, s[2:3]
	s_cbranch_execz .LBB25_640
; %bb.618:
	s_movk_i32 s0, 0x80
	v_cmp_eq_u16_e32 vcc, s0, v4
	s_mov_b64 s[0:1], -1
	s_and_saveexec_b64 s[6:7], vcc
; %bb.619:
	s_xor_b64 s[0:1], exec, -1
; %bb.620:
	s_or_b64 exec, exec, s[6:7]
	s_and_b64 s[0:1], s[0:1], exec
	s_or_saveexec_b64 s[2:3], s[2:3]
	v_mov_b32_e32 v3, 0x7e00
	s_xor_b64 exec, exec, s[2:3]
	s_cbranch_execnz .LBB25_641
.LBB25_621:
	s_or_b64 exec, exec, s[2:3]
	s_and_saveexec_b64 s[2:3], s[0:1]
	s_cbranch_execz .LBB25_623
.LBB25_622:
	v_lshlrev_b32_e32 v3, 24, v4
	v_and_b32_e32 v4, 0xffff, v4
	v_and_b32_e32 v5, 3, v4
	v_ffbh_u32_e32 v7, v5
	v_min_u32_e32 v7, 32, v7
	v_subrev_u32_e32 v9, 29, v7
	v_bfe_u32 v6, v4, 2, 5
	v_lshlrev_b32_e32 v4, v9, v4
	v_sub_u32_e32 v7, 30, v7
	v_and_b32_e32 v4, 3, v4
	v_cmp_eq_u32_e32 vcc, 0, v6
	v_cndmask_b32_e32 v6, v6, v7, vcc
	v_cndmask_b32_e32 v4, v5, v4, vcc
	v_mov_b32_e32 v5, 0x37800000
	v_lshlrev_b32_e32 v4, 21, v4
	v_and_b32_e32 v3, 0x80000000, v3
	v_lshl_add_u32 v5, v6, 23, v5
	v_or3_b32 v3, v3, v5, v4
	v_cvt_f16_f32_e32 v3, v3
.LBB25_623:
	s_or_b64 exec, exec, s[2:3]
	s_mov_b64 s[0:1], 0
	s_branch .LBB25_629
.LBB25_624:
	s_mov_b64 s[2:3], -1
                                        ; implicit-def: $vgpr3
	s_branch .LBB25_635
.LBB25_625:
	s_or_saveexec_b64 s[2:3], s[2:3]
	v_mov_b32_e32 v3, 0x7e00
	s_xor_b64 exec, exec, s[2:3]
	s_cbranch_execz .LBB25_608
.LBB25_626:
	v_cmp_ne_u16_e32 vcc, 0, v4
	s_andn2_b64 s[0:1], s[0:1], exec
	s_and_b64 s[6:7], vcc, exec
	s_or_b64 s[0:1], s[0:1], s[6:7]
	v_mov_b32_e32 v3, v4
	s_or_b64 exec, exec, s[2:3]
	s_and_saveexec_b64 s[2:3], s[0:1]
	s_cbranch_execnz .LBB25_609
	s_branch .LBB25_610
.LBB25_627:
	s_mov_b64 s[0:1], -1
                                        ; implicit-def: $vgpr3
	s_branch .LBB25_632
.LBB25_628:
	s_mov_b64 s[0:1], -1
                                        ; implicit-def: $vgpr3
.LBB25_629:
	s_and_b64 vcc, exec, s[0:1]
	s_cbranch_vccz .LBB25_631
; %bb.630:
	global_load_ubyte v3, v[1:2], off
	s_mov_b32 s0, 0x7f800000
	s_waitcnt vmcnt(0)
	v_lshlrev_b32_e32 v3, 24, v3
	v_and_b32_e32 v4, 0x7f000000, v3
	v_ffbh_u32_e32 v5, v4
	v_min_u32_e32 v5, 32, v5
	v_sub_u32_e64 v5, v5, 4 clamp
	v_lshlrev_b32_e32 v7, v5, v4
	v_lshlrev_b32_e32 v5, 23, v5
	v_lshrrev_b32_e32 v7, 4, v7
	v_add_u32_e32 v6, 0x1000000, v4
	v_sub_u32_e32 v5, v7, v5
	v_ashrrev_i32_e32 v6, 8, v6
	v_add_u32_e32 v5, 0x3c000000, v5
	v_and_or_b32 v5, v6, s0, v5
	v_cmp_ne_u32_e32 vcc, 0, v4
	v_cndmask_b32_e32 v4, 0, v5, vcc
	s_brev_b32 s0, 1
	v_and_or_b32 v3, v3, s0, v4
	v_cvt_f16_f32_e32 v3, v3
.LBB25_631:
	s_mov_b64 s[0:1], 0
.LBB25_632:
	s_andn2_b64 vcc, exec, s[0:1]
	s_cbranch_vccnz .LBB25_634
; %bb.633:
	global_load_ubyte v3, v[1:2], off
	s_movk_i32 s0, 0x7f00
	s_brev_b32 s1, 16
	s_waitcnt vmcnt(0)
	v_lshlrev_b16_e32 v4, 8, v3
	v_lshlrev_b32_e32 v3, 25, v3
	v_lshrrev_b32_e32 v5, 4, v3
	v_and_or_b32 v6, v4, s0, 0.5
	v_or_b32_e32 v5, 0x70000000, v5
	v_add_f32_e32 v6, -0.5, v6
	v_mul_f32_e32 v5, 0x7800000, v5
	v_cmp_gt_u32_e32 vcc, s1, v3
	v_bfe_i32 v4, v4, 0, 16
	v_cndmask_b32_e32 v3, v5, v6, vcc
	s_brev_b32 s0, 1
	v_and_or_b32 v3, v4, s0, v3
	v_cvt_f16_f32_e32 v3, v3
.LBB25_634:
	s_mov_b64 s[2:3], 0
	s_mov_b64 s[0:1], -1
.LBB25_635:
	s_andn2_b64 vcc, exec, s[2:3]
	s_cbranch_vccnz .LBB25_648
; %bb.636:
	s_cmp_gt_i32 s10, 14
	s_cbranch_scc0 .LBB25_639
; %bb.637:
	s_cmp_eq_u32 s10, 15
	s_cbranch_scc0 .LBB25_642
; %bb.638:
	global_load_ushort v3, v[1:2], off
	s_mov_b64 s[0:1], -1
	s_mov_b64 s[8:9], 0
	s_waitcnt vmcnt(0)
	v_lshlrev_b32_e32 v3, 16, v3
	v_cvt_f16_f32_e32 v3, v3
	s_branch .LBB25_643
.LBB25_639:
	s_mov_b64 s[2:3], -1
                                        ; implicit-def: $vgpr3
	s_branch .LBB25_644
.LBB25_640:
	s_or_saveexec_b64 s[2:3], s[2:3]
	v_mov_b32_e32 v3, 0x7e00
	s_xor_b64 exec, exec, s[2:3]
	s_cbranch_execz .LBB25_621
.LBB25_641:
	v_cmp_ne_u16_e32 vcc, 0, v4
	s_andn2_b64 s[0:1], s[0:1], exec
	s_and_b64 s[6:7], vcc, exec
	s_or_b64 s[0:1], s[0:1], s[6:7]
	v_mov_b32_e32 v3, v4
	s_or_b64 exec, exec, s[2:3]
	s_and_saveexec_b64 s[2:3], s[0:1]
	s_cbranch_execnz .LBB25_622
	s_branch .LBB25_623
.LBB25_642:
	s_mov_b64 s[8:9], -1
                                        ; implicit-def: $vgpr3
.LBB25_643:
	s_mov_b64 s[2:3], 0
.LBB25_644:
	s_and_b64 vcc, exec, s[2:3]
	s_cbranch_vccz .LBB25_648
; %bb.645:
	s_cmp_eq_u32 s10, 11
	s_cbranch_scc0 .LBB25_647
; %bb.646:
	global_load_ubyte v3, v[1:2], off
	v_mov_b32_e32 v4, 0x3c00
	s_mov_b64 s[0:1], -1
	s_mov_b64 s[8:9], 0
	s_waitcnt vmcnt(0)
	v_cmp_ne_u16_e32 vcc, 0, v3
	v_cndmask_b32_e32 v3, 0, v4, vcc
	s_branch .LBB25_648
.LBB25_647:
	s_mov_b64 s[8:9], -1
                                        ; implicit-def: $vgpr3
.LBB25_648:
	s_mov_b64 s[2:3], 0
.LBB25_649:
	s_and_b64 vcc, exec, s[2:3]
	s_cbranch_vccz .LBB25_698
; %bb.650:
	s_cmp_lt_i32 s10, 5
	s_cbranch_scc1 .LBB25_655
; %bb.651:
	s_cmp_lt_i32 s10, 8
	s_cbranch_scc1 .LBB25_656
	;; [unrolled: 3-line block ×3, first 2 shown]
; %bb.653:
	s_cmp_gt_i32 s10, 9
	s_cbranch_scc0 .LBB25_658
; %bb.654:
	global_load_dwordx2 v[3:4], v[1:2], off
	s_movk_i32 s0, 0x1ff
	s_movk_i32 s1, 0xffe
	v_mov_b32_e32 v5, 0x7c00
	v_mov_b32_e32 v6, 0x7e00
	s_movk_i32 s2, 0x40f
	s_mov_b32 s3, 0x8000
	s_waitcnt vmcnt(0)
	v_and_or_b32 v3, v4, s0, v3
	v_cmp_ne_u32_e32 vcc, 0, v3
	v_lshrrev_b32_e32 v7, 8, v4
	v_bfe_u32 v9, v4, 20, 11
	v_cndmask_b32_e64 v3, 0, 1, vcc
	v_sub_u32_e32 v10, 0x3f1, v9
	v_and_or_b32 v3, v7, s1, v3
	v_add_u32_e32 v9, 0xfffffc10, v9
	v_med3_i32 v7, v10, 0, 13
	v_or_b32_e32 v10, 0x1000, v3
	v_cmp_ne_u32_e32 vcc, 0, v3
	v_lshl_or_b32 v11, v9, 12, v3
	v_cndmask_b32_e32 v3, v5, v6, vcc
	v_lshrrev_b32_e32 v6, v7, v10
	v_lshlrev_b32_e32 v7, v7, v6
	v_cmp_ne_u32_e32 vcc, v7, v10
	v_cndmask_b32_e64 v7, 0, 1, vcc
	v_or_b32_e32 v6, v6, v7
	v_cmp_gt_i32_e32 vcc, 1, v9
	v_cndmask_b32_e32 v6, v11, v6, vcc
	v_and_b32_e32 v7, 7, v6
	v_cmp_lt_i32_e32 vcc, 5, v7
	v_cndmask_b32_e64 v10, 0, 1, vcc
	v_cmp_eq_u32_e32 vcc, 3, v7
	v_cndmask_b32_e64 v7, 0, 1, vcc
	v_lshrrev_b32_e32 v6, 2, v6
	v_or_b32_e32 v7, v7, v10
	v_add_u32_e32 v6, v6, v7
	v_cmp_gt_i32_e32 vcc, 31, v9
	v_cndmask_b32_e32 v5, v5, v6, vcc
	v_cmp_eq_u32_e32 vcc, s2, v9
	v_lshrrev_b32_e32 v4, 16, v4
	v_cndmask_b32_e32 v3, v5, v3, vcc
	v_and_or_b32 v3, v4, s3, v3
	s_mov_b64 s[0:1], 0
	s_branch .LBB25_659
.LBB25_655:
	s_mov_b64 s[0:1], -1
                                        ; implicit-def: $vgpr3
	s_branch .LBB25_677
.LBB25_656:
	s_mov_b64 s[0:1], -1
                                        ; implicit-def: $vgpr3
	s_branch .LBB25_665
.LBB25_657:
	s_mov_b64 s[0:1], -1
                                        ; implicit-def: $vgpr3
	s_branch .LBB25_662
.LBB25_658:
	s_mov_b64 s[0:1], -1
                                        ; implicit-def: $vgpr3
.LBB25_659:
	s_andn2_b64 vcc, exec, s[0:1]
	s_cbranch_vccnz .LBB25_661
; %bb.660:
	global_load_dword v3, v[1:2], off
	s_waitcnt vmcnt(0)
	v_cvt_f16_f32_e32 v3, v3
.LBB25_661:
	s_mov_b64 s[0:1], 0
.LBB25_662:
	s_andn2_b64 vcc, exec, s[0:1]
	s_cbranch_vccnz .LBB25_664
; %bb.663:
	global_load_dword v3, v[1:2], off
.LBB25_664:
	s_mov_b64 s[0:1], 0
.LBB25_665:
	s_andn2_b64 vcc, exec, s[0:1]
	s_cbranch_vccnz .LBB25_676
; %bb.666:
	s_cmp_lt_i32 s10, 6
	s_cbranch_scc1 .LBB25_669
; %bb.667:
	s_cmp_gt_i32 s10, 6
	s_cbranch_scc0 .LBB25_670
; %bb.668:
	global_load_dwordx2 v[3:4], v[1:2], off
	s_movk_i32 s0, 0x1ff
	s_movk_i32 s1, 0xffe
	v_mov_b32_e32 v5, 0x7c00
	v_mov_b32_e32 v6, 0x7e00
	s_movk_i32 s2, 0x40f
	s_mov_b32 s3, 0x8000
	s_waitcnt vmcnt(0)
	v_and_or_b32 v3, v4, s0, v3
	v_cmp_ne_u32_e32 vcc, 0, v3
	v_lshrrev_b32_e32 v7, 8, v4
	v_bfe_u32 v9, v4, 20, 11
	v_cndmask_b32_e64 v3, 0, 1, vcc
	v_sub_u32_e32 v10, 0x3f1, v9
	v_and_or_b32 v3, v7, s1, v3
	v_add_u32_e32 v9, 0xfffffc10, v9
	v_med3_i32 v7, v10, 0, 13
	v_or_b32_e32 v10, 0x1000, v3
	v_cmp_ne_u32_e32 vcc, 0, v3
	v_lshl_or_b32 v11, v9, 12, v3
	v_cndmask_b32_e32 v3, v5, v6, vcc
	v_lshrrev_b32_e32 v6, v7, v10
	v_lshlrev_b32_e32 v7, v7, v6
	v_cmp_ne_u32_e32 vcc, v7, v10
	v_cndmask_b32_e64 v7, 0, 1, vcc
	v_or_b32_e32 v6, v6, v7
	v_cmp_gt_i32_e32 vcc, 1, v9
	v_cndmask_b32_e32 v6, v11, v6, vcc
	v_and_b32_e32 v7, 7, v6
	v_cmp_lt_i32_e32 vcc, 5, v7
	v_cndmask_b32_e64 v10, 0, 1, vcc
	v_cmp_eq_u32_e32 vcc, 3, v7
	v_cndmask_b32_e64 v7, 0, 1, vcc
	v_lshrrev_b32_e32 v6, 2, v6
	v_or_b32_e32 v7, v7, v10
	v_add_u32_e32 v6, v6, v7
	v_cmp_gt_i32_e32 vcc, 31, v9
	v_cndmask_b32_e32 v5, v5, v6, vcc
	v_cmp_eq_u32_e32 vcc, s2, v9
	v_lshrrev_b32_e32 v4, 16, v4
	v_cndmask_b32_e32 v3, v5, v3, vcc
	v_and_or_b32 v3, v4, s3, v3
	s_mov_b64 s[0:1], 0
	s_branch .LBB25_671
.LBB25_669:
	s_mov_b64 s[0:1], -1
                                        ; implicit-def: $vgpr3
	s_branch .LBB25_674
.LBB25_670:
	s_mov_b64 s[0:1], -1
                                        ; implicit-def: $vgpr3
.LBB25_671:
	s_andn2_b64 vcc, exec, s[0:1]
	s_cbranch_vccnz .LBB25_673
; %bb.672:
	global_load_dword v3, v[1:2], off
	s_waitcnt vmcnt(0)
	v_cvt_f16_f32_e32 v3, v3
.LBB25_673:
	s_mov_b64 s[0:1], 0
.LBB25_674:
	s_andn2_b64 vcc, exec, s[0:1]
	s_cbranch_vccnz .LBB25_676
; %bb.675:
	global_load_ushort v3, v[1:2], off
.LBB25_676:
	s_mov_b64 s[0:1], 0
.LBB25_677:
	s_andn2_b64 vcc, exec, s[0:1]
	s_cbranch_vccnz .LBB25_697
; %bb.678:
	s_cmp_lt_i32 s10, 2
	s_cbranch_scc1 .LBB25_682
; %bb.679:
	s_cmp_lt_i32 s10, 3
	s_cbranch_scc1 .LBB25_683
; %bb.680:
	s_cmp_gt_i32 s10, 3
	s_cbranch_scc0 .LBB25_684
; %bb.681:
	global_load_dwordx2 v[3:4], v[1:2], off
	s_mov_b64 s[0:1], 0
	s_waitcnt vmcnt(0)
	v_xor_b32_e32 v6, v3, v4
	v_ffbh_i32_e32 v5, v4
	v_ashrrev_i32_e32 v6, 31, v6
	v_add_u32_e32 v5, -1, v5
	v_add_u32_e32 v6, 32, v6
	v_min_u32_e32 v5, v5, v6
	v_lshlrev_b64 v[3:4], v5, v[3:4]
	v_min_u32_e32 v3, 1, v3
	v_or_b32_e32 v3, v4, v3
	v_cvt_f32_i32_e32 v3, v3
	v_sub_u32_e32 v4, 32, v5
	v_ldexp_f32 v3, v3, v4
	v_cvt_f16_f32_e32 v3, v3
	s_branch .LBB25_685
.LBB25_682:
	s_mov_b64 s[0:1], -1
                                        ; implicit-def: $vgpr3
	s_branch .LBB25_691
.LBB25_683:
	s_mov_b64 s[0:1], -1
                                        ; implicit-def: $vgpr3
	s_branch .LBB25_688
.LBB25_684:
	s_mov_b64 s[0:1], -1
                                        ; implicit-def: $vgpr3
.LBB25_685:
	s_andn2_b64 vcc, exec, s[0:1]
	s_cbranch_vccnz .LBB25_687
; %bb.686:
	global_load_dword v3, v[1:2], off
	s_waitcnt vmcnt(0)
	v_cvt_f32_i32_e32 v3, v3
	v_cvt_f16_f32_e32 v3, v3
.LBB25_687:
	s_mov_b64 s[0:1], 0
.LBB25_688:
	s_andn2_b64 vcc, exec, s[0:1]
	s_cbranch_vccnz .LBB25_690
; %bb.689:
	global_load_ushort v3, v[1:2], off
	s_waitcnt vmcnt(0)
	v_cvt_f16_i16_e32 v3, v3
.LBB25_690:
	s_mov_b64 s[0:1], 0
.LBB25_691:
	s_andn2_b64 vcc, exec, s[0:1]
	s_cbranch_vccnz .LBB25_697
; %bb.692:
	s_cmp_gt_i32 s10, 0
	s_cbranch_scc0 .LBB25_694
; %bb.693:
	global_load_sbyte v3, v[1:2], off
	s_mov_b64 s[0:1], 0
	s_waitcnt vmcnt(0)
	v_cvt_f16_i16_e32 v3, v3
	s_branch .LBB25_695
.LBB25_694:
	s_mov_b64 s[0:1], -1
                                        ; implicit-def: $vgpr3
.LBB25_695:
	s_andn2_b64 vcc, exec, s[0:1]
	s_cbranch_vccnz .LBB25_697
; %bb.696:
	global_load_ubyte v1, v[1:2], off
	s_waitcnt vmcnt(0)
	v_cvt_f16_u16_e32 v3, v1
.LBB25_697:
	s_mov_b64 s[0:1], -1
.LBB25_698:
	s_andn2_b64 vcc, exec, s[0:1]
	s_cbranch_vccnz .LBB25_710
; %bb.699:
	s_waitcnt vmcnt(0)
	v_cvt_f32_f16_e32 v1, v3
	s_brev_b32 s0, 18
                                        ; implicit-def: $vgpr3
                                        ; implicit-def: $vgpr4
	v_and_b32_e32 v2, 0x7fffffff, v1
	v_cmp_nlt_f32_e64 s[0:1], |v1|, s0
	s_and_saveexec_b64 s[2:3], s[0:1]
	s_xor_b64 s[10:11], exec, s[2:3]
	s_cbranch_execz .LBB25_701
; %bb.700:
	v_and_b32_e32 v3, 0x7fffff, v2
	v_or_b32_e32 v14, 0x800000, v3
	s_mov_b32 s0, 0xfe5163ab
	v_mad_u64_u32 v[3:4], s[0:1], v14, s0, 0
	v_mov_b32_e32 v5, 0
	s_mov_b32 s0, 0x3c439041
	v_mad_u64_u32 v[6:7], s[0:1], v14, s0, v[4:5]
	s_mov_b32 s0, 0xdb629599
	v_not_b32_e32 v15, 31
	v_mov_b32_e32 v4, v7
	v_mad_u64_u32 v[9:10], s[0:1], v14, s0, v[4:5]
	s_mov_b32 s0, 0xf534ddc0
	v_not_b32_e32 v7, 63
	v_mov_b32_e32 v4, v10
	v_mad_u64_u32 v[10:11], s[0:1], v14, s0, v[4:5]
	v_lshrrev_b32_e32 v4, 23, v2
	v_add_u32_e32 v13, 0xffffff88, v4
	v_mov_b32_e32 v4, v11
	s_mov_b32 s0, 0xfc2757d1
	v_mad_u64_u32 v[11:12], s[0:1], v14, s0, v[4:5]
	v_cmp_lt_u32_e32 vcc, 63, v13
	v_cndmask_b32_e32 v4, 0, v7, vcc
	v_add_u32_e32 v7, v4, v13
	v_mov_b32_e32 v4, v12
	s_mov_b32 s0, 0x4e441529
	v_mad_u64_u32 v[12:13], s[0:1], v14, s0, v[4:5]
	v_cmp_lt_u32_e64 s[0:1], 31, v7
	v_cndmask_b32_e64 v4, 0, v15, s[0:1]
	v_add_u32_e32 v7, v4, v7
	v_mov_b32_e32 v4, v13
	s_mov_b32 s2, 0xa2f9836e
	v_mad_u64_u32 v[4:5], s[2:3], v14, s2, v[4:5]
	v_cmp_lt_u32_e64 s[2:3], 31, v7
	v_cndmask_b32_e64 v13, 0, v15, s[2:3]
	v_add_u32_e32 v7, v13, v7
	v_cndmask_b32_e32 v13, v12, v10, vcc
	v_cndmask_b32_e32 v4, v4, v11, vcc
	;; [unrolled: 1-line block ×3, first 2 shown]
	v_cndmask_b32_e64 v14, v4, v13, s[0:1]
	v_cndmask_b32_e64 v4, v5, v4, s[0:1]
	v_cndmask_b32_e32 v5, v11, v9, vcc
	v_cndmask_b32_e64 v11, v13, v5, s[0:1]
	v_cndmask_b32_e64 v4, v4, v14, s[2:3]
	;; [unrolled: 1-line block ×3, first 2 shown]
	v_sub_u32_e32 v13, 32, v7
	v_alignbit_b32 v14, v4, v12, v13
	v_cmp_eq_u32_e64 s[6:7], 0, v7
	v_cndmask_b32_e64 v7, v14, v4, s[6:7]
	v_cndmask_b32_e32 v4, v10, v6, vcc
	v_cndmask_b32_e64 v5, v5, v4, s[0:1]
	v_cndmask_b32_e64 v6, v11, v5, s[2:3]
	v_alignbit_b32 v10, v12, v6, v13
	v_cndmask_b32_e32 v3, v9, v3, vcc
	v_cndmask_b32_e64 v10, v10, v12, s[6:7]
	v_bfe_u32 v14, v7, 29, 1
	v_cndmask_b32_e64 v3, v4, v3, s[0:1]
	v_alignbit_b32 v11, v7, v10, 30
	v_sub_u32_e32 v15, 0, v14
	v_cndmask_b32_e64 v3, v5, v3, s[2:3]
	v_xor_b32_e32 v11, v11, v15
	v_alignbit_b32 v4, v6, v3, v13
	v_cndmask_b32_e64 v4, v4, v6, s[6:7]
	v_ffbh_u32_e32 v6, v11
	v_alignbit_b32 v5, v10, v4, 30
	v_min_u32_e32 v6, 32, v6
	v_alignbit_b32 v3, v4, v3, 30
	v_xor_b32_e32 v5, v5, v15
	v_sub_u32_e32 v9, 31, v6
	v_xor_b32_e32 v3, v3, v15
	v_alignbit_b32 v10, v11, v5, v9
	v_alignbit_b32 v3, v5, v3, v9
	;; [unrolled: 1-line block ×3, first 2 shown]
	v_ffbh_u32_e32 v5, v4
	v_min_u32_e32 v5, 32, v5
	v_lshrrev_b32_e32 v12, 29, v7
	v_not_b32_e32 v9, v5
	v_alignbit_b32 v3, v4, v3, v9
	v_lshlrev_b32_e32 v4, 31, v12
	v_or_b32_e32 v9, 0x33000000, v4
	v_add_lshl_u32 v5, v5, v6, 23
	v_lshrrev_b32_e32 v3, 9, v3
	v_sub_u32_e32 v5, v9, v5
	v_or_b32_e32 v4, 0.5, v4
	v_lshlrev_b32_e32 v6, 23, v6
	v_or_b32_e32 v3, v5, v3
	v_lshrrev_b32_e32 v5, 9, v10
	v_sub_u32_e32 v4, v4, v6
	v_or_b32_e32 v4, v5, v4
	s_mov_b32 s0, 0x3fc90fda
	v_mul_f32_e32 v5, 0x3fc90fda, v4
	v_fma_f32 v6, v4, s0, -v5
	v_fmac_f32_e32 v6, 0x33a22168, v4
	v_fmac_f32_e32 v6, 0x3fc90fda, v3
	v_lshrrev_b32_e32 v3, 30, v7
	v_add_f32_e32 v4, v5, v6
	v_add_u32_e32 v3, v14, v3
.LBB25_701:
	s_andn2_saveexec_b64 s[0:1], s[10:11]
	s_cbranch_execz .LBB25_703
; %bb.702:
	s_mov_b32 s2, 0x3f22f983
	v_mul_f32_e64 v3, |v1|, s2
	v_rndne_f32_e32 v5, v3
	s_mov_b32 s2, 0xbfc90fda
	v_cvt_i32_f32_e32 v3, v5
	v_fma_f32 v4, v5, s2, |v1|
	v_fmac_f32_e32 v4, 0xb3a22168, v5
	v_fmac_f32_e32 v4, 0xa7c234c4, v5
.LBB25_703:
	s_or_b64 exec, exec, s[0:1]
	v_mul_f32_e32 v5, v4, v4
	v_mov_b32_e32 v6, 0x3c0881c4
	v_fmac_f32_e32 v6, 0xb94c1982, v5
	v_mov_b32_e32 v7, 0xbe2aaa9d
	v_fmac_f32_e32 v7, v5, v6
	v_mul_f32_e32 v6, v5, v7
	v_fmac_f32_e32 v4, v4, v6
	v_mov_b32_e32 v6, 0xbab64f3b
	v_fmac_f32_e32 v6, 0x37d75334, v5
	v_mov_b32_e32 v7, 0x3d2aabf7
	;; [unrolled: 2-line block ×3, first 2 shown]
	v_fmac_f32_e32 v6, v5, v7
	v_fma_f32 v5, v5, v6, 1.0
	v_and_b32_e32 v6, 1, v3
	v_lshlrev_b32_e32 v3, 30, v3
	v_cmp_eq_u32_e32 vcc, 0, v6
	v_and_b32_e32 v3, 0x80000000, v3
	v_xor_b32_e32 v2, v2, v1
	v_cndmask_b32_e32 v4, v5, v4, vcc
	v_xor_b32_e32 v2, v2, v3
	s_movk_i32 s0, 0x1f8
	v_xor_b32_e32 v2, v2, v4
	v_mov_b32_e32 v3, 0x7fc00000
	v_cmp_class_f32_e64 vcc, v1, s0
	v_cndmask_b32_e32 v1, v3, v2, vcc
	v_cvt_f16_f32_e32 v2, v1
	v_mov_b32_e32 v1, s25
	s_and_b32 s12, s73, 0xff
	v_add_co_u32_e32 v0, vcc, s24, v0
	s_cmp_lt_i32 s12, 11
	v_addc_co_u32_e32 v1, vcc, 0, v1, vcc
	s_cbranch_scc1 .LBB25_711
; %bb.704:
	s_and_b32 s13, 0xffff, s12
	s_cmp_gt_i32 s13, 25
	s_cbranch_scc0 .LBB25_712
; %bb.705:
	s_cmp_gt_i32 s13, 28
	s_cbranch_scc0 .LBB25_713
; %bb.706:
	;; [unrolled: 3-line block ×4, first 2 shown]
	s_mov_b64 s[6:7], 0
	s_mov_b64 s[0:1], -1
	s_cmp_eq_u32 s13, 46
	s_mov_b64 s[2:3], 0
	s_cbranch_scc0 .LBB25_716
; %bb.709:
	v_cvt_f32_f16_e32 v3, v2
	s_movk_i32 s0, 0x7fff
	v_cmp_o_f16_e32 vcc, v2, v2
	v_mov_b32_e32 v4, 0x7fc0
	v_bfe_u32 v5, v3, 16, 1
	v_add3_u32 v3, v3, v5, s0
	v_cndmask_b32_sdwa v3, v4, v3, vcc dst_sel:DWORD dst_unused:UNUSED_PAD src0_sel:DWORD src1_sel:WORD_1
	global_store_dword v[0:1], v3, off
	s_mov_b64 s[2:3], -1
	s_mov_b64 s[0:1], 0
	s_branch .LBB25_716
.LBB25_710:
	s_mov_b64 s[2:3], 0
	s_mov_b64 s[0:1], s[62:63]
	s_branch .LBB25_827
.LBB25_711:
	s_mov_b64 s[6:7], -1
	s_mov_b64 s[2:3], 0
	s_mov_b64 s[0:1], s[62:63]
	s_branch .LBB25_785
.LBB25_712:
	s_mov_b64 s[6:7], -1
	s_mov_b64 s[2:3], 0
	s_mov_b64 s[0:1], s[62:63]
	s_branch .LBB25_743
.LBB25_713:
	s_mov_b64 s[6:7], -1
	s_mov_b64 s[2:3], 0
	s_mov_b64 s[0:1], s[62:63]
	s_branch .LBB25_726
.LBB25_714:
	s_mov_b64 s[6:7], -1
	s_mov_b64 s[2:3], 0
	s_mov_b64 s[0:1], s[62:63]
	s_branch .LBB25_722
.LBB25_715:
	s_mov_b64 s[6:7], -1
	s_mov_b64 s[2:3], 0
	s_mov_b64 s[0:1], s[62:63]
.LBB25_716:
	s_and_b64 vcc, exec, s[6:7]
	s_cbranch_vccz .LBB25_721
; %bb.717:
	s_cmp_eq_u32 s13, 44
	s_mov_b64 s[0:1], -1
	s_cbranch_scc0 .LBB25_721
; %bb.718:
	v_cvt_f32_f16_e32 v3, v2
	s_movk_i32 s0, 0xff
	v_mov_b32_e32 v5, 0xff
	v_bfe_u32 v4, v3, 23, 8
	v_cmp_ne_u32_e32 vcc, s0, v4
	s_and_saveexec_b64 s[2:3], vcc
; %bb.719:
	s_mov_b32 s0, 0x3fffff
	v_lshrrev_b32_e32 v5, 23, v3
	v_and_b32_e32 v6, 0x400000, v3
	v_and_or_b32 v3, v3, s0, v4
	v_cmp_ne_u32_e32 vcc, 0, v6
	v_cmp_ne_u32_e64 s[0:1], 0, v3
	s_and_b64 s[0:1], vcc, s[0:1]
	v_cndmask_b32_e64 v3, 0, 1, s[0:1]
	v_add_u32_e32 v5, v5, v3
; %bb.720:
	s_or_b64 exec, exec, s[2:3]
	s_mov_b64 s[2:3], -1
	s_mov_b64 s[0:1], 0
	global_store_byte v[0:1], v5, off
.LBB25_721:
	s_mov_b64 s[6:7], 0
.LBB25_722:
	s_and_b64 vcc, exec, s[6:7]
	s_cbranch_vccz .LBB25_725
; %bb.723:
	s_cmp_eq_u32 s13, 29
	s_mov_b64 s[0:1], -1
	s_cbranch_scc0 .LBB25_725
; %bb.724:
	v_cvt_f32_f16_e32 v3, v2
	v_mov_b32_e32 v4, 0
	s_mov_b64 s[2:3], -1
	s_mov_b64 s[0:1], 0
	v_cvt_u32_f32_e32 v3, v3
	s_mov_b64 s[6:7], 0
	global_store_dwordx2 v[0:1], v[3:4], off
	s_branch .LBB25_726
.LBB25_725:
	s_mov_b64 s[6:7], 0
.LBB25_726:
	s_and_b64 vcc, exec, s[6:7]
	s_cbranch_vccz .LBB25_742
; %bb.727:
	s_cmp_lt_i32 s13, 27
	s_mov_b64 s[2:3], -1
	s_cbranch_scc1 .LBB25_733
; %bb.728:
	s_cmp_gt_i32 s13, 27
	s_cbranch_scc0 .LBB25_730
; %bb.729:
	v_cvt_f32_f16_e32 v3, v2
	s_mov_b64 s[2:3], 0
	v_cvt_u32_f32_e32 v3, v3
	global_store_dword v[0:1], v3, off
.LBB25_730:
	s_andn2_b64 vcc, exec, s[2:3]
	s_cbranch_vccnz .LBB25_732
; %bb.731:
	v_cvt_u16_f16_e32 v3, v2
	global_store_short v[0:1], v3, off
.LBB25_732:
	s_mov_b64 s[2:3], 0
.LBB25_733:
	s_andn2_b64 vcc, exec, s[2:3]
	s_cbranch_vccnz .LBB25_741
; %bb.734:
	v_cvt_f32_f16_e32 v3, v2
	s_mov_b32 s2, 0x43800000
	v_mov_b32_e32 v5, 0x80
	v_and_b32_e32 v4, 0x7fffffff, v3
	v_cmp_gt_u32_e32 vcc, s2, v4
	s_and_saveexec_b64 s[2:3], vcc
	s_cbranch_execz .LBB25_740
; %bb.735:
	s_mov_b32 s6, 0x3bffffff
	v_cmp_lt_u32_e32 vcc, s6, v4
	s_mov_b64 s[6:7], 0
                                        ; implicit-def: $vgpr4
	s_and_saveexec_b64 s[10:11], vcc
	s_xor_b64 s[10:11], exec, s[10:11]
	s_cbranch_execz .LBB25_857
; %bb.736:
	v_bfe_u32 v4, v3, 20, 1
	s_mov_b32 s14, 0x487ffff
	v_add3_u32 v4, v3, v4, s14
	s_mov_b64 s[6:7], exec
	v_lshrrev_b32_e32 v4, 20, v4
	s_andn2_saveexec_b64 s[10:11], s[10:11]
	s_cbranch_execnz .LBB25_858
.LBB25_737:
	s_or_b64 exec, exec, s[10:11]
	v_mov_b32_e32 v5, 0
	s_and_saveexec_b64 s[10:11], s[6:7]
.LBB25_738:
	v_lshrrev_b32_e32 v3, 24, v3
	s_movk_i32 s6, 0x80
	v_and_or_b32 v5, v3, s6, v4
.LBB25_739:
	s_or_b64 exec, exec, s[10:11]
.LBB25_740:
	s_or_b64 exec, exec, s[2:3]
	global_store_byte v[0:1], v5, off
.LBB25_741:
	s_mov_b64 s[2:3], -1
.LBB25_742:
	s_mov_b64 s[6:7], 0
.LBB25_743:
	s_and_b64 vcc, exec, s[6:7]
	s_cbranch_vccz .LBB25_784
; %bb.744:
	s_cmp_gt_i32 s13, 22
	s_mov_b64 s[6:7], -1
	s_cbranch_scc0 .LBB25_776
; %bb.745:
	s_cmp_lt_i32 s13, 24
	s_mov_b64 s[2:3], -1
	s_cbranch_scc1 .LBB25_765
; %bb.746:
	s_cmp_gt_i32 s13, 24
	s_cbranch_scc0 .LBB25_754
; %bb.747:
	v_cvt_f32_f16_e32 v3, v2
	s_mov_b32 s2, 0x47800000
	v_mov_b32_e32 v5, 0x80
	v_and_b32_e32 v4, 0x7fffffff, v3
	v_cmp_gt_u32_e32 vcc, s2, v4
	s_and_saveexec_b64 s[2:3], vcc
	s_cbranch_execz .LBB25_753
; %bb.748:
	s_mov_b32 s6, 0x37ffffff
	v_cmp_lt_u32_e32 vcc, s6, v4
	s_mov_b64 s[6:7], 0
                                        ; implicit-def: $vgpr4
	s_and_saveexec_b64 s[10:11], vcc
	s_xor_b64 s[10:11], exec, s[10:11]
	s_cbranch_execz .LBB25_860
; %bb.749:
	v_bfe_u32 v4, v3, 21, 1
	s_mov_b32 s14, 0x88fffff
	v_add3_u32 v4, v3, v4, s14
	s_mov_b64 s[6:7], exec
	v_lshrrev_b32_e32 v4, 21, v4
	s_andn2_saveexec_b64 s[10:11], s[10:11]
	s_cbranch_execnz .LBB25_861
.LBB25_750:
	s_or_b64 exec, exec, s[10:11]
	v_mov_b32_e32 v5, 0
	s_and_saveexec_b64 s[10:11], s[6:7]
.LBB25_751:
	v_lshrrev_b32_e32 v3, 24, v3
	s_movk_i32 s6, 0x80
	v_and_or_b32 v5, v3, s6, v4
.LBB25_752:
	s_or_b64 exec, exec, s[10:11]
.LBB25_753:
	s_or_b64 exec, exec, s[2:3]
	s_mov_b64 s[2:3], 0
	global_store_byte v[0:1], v5, off
.LBB25_754:
	s_and_b64 vcc, exec, s[2:3]
	s_cbranch_vccz .LBB25_764
; %bb.755:
	v_cvt_f32_f16_e32 v3, v2
	s_mov_b32 s2, 0x43f00000
                                        ; implicit-def: $vgpr4
	v_and_b32_e32 v5, 0x7fffffff, v3
	v_cmp_gt_u32_e32 vcc, s2, v5
	s_and_saveexec_b64 s[2:3], vcc
	s_xor_b64 s[2:3], exec, s[2:3]
	s_cbranch_execz .LBB25_761
; %bb.756:
	s_mov_b32 s6, 0x3c7fffff
	v_cmp_lt_u32_e32 vcc, s6, v5
                                        ; implicit-def: $vgpr4
	s_and_saveexec_b64 s[6:7], vcc
	s_xor_b64 s[6:7], exec, s[6:7]
; %bb.757:
	v_bfe_u32 v4, v3, 20, 1
	s_mov_b32 s10, 0x407ffff
	v_add3_u32 v4, v3, v4, s10
	v_lshrrev_b32_e32 v5, 20, v4
	v_and_b32_e32 v4, 0xff00000, v4
	s_mov_b32 s10, 0x7f00000
	v_mov_b32_e32 v6, 0x7e
	v_cmp_ne_u32_e32 vcc, s10, v4
	v_cndmask_b32_e32 v4, v6, v5, vcc
; %bb.758:
	s_andn2_saveexec_b64 s[6:7], s[6:7]
; %bb.759:
	s_mov_b32 s10, 0x46800000
	v_add_f32_e64 v4, |v3|, s10
; %bb.760:
	s_or_b64 exec, exec, s[6:7]
                                        ; implicit-def: $vgpr5
.LBB25_761:
	s_andn2_saveexec_b64 s[2:3], s[2:3]
; %bb.762:
	s_mov_b32 s6, 0x7f800000
	v_mov_b32_e32 v4, 0x7e
	v_mov_b32_e32 v6, 0x7f
	v_cmp_lt_u32_e32 vcc, s6, v5
	v_cndmask_b32_e32 v4, v4, v6, vcc
; %bb.763:
	s_or_b64 exec, exec, s[2:3]
	v_lshrrev_b32_e32 v3, 24, v3
	s_movk_i32 s2, 0x80
	v_and_or_b32 v3, v3, s2, v4
	global_store_byte v[0:1], v3, off
.LBB25_764:
	s_mov_b64 s[2:3], 0
.LBB25_765:
	s_andn2_b64 vcc, exec, s[2:3]
	s_cbranch_vccnz .LBB25_775
; %bb.766:
	v_cvt_f32_f16_e32 v3, v2
	s_mov_b32 s2, 0x47800000
                                        ; implicit-def: $vgpr4
	v_and_b32_e32 v5, 0x7fffffff, v3
	v_cmp_gt_u32_e32 vcc, s2, v5
	s_and_saveexec_b64 s[2:3], vcc
	s_xor_b64 s[2:3], exec, s[2:3]
	s_cbranch_execz .LBB25_772
; %bb.767:
	s_mov_b32 s6, 0x387fffff
	v_cmp_lt_u32_e32 vcc, s6, v5
                                        ; implicit-def: $vgpr4
	s_and_saveexec_b64 s[6:7], vcc
	s_xor_b64 s[6:7], exec, s[6:7]
; %bb.768:
	v_bfe_u32 v4, v3, 21, 1
	s_mov_b32 s10, 0x80fffff
	v_add3_u32 v4, v3, v4, s10
	v_lshrrev_b32_e32 v4, 21, v4
; %bb.769:
	s_andn2_saveexec_b64 s[6:7], s[6:7]
; %bb.770:
	s_mov_b32 s10, 0x43000000
	v_add_f32_e64 v4, |v3|, s10
; %bb.771:
	s_or_b64 exec, exec, s[6:7]
                                        ; implicit-def: $vgpr5
.LBB25_772:
	s_andn2_saveexec_b64 s[2:3], s[2:3]
; %bb.773:
	s_mov_b32 s6, 0x7f800000
	v_mov_b32_e32 v4, 0x7c
	v_mov_b32_e32 v6, 0x7f
	v_cmp_lt_u32_e32 vcc, s6, v5
	v_cndmask_b32_e32 v4, v4, v6, vcc
; %bb.774:
	s_or_b64 exec, exec, s[2:3]
	v_lshrrev_b32_e32 v3, 24, v3
	s_movk_i32 s2, 0x80
	v_and_or_b32 v3, v3, s2, v4
	global_store_byte v[0:1], v3, off
.LBB25_775:
	s_mov_b64 s[6:7], 0
	s_mov_b64 s[2:3], -1
.LBB25_776:
	s_andn2_b64 vcc, exec, s[6:7]
	s_cbranch_vccnz .LBB25_784
; %bb.777:
	s_cmp_gt_i32 s13, 14
	s_mov_b64 s[6:7], -1
	s_cbranch_scc0 .LBB25_781
; %bb.778:
	s_cmp_eq_u32 s13, 15
	s_mov_b64 s[0:1], -1
	s_cbranch_scc0 .LBB25_780
; %bb.779:
	v_cvt_f32_f16_e32 v3, v2
	s_movk_i32 s0, 0x7fff
	v_cmp_o_f16_e32 vcc, v2, v2
	v_mov_b32_e32 v4, 0x7fc0
	v_bfe_u32 v5, v3, 16, 1
	v_add3_u32 v3, v3, v5, s0
	v_cndmask_b32_sdwa v3, v4, v3, vcc dst_sel:DWORD dst_unused:UNUSED_PAD src0_sel:DWORD src1_sel:WORD_1
	global_store_short v[0:1], v3, off
	s_mov_b64 s[2:3], -1
	s_mov_b64 s[0:1], 0
.LBB25_780:
	s_mov_b64 s[6:7], 0
.LBB25_781:
	s_and_b64 vcc, exec, s[6:7]
	s_cbranch_vccz .LBB25_784
; %bb.782:
	s_cmp_eq_u32 s13, 11
	s_mov_b64 s[0:1], -1
	s_cbranch_scc0 .LBB25_784
; %bb.783:
	v_cmp_neq_f16_e32 vcc, 0, v2
	v_cndmask_b32_e64 v3, 0, 1, vcc
	s_mov_b64 s[2:3], -1
	s_mov_b64 s[0:1], 0
	global_store_byte v[0:1], v3, off
.LBB25_784:
	s_mov_b64 s[6:7], 0
.LBB25_785:
	s_and_b64 vcc, exec, s[6:7]
	s_cbranch_vccz .LBB25_824
; %bb.786:
	s_and_b32 s6, 0xffff, s12
	s_cmp_lt_i32 s6, 5
	s_mov_b64 s[2:3], -1
	s_cbranch_scc1 .LBB25_807
; %bb.787:
	s_cmp_lt_i32 s6, 8
	s_cbranch_scc1 .LBB25_797
; %bb.788:
	s_cmp_lt_i32 s6, 9
	s_cbranch_scc1 .LBB25_794
; %bb.789:
	s_cmp_gt_i32 s6, 9
	s_cbranch_scc0 .LBB25_791
; %bb.790:
	v_cvt_f32_f16_e32 v3, v2
	v_mov_b32_e32 v5, 0
	v_mov_b32_e32 v6, v5
	s_mov_b64 s[2:3], 0
	v_cvt_f64_f32_e32 v[3:4], v3
	global_store_dwordx4 v[0:1], v[3:6], off
.LBB25_791:
	s_andn2_b64 vcc, exec, s[2:3]
	s_cbranch_vccnz .LBB25_793
; %bb.792:
	v_cvt_f32_f16_e32 v3, v2
	v_mov_b32_e32 v4, 0
	global_store_dwordx2 v[0:1], v[3:4], off
.LBB25_793:
	s_mov_b64 s[2:3], 0
.LBB25_794:
	s_andn2_b64 vcc, exec, s[2:3]
	s_cbranch_vccnz .LBB25_796
; %bb.795:
	global_store_dword v[0:1], v2, off
.LBB25_796:
	s_mov_b64 s[2:3], 0
.LBB25_797:
	s_andn2_b64 vcc, exec, s[2:3]
	s_cbranch_vccnz .LBB25_806
; %bb.798:
	s_cmp_lt_i32 s6, 6
	s_mov_b64 s[2:3], -1
	s_cbranch_scc1 .LBB25_804
; %bb.799:
	s_cmp_gt_i32 s6, 6
	s_cbranch_scc0 .LBB25_801
; %bb.800:
	v_cvt_f32_f16_e32 v3, v2
	s_mov_b64 s[2:3], 0
	v_cvt_f64_f32_e32 v[3:4], v3
	global_store_dwordx2 v[0:1], v[3:4], off
.LBB25_801:
	s_andn2_b64 vcc, exec, s[2:3]
	s_cbranch_vccnz .LBB25_803
; %bb.802:
	v_cvt_f32_f16_e32 v3, v2
	global_store_dword v[0:1], v3, off
.LBB25_803:
	s_mov_b64 s[2:3], 0
.LBB25_804:
	s_andn2_b64 vcc, exec, s[2:3]
	s_cbranch_vccnz .LBB25_806
; %bb.805:
	global_store_short v[0:1], v2, off
.LBB25_806:
	s_mov_b64 s[2:3], 0
.LBB25_807:
	s_andn2_b64 vcc, exec, s[2:3]
	s_cbranch_vccnz .LBB25_823
; %bb.808:
	s_cmp_lt_i32 s6, 2
	s_mov_b64 s[2:3], -1
	s_cbranch_scc1 .LBB25_818
; %bb.809:
	s_cmp_lt_i32 s6, 3
	s_cbranch_scc1 .LBB25_815
; %bb.810:
	s_cmp_gt_i32 s6, 3
	s_cbranch_scc0 .LBB25_812
; %bb.811:
	v_cvt_f32_f16_e32 v3, v2
	s_mov_b64 s[2:3], 0
	v_cvt_i32_f32_e32 v3, v3
	v_ashrrev_i32_e32 v4, 31, v3
	global_store_dwordx2 v[0:1], v[3:4], off
.LBB25_812:
	s_andn2_b64 vcc, exec, s[2:3]
	s_cbranch_vccnz .LBB25_814
; %bb.813:
	v_cvt_f32_f16_e32 v3, v2
	v_cvt_i32_f32_e32 v3, v3
	global_store_dword v[0:1], v3, off
.LBB25_814:
	s_mov_b64 s[2:3], 0
.LBB25_815:
	s_andn2_b64 vcc, exec, s[2:3]
	s_cbranch_vccnz .LBB25_817
; %bb.816:
	v_cvt_i16_f16_e32 v3, v2
	global_store_short v[0:1], v3, off
.LBB25_817:
	s_mov_b64 s[2:3], 0
.LBB25_818:
	s_andn2_b64 vcc, exec, s[2:3]
	s_cbranch_vccnz .LBB25_823
; %bb.819:
	s_cmp_gt_i32 s6, 0
	s_mov_b64 s[2:3], -1
	s_cbranch_scc0 .LBB25_821
; %bb.820:
	v_cvt_i16_f16_e32 v3, v2
	s_mov_b64 s[2:3], 0
	global_store_byte v[0:1], v3, off
.LBB25_821:
	s_andn2_b64 vcc, exec, s[2:3]
	s_cbranch_vccnz .LBB25_823
; %bb.822:
	v_cvt_f32_f16_e32 v2, v2
	v_cvt_i32_f32_e32 v2, v2
	global_store_byte v[0:1], v2, off
.LBB25_823:
	s_mov_b64 s[2:3], -1
.LBB25_824:
	s_andn2_b64 vcc, exec, s[2:3]
	s_cbranch_vccnz .LBB25_826
; %bb.825:
	v_add_u32_e32 v8, 0x80, v8
	s_mov_b64 s[2:3], -1
	s_branch .LBB25_828
.LBB25_826:
	s_mov_b64 s[2:3], 0
.LBB25_827:
                                        ; implicit-def: $vgpr8
.LBB25_828:
	s_andn2_b64 s[6:7], s[62:63], exec
	s_and_b64 s[0:1], s[0:1], exec
	s_or_b64 s[68:69], s[6:7], s[0:1]
	s_andn2_b64 s[0:1], s[60:61], exec
	s_and_b64 s[6:7], s[8:9], exec
	s_or_b64 s[6:7], s[0:1], s[6:7]
	s_orn2_b64 s[2:3], s[2:3], exec
.LBB25_829:
	s_or_b64 exec, exec, s[66:67]
	s_mov_b64 s[0:1], 0
	s_mov_b64 s[8:9], 0
	;; [unrolled: 1-line block ×3, first 2 shown]
                                        ; implicit-def: $vgpr1_vgpr2
                                        ; implicit-def: $vgpr0
                                        ; implicit-def: $vgpr4
	s_and_saveexec_b64 s[66:67], s[2:3]
	s_cbranch_execz .LBB25_928
; %bb.830:
	v_cmp_gt_i32_e32 vcc, s70, v8
	s_mov_b64 s[2:3], 0
	s_mov_b64 s[12:13], s[6:7]
                                        ; implicit-def: $vgpr1_vgpr2
                                        ; implicit-def: $vgpr0
                                        ; implicit-def: $vgpr4
	s_and_saveexec_b64 s[70:71], vcc
	s_cbranch_execz .LBB25_927
; %bb.831:
	s_andn2_b64 vcc, exec, s[42:43]
	s_cbranch_vccnz .LBB25_836
; %bb.832:
	s_andn2_b64 vcc, exec, s[52:53]
	s_cbranch_vccnz .LBB25_837
; %bb.833:
	s_add_i32 s76, s75, 1
	s_cmp_eq_u32 s72, 2
	s_cbranch_scc1 .LBB25_838
; %bb.834:
	s_and_b32 s75, s76, 28
	v_mov_b32_e32 v2, 0
	s_mov_b32 s77, 0
	s_mov_b64 s[52:53], s[34:35]
	v_mov_b32_e32 v0, 0
	v_mov_b32_e32 v1, v8
.LBB25_835:                             ; =>This Inner Loop Header: Depth=1
	s_load_dwordx8 s[16:23], s[52:53], 0x4
	s_load_dwordx4 s[0:3], s[52:53], 0x24
	s_load_dwordx8 s[8:15], s[50:51], 0x0
	s_add_u32 s52, s52, 48
	s_addc_u32 s53, s53, 0
	s_waitcnt vmcnt(0) lgkmcnt(0)
	v_mul_hi_u32 v3, s17, v1
	s_add_i32 s77, s77, 4
	s_add_u32 s50, s50, 32
	s_addc_u32 s51, s51, 0
	v_add_u32_e32 v3, v1, v3
	v_lshrrev_b32_e32 v3, s18, v3
	v_mul_lo_u32 v4, v3, s16
	v_mul_hi_u32 v5, s20, v3
	s_cmp_eq_u32 s75, s77
	v_sub_u32_e32 v1, v1, v4
	v_add_u32_e32 v4, v3, v5
	v_mul_lo_u32 v5, v1, s8
	v_mul_lo_u32 v6, v1, s9
	v_lshrrev_b32_e32 v1, s21, v4
	v_mul_lo_u32 v4, v1, s19
	v_mul_hi_u32 v7, s23, v1
	v_sub_u32_e32 v3, v3, v4
	v_add_u32_e32 v4, v1, v7
	v_lshrrev_b32_e32 v4, s0, v4
	v_mul_hi_u32 v9, s2, v4
	v_mul_lo_u32 v10, v4, s22
	v_mul_lo_u32 v7, v3, s10
	;; [unrolled: 1-line block ×3, first 2 shown]
	v_sub_u32_e32 v10, v1, v10
	v_add_u32_e32 v1, v4, v9
	v_lshrrev_b32_e32 v1, s3, v1
	v_mul_lo_u32 v9, v1, s1
	v_mul_lo_u32 v11, v10, s12
	;; [unrolled: 1-line block ×3, first 2 shown]
	v_add3_u32 v0, v5, v0, v7
	v_sub_u32_e32 v4, v4, v9
	v_mul_lo_u32 v9, v4, s14
	v_mul_lo_u32 v4, v4, s15
	v_add3_u32 v2, v6, v2, v3
	v_add3_u32 v0, v11, v0, v9
	;; [unrolled: 1-line block ×3, first 2 shown]
	s_cbranch_scc0 .LBB25_835
	s_branch .LBB25_839
.LBB25_836:
	s_mov_b64 s[0:1], -1
                                        ; implicit-def: $vgpr0
                                        ; implicit-def: $vgpr2
	s_branch .LBB25_843
.LBB25_837:
	v_mov_b32_e32 v0, 0
	v_mov_b32_e32 v2, 0
	s_branch .LBB25_842
.LBB25_838:
	s_mov_b32 s75, 0
	v_mov_b32_e32 v0, 0
	v_mov_b32_e32 v2, 0
	;; [unrolled: 1-line block ×3, first 2 shown]
.LBB25_839:
	s_and_b32 s8, s76, 3
	s_cmp_eq_u32 s8, 0
	s_cbranch_scc1 .LBB25_842
; %bb.840:
	s_lshl_b32 s0, s75, 3
	s_add_u32 s0, s34, s0
	s_addc_u32 s1, s35, 0
	s_add_u32 s0, s0, 0xc4
	s_addc_u32 s1, s1, 0
	s_mul_i32 s2, s75, 12
	s_add_u32 s2, s34, s2
	s_addc_u32 s3, s35, 0
.LBB25_841:                             ; =>This Inner Loop Header: Depth=1
	s_load_dwordx2 s[10:11], s[2:3], 0x4
	s_load_dword s9, s[2:3], 0xc
	s_load_dwordx2 s[12:13], s[0:1], 0x0
	s_add_u32 s2, s2, 12
	s_addc_u32 s3, s3, 0
	s_waitcnt vmcnt(0) lgkmcnt(0)
	v_mul_hi_u32 v3, s11, v1
	s_add_u32 s0, s0, 8
	s_addc_u32 s1, s1, 0
	s_add_i32 s8, s8, -1
	v_add_u32_e32 v3, v1, v3
	v_lshrrev_b32_e32 v4, s9, v3
	v_mul_lo_u32 v3, v4, s10
	s_cmp_lg_u32 s8, 0
	v_sub_u32_e32 v3, v1, v3
	v_mad_u64_u32 v[0:1], s[10:11], v3, s12, v[0:1]
	v_mad_u64_u32 v[2:3], s[10:11], v3, s13, v[2:3]
	v_mov_b32_e32 v1, v4
	s_cbranch_scc1 .LBB25_841
.LBB25_842:
	s_mov_b64 s[0:1], 0
.LBB25_843:
	s_andn2_b64 vcc, exec, s[0:1]
	s_cbranch_vccnz .LBB25_846
; %bb.844:
	s_waitcnt lgkmcnt(0)
	v_mul_hi_u32 v0, s37, v8
	s_andn2_b64 vcc, exec, s[48:49]
	v_add_u32_e32 v0, v8, v0
	v_lshrrev_b32_e32 v1, s38, v0
	v_mul_lo_u32 v0, v1, s36
	v_sub_u32_e32 v2, v8, v0
	v_mul_lo_u32 v0, v2, s28
	v_mul_lo_u32 v2, v2, s29
	s_cbranch_vccnz .LBB25_846
; %bb.845:
	s_waitcnt vmcnt(0)
	v_mul_hi_u32 v3, s46, v1
	v_add_u32_e32 v3, v1, v3
	v_lshrrev_b32_e32 v3, s47, v3
	v_mul_lo_u32 v3, v3, s39
	v_sub_u32_e32 v3, v1, v3
	v_mad_u64_u32 v[0:1], s[0:1], v3, s30, v[0:1]
	v_mad_u64_u32 v[2:3], s[0:1], v3, s31, v[2:3]
.LBB25_846:
	s_waitcnt vmcnt(0) lgkmcnt(0)
	v_mov_b32_e32 v3, s27
	s_and_b32 s14, 0xffff, s74
	v_add_co_u32_e32 v1, vcc, s26, v2
	s_cmp_lt_i32 s14, 11
	v_addc_co_u32_e32 v2, vcc, 0, v3, vcc
	s_cbranch_scc1 .LBB25_853
; %bb.847:
	s_cmp_gt_i32 s14, 25
	s_mov_b64 s[2:3], 0
	s_cbranch_scc0 .LBB25_854
; %bb.848:
	s_cmp_gt_i32 s14, 28
	s_cbranch_scc0 .LBB25_855
; %bb.849:
	s_cmp_gt_i32 s14, 43
	;; [unrolled: 3-line block ×3, first 2 shown]
	s_cbranch_scc0 .LBB25_859
; %bb.851:
	s_cmp_eq_u32 s14, 46
	s_mov_b64 s[10:11], 0
	s_cbranch_scc0 .LBB25_862
; %bb.852:
	global_load_dword v3, v[1:2], off
	s_mov_b64 s[0:1], 0
	s_mov_b64 s[8:9], -1
	s_waitcnt vmcnt(0)
	v_lshlrev_b32_e32 v3, 16, v3
	v_cvt_f16_f32_e32 v4, v3
	s_branch .LBB25_863
.LBB25_853:
	s_mov_b64 s[12:13], -1
	s_mov_b64 s[8:9], 0
	s_mov_b64 s[2:3], 0
	;; [unrolled: 1-line block ×3, first 2 shown]
                                        ; implicit-def: $vgpr4
	s_branch .LBB25_926
.LBB25_854:
	s_mov_b64 s[10:11], -1
	s_mov_b64 s[8:9], 0
	s_mov_b64 s[0:1], s[6:7]
                                        ; implicit-def: $vgpr4
	s_branch .LBB25_892
.LBB25_855:
	s_mov_b64 s[10:11], -1
	s_mov_b64 s[8:9], 0
	s_mov_b64 s[0:1], s[6:7]
                                        ; implicit-def: $vgpr4
	s_branch .LBB25_873
.LBB25_856:
	s_mov_b64 s[10:11], -1
	s_mov_b64 s[8:9], 0
	s_mov_b64 s[0:1], s[6:7]
                                        ; implicit-def: $vgpr4
	s_branch .LBB25_868
.LBB25_857:
	s_andn2_saveexec_b64 s[10:11], s[10:11]
	s_cbranch_execz .LBB25_737
.LBB25_858:
	s_mov_b32 s14, 0x46000000
	v_add_f32_e64 v4, |v3|, s14
	v_and_b32_e32 v4, 0xff, v4
	v_cmp_ne_u32_e32 vcc, 0, v4
	s_andn2_b64 s[6:7], s[6:7], exec
	s_and_b64 s[14:15], vcc, exec
	s_or_b64 s[6:7], s[6:7], s[14:15]
	s_or_b64 exec, exec, s[10:11]
	v_mov_b32_e32 v5, 0
	s_and_saveexec_b64 s[10:11], s[6:7]
	s_cbranch_execnz .LBB25_738
	s_branch .LBB25_739
.LBB25_859:
	s_mov_b64 s[10:11], -1
	s_mov_b64 s[8:9], 0
	s_mov_b64 s[0:1], s[6:7]
                                        ; implicit-def: $vgpr4
	s_branch .LBB25_863
.LBB25_860:
	s_andn2_saveexec_b64 s[10:11], s[10:11]
	s_cbranch_execz .LBB25_750
.LBB25_861:
	s_mov_b32 s14, 0x42800000
	v_add_f32_e64 v4, |v3|, s14
	v_and_b32_e32 v4, 0xff, v4
	v_cmp_ne_u32_e32 vcc, 0, v4
	s_andn2_b64 s[6:7], s[6:7], exec
	s_and_b64 s[14:15], vcc, exec
	s_or_b64 s[6:7], s[6:7], s[14:15]
	s_or_b64 exec, exec, s[10:11]
	v_mov_b32_e32 v5, 0
	s_and_saveexec_b64 s[10:11], s[6:7]
	s_cbranch_execnz .LBB25_751
	s_branch .LBB25_752
.LBB25_862:
	s_mov_b64 s[0:1], -1
                                        ; implicit-def: $vgpr4
	s_mov_b64 s[8:9], 0
.LBB25_863:
	s_and_b64 vcc, exec, s[10:11]
	s_cbranch_vccz .LBB25_867
; %bb.864:
	s_cmp_eq_u32 s14, 44
	s_cbranch_scc0 .LBB25_866
; %bb.865:
	global_load_ubyte v3, v[1:2], off
	s_movk_i32 s8, 0xff
	v_mov_b32_e32 v5, 0x7e00
	s_mov_b64 s[0:1], 0
	s_waitcnt vmcnt(0)
	v_lshlrev_b32_e32 v4, 23, v3
	v_cvt_f16_f32_e32 v4, v4
	v_cmp_ne_u32_e32 vcc, s8, v3
	s_mov_b64 s[8:9], -1
	v_cndmask_b32_e32 v4, v5, v4, vcc
	v_cmp_ne_u32_e32 vcc, 0, v3
	v_cndmask_b32_e32 v4, 0, v4, vcc
	s_branch .LBB25_867
.LBB25_866:
	s_mov_b64 s[0:1], -1
                                        ; implicit-def: $vgpr4
.LBB25_867:
	s_mov_b64 s[10:11], 0
.LBB25_868:
	s_and_b64 vcc, exec, s[10:11]
	s_cbranch_vccz .LBB25_872
; %bb.869:
	s_cmp_eq_u32 s14, 29
	s_cbranch_scc0 .LBB25_871
; %bb.870:
	global_load_dwordx2 v[3:4], v[1:2], off
	s_mov_b64 s[0:1], 0
	s_mov_b64 s[8:9], -1
	s_mov_b64 s[10:11], 0
	s_waitcnt vmcnt(0)
	v_ffbh_u32_e32 v5, v4
	v_min_u32_e32 v5, 32, v5
	v_lshlrev_b64 v[3:4], v5, v[3:4]
	v_min_u32_e32 v3, 1, v3
	v_or_b32_e32 v3, v4, v3
	v_cvt_f32_u32_e32 v3, v3
	v_sub_u32_e32 v4, 32, v5
	v_ldexp_f32 v3, v3, v4
	v_cvt_f16_f32_e32 v4, v3
	s_branch .LBB25_873
.LBB25_871:
	s_mov_b64 s[0:1], -1
                                        ; implicit-def: $vgpr4
.LBB25_872:
	s_mov_b64 s[10:11], 0
.LBB25_873:
	s_and_b64 vcc, exec, s[10:11]
	s_cbranch_vccz .LBB25_891
; %bb.874:
	s_cmp_lt_i32 s14, 27
	s_cbranch_scc1 .LBB25_877
; %bb.875:
	s_cmp_gt_i32 s14, 27
	s_cbranch_scc0 .LBB25_878
; %bb.876:
	global_load_dword v3, v[1:2], off
	s_mov_b64 s[8:9], 0
	s_waitcnt vmcnt(0)
	v_cvt_f32_u32_e32 v3, v3
	v_cvt_f16_f32_e32 v4, v3
	s_branch .LBB25_879
.LBB25_877:
	s_mov_b64 s[8:9], -1
                                        ; implicit-def: $vgpr4
	s_branch .LBB25_882
.LBB25_878:
	s_mov_b64 s[8:9], -1
                                        ; implicit-def: $vgpr4
.LBB25_879:
	s_andn2_b64 vcc, exec, s[8:9]
	s_cbranch_vccnz .LBB25_881
; %bb.880:
	global_load_ushort v3, v[1:2], off
	s_waitcnt vmcnt(0)
	v_cvt_f16_u16_e32 v4, v3
.LBB25_881:
	s_mov_b64 s[8:9], 0
.LBB25_882:
	s_andn2_b64 vcc, exec, s[8:9]
	s_cbranch_vccnz .LBB25_890
; %bb.883:
	global_load_ubyte v3, v[1:2], off
	s_movk_i32 s8, 0x7f
	s_waitcnt vmcnt(0)
	v_cmp_lt_i16_e32 vcc, s8, v3
	s_mov_b64 s[8:9], 0
	s_and_saveexec_b64 s[10:11], vcc
	s_xor_b64 s[10:11], exec, s[10:11]
	s_cbranch_execz .LBB25_904
; %bb.884:
	s_movk_i32 s8, 0x80
	v_cmp_eq_u16_e32 vcc, s8, v3
	s_mov_b64 s[8:9], -1
	s_and_saveexec_b64 s[12:13], vcc
; %bb.885:
	s_xor_b64 s[8:9], exec, -1
; %bb.886:
	s_or_b64 exec, exec, s[12:13]
	s_and_b64 s[8:9], s[8:9], exec
	s_or_saveexec_b64 s[10:11], s[10:11]
	v_mov_b32_e32 v4, 0x7e00
	s_xor_b64 exec, exec, s[10:11]
	s_cbranch_execnz .LBB25_905
.LBB25_887:
	s_or_b64 exec, exec, s[10:11]
	s_and_saveexec_b64 s[10:11], s[8:9]
	s_cbranch_execz .LBB25_889
.LBB25_888:
	v_lshlrev_b32_e32 v4, 24, v3
	v_and_b32_e32 v3, 0xffff, v3
	v_and_b32_e32 v5, 7, v3
	v_ffbh_u32_e32 v7, v5
	v_min_u32_e32 v7, 32, v7
	v_subrev_u32_e32 v8, 28, v7
	v_bfe_u32 v6, v3, 3, 4
	v_lshlrev_b32_e32 v3, v8, v3
	v_sub_u32_e32 v7, 29, v7
	v_and_b32_e32 v3, 7, v3
	v_cmp_eq_u32_e32 vcc, 0, v6
	v_cndmask_b32_e32 v6, v6, v7, vcc
	v_cndmask_b32_e32 v3, v5, v3, vcc
	v_mov_b32_e32 v5, 0x3b800000
	v_lshlrev_b32_e32 v3, 20, v3
	v_and_b32_e32 v4, 0x80000000, v4
	v_lshl_add_u32 v5, v6, 23, v5
	v_or3_b32 v3, v4, v5, v3
	v_cvt_f16_f32_e32 v4, v3
.LBB25_889:
	s_or_b64 exec, exec, s[10:11]
.LBB25_890:
	s_mov_b64 s[8:9], -1
.LBB25_891:
	s_mov_b64 s[10:11], 0
.LBB25_892:
	s_and_b64 vcc, exec, s[10:11]
	s_cbranch_vccz .LBB25_925
; %bb.893:
	s_cmp_gt_i32 s14, 22
	s_cbranch_scc0 .LBB25_903
; %bb.894:
	s_cmp_lt_i32 s14, 24
	s_cbranch_scc1 .LBB25_906
; %bb.895:
	s_cmp_gt_i32 s14, 24
	s_cbranch_scc0 .LBB25_907
; %bb.896:
	global_load_ubyte v3, v[1:2], off
	s_movk_i32 s2, 0x7f
	s_waitcnt vmcnt(0)
	v_cmp_lt_i16_e32 vcc, s2, v3
	s_mov_b64 s[2:3], 0
	s_and_saveexec_b64 s[8:9], vcc
	s_xor_b64 s[8:9], exec, s[8:9]
	s_cbranch_execz .LBB25_919
; %bb.897:
	s_movk_i32 s2, 0x80
	v_cmp_eq_u16_e32 vcc, s2, v3
	s_mov_b64 s[2:3], -1
	s_and_saveexec_b64 s[10:11], vcc
; %bb.898:
	s_xor_b64 s[2:3], exec, -1
; %bb.899:
	s_or_b64 exec, exec, s[10:11]
	s_and_b64 s[2:3], s[2:3], exec
	s_or_saveexec_b64 s[8:9], s[8:9]
	v_mov_b32_e32 v4, 0x7e00
	s_xor_b64 exec, exec, s[8:9]
	s_cbranch_execnz .LBB25_920
.LBB25_900:
	s_or_b64 exec, exec, s[8:9]
	s_and_saveexec_b64 s[8:9], s[2:3]
	s_cbranch_execz .LBB25_902
.LBB25_901:
	v_lshlrev_b32_e32 v4, 24, v3
	v_and_b32_e32 v3, 0xffff, v3
	v_and_b32_e32 v5, 3, v3
	v_ffbh_u32_e32 v7, v5
	v_min_u32_e32 v7, 32, v7
	v_subrev_u32_e32 v8, 29, v7
	v_bfe_u32 v6, v3, 2, 5
	v_lshlrev_b32_e32 v3, v8, v3
	v_sub_u32_e32 v7, 30, v7
	v_and_b32_e32 v3, 3, v3
	v_cmp_eq_u32_e32 vcc, 0, v6
	v_cndmask_b32_e32 v6, v6, v7, vcc
	v_cndmask_b32_e32 v3, v5, v3, vcc
	v_mov_b32_e32 v5, 0x37800000
	v_lshlrev_b32_e32 v3, 21, v3
	v_and_b32_e32 v4, 0x80000000, v4
	v_lshl_add_u32 v5, v6, 23, v5
	v_or3_b32 v3, v4, v5, v3
	v_cvt_f16_f32_e32 v4, v3
.LBB25_902:
	s_or_b64 exec, exec, s[8:9]
	s_mov_b64 s[2:3], 0
	s_branch .LBB25_908
.LBB25_903:
	s_mov_b64 s[2:3], -1
                                        ; implicit-def: $vgpr4
	s_branch .LBB25_914
.LBB25_904:
	s_or_saveexec_b64 s[10:11], s[10:11]
	v_mov_b32_e32 v4, 0x7e00
	s_xor_b64 exec, exec, s[10:11]
	s_cbranch_execz .LBB25_887
.LBB25_905:
	v_cmp_ne_u16_e32 vcc, 0, v3
	s_andn2_b64 s[8:9], s[8:9], exec
	s_and_b64 s[12:13], vcc, exec
	s_or_b64 s[8:9], s[8:9], s[12:13]
	v_mov_b32_e32 v4, v3
	s_or_b64 exec, exec, s[10:11]
	s_and_saveexec_b64 s[10:11], s[8:9]
	s_cbranch_execnz .LBB25_888
	s_branch .LBB25_889
.LBB25_906:
	s_mov_b64 s[2:3], -1
                                        ; implicit-def: $vgpr4
	s_branch .LBB25_911
.LBB25_907:
	s_mov_b64 s[2:3], -1
                                        ; implicit-def: $vgpr4
.LBB25_908:
	s_and_b64 vcc, exec, s[2:3]
	s_cbranch_vccz .LBB25_910
; %bb.909:
	global_load_ubyte v3, v[1:2], off
	s_mov_b32 s2, 0x7f800000
	s_waitcnt vmcnt(0)
	v_lshlrev_b32_e32 v3, 24, v3
	v_and_b32_e32 v4, 0x7f000000, v3
	v_ffbh_u32_e32 v5, v4
	v_min_u32_e32 v5, 32, v5
	v_sub_u32_e64 v5, v5, 4 clamp
	v_lshlrev_b32_e32 v7, v5, v4
	v_lshlrev_b32_e32 v5, 23, v5
	v_lshrrev_b32_e32 v7, 4, v7
	v_add_u32_e32 v6, 0x1000000, v4
	v_sub_u32_e32 v5, v7, v5
	v_ashrrev_i32_e32 v6, 8, v6
	v_add_u32_e32 v5, 0x3c000000, v5
	v_and_or_b32 v5, v6, s2, v5
	v_cmp_ne_u32_e32 vcc, 0, v4
	v_cndmask_b32_e32 v4, 0, v5, vcc
	s_brev_b32 s2, 1
	v_and_or_b32 v3, v3, s2, v4
	v_cvt_f16_f32_e32 v4, v3
.LBB25_910:
	s_mov_b64 s[2:3], 0
.LBB25_911:
	s_andn2_b64 vcc, exec, s[2:3]
	s_cbranch_vccnz .LBB25_913
; %bb.912:
	global_load_ubyte v3, v[1:2], off
	s_movk_i32 s2, 0x7f00
	s_brev_b32 s3, 16
	s_waitcnt vmcnt(0)
	v_lshlrev_b16_e32 v4, 8, v3
	v_lshlrev_b32_e32 v3, 25, v3
	v_lshrrev_b32_e32 v5, 4, v3
	v_and_or_b32 v6, v4, s2, 0.5
	v_or_b32_e32 v5, 0x70000000, v5
	v_add_f32_e32 v6, -0.5, v6
	v_mul_f32_e32 v5, 0x7800000, v5
	v_cmp_gt_u32_e32 vcc, s3, v3
	v_bfe_i32 v4, v4, 0, 16
	v_cndmask_b32_e32 v3, v5, v6, vcc
	s_brev_b32 s2, 1
	v_and_or_b32 v3, v4, s2, v3
	v_cvt_f16_f32_e32 v4, v3
.LBB25_913:
	s_mov_b64 s[2:3], 0
	s_mov_b64 s[8:9], -1
.LBB25_914:
	s_andn2_b64 vcc, exec, s[2:3]
	s_mov_b64 s[2:3], 0
	s_cbranch_vccnz .LBB25_925
; %bb.915:
	s_cmp_gt_i32 s14, 14
	s_cbranch_scc0 .LBB25_918
; %bb.916:
	s_cmp_eq_u32 s14, 15
	s_cbranch_scc0 .LBB25_921
; %bb.917:
	global_load_ushort v3, v[1:2], off
	s_mov_b64 s[0:1], 0
	s_mov_b64 s[8:9], -1
	s_waitcnt vmcnt(0)
	v_lshlrev_b32_e32 v3, 16, v3
	v_cvt_f16_f32_e32 v4, v3
	s_branch .LBB25_922
.LBB25_918:
	s_mov_b64 s[10:11], -1
                                        ; implicit-def: $vgpr4
	s_branch .LBB25_923
.LBB25_919:
	s_or_saveexec_b64 s[8:9], s[8:9]
	v_mov_b32_e32 v4, 0x7e00
	s_xor_b64 exec, exec, s[8:9]
	s_cbranch_execz .LBB25_900
.LBB25_920:
	v_cmp_ne_u16_e32 vcc, 0, v3
	s_andn2_b64 s[2:3], s[2:3], exec
	s_and_b64 s[10:11], vcc, exec
	s_or_b64 s[2:3], s[2:3], s[10:11]
	v_mov_b32_e32 v4, v3
	s_or_b64 exec, exec, s[8:9]
	s_and_saveexec_b64 s[8:9], s[2:3]
	s_cbranch_execnz .LBB25_901
	s_branch .LBB25_902
.LBB25_921:
	s_mov_b64 s[0:1], -1
                                        ; implicit-def: $vgpr4
.LBB25_922:
	s_mov_b64 s[10:11], 0
.LBB25_923:
	s_and_b64 vcc, exec, s[10:11]
	s_cbranch_vccz .LBB25_925
; %bb.924:
	s_cmp_lg_u32 s14, 11
	s_cselect_b64 s[10:11], -1, 0
	s_andn2_b64 s[0:1], s[0:1], exec
	s_and_b64 s[10:11], s[10:11], exec
	s_mov_b64 s[2:3], -1
	s_or_b64 s[0:1], s[0:1], s[10:11]
.LBB25_925:
	s_mov_b64 s[12:13], 0
.LBB25_926:
	s_and_b64 s[10:11], s[8:9], exec
	s_and_b64 s[8:9], s[12:13], exec
	s_andn2_b64 s[12:13], s[6:7], exec
	s_and_b64 s[0:1], s[0:1], exec
	s_and_b64 s[2:3], s[2:3], exec
	s_or_b64 s[12:13], s[12:13], s[0:1]
.LBB25_927:
	s_or_b64 exec, exec, s[70:71]
	s_and_b64 s[0:1], s[2:3], exec
	s_andn2_b64 s[2:3], s[6:7], exec
	s_and_b64 s[6:7], s[12:13], exec
	s_and_b64 s[10:11], s[10:11], exec
	;; [unrolled: 1-line block ×3, first 2 shown]
	s_or_b64 s[6:7], s[2:3], s[6:7]
.LBB25_928:
	s_or_b64 exec, exec, s[66:67]
	s_andn2_b64 s[2:3], s[62:63], exec
	s_and_b64 s[12:13], s[68:69], exec
	s_or_b64 s[62:63], s[2:3], s[12:13]
	s_and_b64 s[2:3], s[0:1], exec
	s_andn2_b64 s[0:1], s[60:61], exec
	s_and_b64 s[6:7], s[6:7], exec
	s_and_b64 s[10:11], s[10:11], exec
	;; [unrolled: 1-line block ×3, first 2 shown]
	s_or_b64 s[60:61], s[0:1], s[6:7]
.LBB25_929:
	s_or_b64 exec, exec, s[64:65]
	s_andn2_b64 s[0:1], s[54:55], exec
	s_and_b64 s[6:7], s[62:63], exec
	s_or_b64 s[54:55], s[0:1], s[6:7]
	s_and_b64 s[6:7], s[8:9], exec
	s_and_b64 s[62:63], s[2:3], exec
	s_andn2_b64 s[2:3], s[56:57], exec
	s_and_b64 s[8:9], s[60:61], exec
	s_and_b64 s[0:1], s[10:11], exec
	s_or_b64 s[56:57], s[2:3], s[8:9]
	s_or_b64 exec, exec, s[58:59]
	s_mov_b64 s[8:9], 0
	s_and_saveexec_b64 s[2:3], s[56:57]
	s_cbranch_execz .LBB25_278
.LBB25_930:
	s_mov_b64 s[8:9], exec
	s_andn2_b64 s[62:63], s[62:63], exec
	s_trap 2
	s_or_b64 exec, exec, s[2:3]
	s_and_saveexec_b64 s[2:3], s[62:63]
	s_xor_b64 s[2:3], exec, s[2:3]
	s_cbranch_execnz .LBB25_279
.LBB25_931:
	s_or_b64 exec, exec, s[2:3]
	s_and_saveexec_b64 s[2:3], s[6:7]
	s_cbranch_execz .LBB25_977
.LBB25_932:
	s_sext_i32_i16 s6, s74
	s_cmp_lt_i32 s6, 5
	s_cbranch_scc1 .LBB25_937
; %bb.933:
	s_cmp_lt_i32 s6, 8
	s_cbranch_scc1 .LBB25_938
; %bb.934:
	;; [unrolled: 3-line block ×3, first 2 shown]
	s_cmp_gt_i32 s6, 9
	s_cbranch_scc0 .LBB25_940
; %bb.936:
	global_load_dwordx2 v[3:4], v[1:2], off
	s_movk_i32 s6, 0x1ff
	s_movk_i32 s7, 0xffe
	v_mov_b32_e32 v5, 0x7c00
	v_mov_b32_e32 v6, 0x7e00
	s_movk_i32 s10, 0x40f
	s_mov_b32 s11, 0x8000
	s_waitcnt vmcnt(0)
	v_and_or_b32 v3, v4, s6, v3
	v_cmp_ne_u32_e32 vcc, 0, v3
	v_lshrrev_b32_e32 v7, 8, v4
	v_bfe_u32 v8, v4, 20, 11
	v_cndmask_b32_e64 v3, 0, 1, vcc
	v_sub_u32_e32 v9, 0x3f1, v8
	v_and_or_b32 v3, v7, s7, v3
	v_add_u32_e32 v8, 0xfffffc10, v8
	v_med3_i32 v7, v9, 0, 13
	v_or_b32_e32 v9, 0x1000, v3
	v_cmp_ne_u32_e32 vcc, 0, v3
	v_lshl_or_b32 v10, v8, 12, v3
	v_cndmask_b32_e32 v3, v5, v6, vcc
	v_lshrrev_b32_e32 v6, v7, v9
	v_lshlrev_b32_e32 v7, v7, v6
	v_cmp_ne_u32_e32 vcc, v7, v9
	v_cndmask_b32_e64 v7, 0, 1, vcc
	v_or_b32_e32 v6, v6, v7
	v_cmp_gt_i32_e32 vcc, 1, v8
	v_cndmask_b32_e32 v6, v10, v6, vcc
	v_and_b32_e32 v7, 7, v6
	v_cmp_lt_i32_e32 vcc, 5, v7
	v_cndmask_b32_e64 v9, 0, 1, vcc
	v_cmp_eq_u32_e32 vcc, 3, v7
	v_cndmask_b32_e64 v7, 0, 1, vcc
	v_lshrrev_b32_e32 v6, 2, v6
	v_or_b32_e32 v7, v7, v9
	v_add_u32_e32 v6, v6, v7
	v_cmp_gt_i32_e32 vcc, 31, v8
	v_cndmask_b32_e32 v5, v5, v6, vcc
	v_cmp_eq_u32_e32 vcc, s10, v8
	v_lshrrev_b32_e32 v4, 16, v4
	v_cndmask_b32_e32 v3, v5, v3, vcc
	v_and_or_b32 v4, v4, s11, v3
	s_mov_b64 s[6:7], 0
	s_branch .LBB25_941
.LBB25_937:
                                        ; implicit-def: $vgpr4
	s_branch .LBB25_958
.LBB25_938:
                                        ; implicit-def: $vgpr4
	s_branch .LBB25_947
.LBB25_939:
	s_mov_b64 s[6:7], -1
                                        ; implicit-def: $vgpr4
	s_branch .LBB25_944
.LBB25_940:
	s_mov_b64 s[6:7], -1
                                        ; implicit-def: $vgpr4
.LBB25_941:
	s_andn2_b64 vcc, exec, s[6:7]
	s_cbranch_vccnz .LBB25_943
; %bb.942:
	global_load_dword v3, v[1:2], off
	s_waitcnt vmcnt(0)
	v_cvt_f16_f32_e32 v4, v3
.LBB25_943:
	s_mov_b64 s[6:7], 0
.LBB25_944:
	s_andn2_b64 vcc, exec, s[6:7]
	s_cbranch_vccnz .LBB25_946
; %bb.945:
	global_load_dword v4, v[1:2], off
.LBB25_946:
	s_cbranch_execnz .LBB25_957
.LBB25_947:
	s_sext_i32_i16 s6, s74
	s_cmp_lt_i32 s6, 6
	s_cbranch_scc1 .LBB25_950
; %bb.948:
	s_cmp_gt_i32 s6, 6
	s_cbranch_scc0 .LBB25_951
; %bb.949:
	global_load_dwordx2 v[3:4], v[1:2], off
	s_movk_i32 s6, 0x1ff
	s_movk_i32 s7, 0xffe
	v_mov_b32_e32 v5, 0x7c00
	v_mov_b32_e32 v6, 0x7e00
	s_movk_i32 s10, 0x40f
	s_mov_b32 s11, 0x8000
	s_waitcnt vmcnt(0)
	v_and_or_b32 v3, v4, s6, v3
	v_cmp_ne_u32_e32 vcc, 0, v3
	v_lshrrev_b32_e32 v7, 8, v4
	v_bfe_u32 v8, v4, 20, 11
	v_cndmask_b32_e64 v3, 0, 1, vcc
	v_sub_u32_e32 v9, 0x3f1, v8
	v_and_or_b32 v3, v7, s7, v3
	v_add_u32_e32 v8, 0xfffffc10, v8
	v_med3_i32 v7, v9, 0, 13
	v_or_b32_e32 v9, 0x1000, v3
	v_cmp_ne_u32_e32 vcc, 0, v3
	v_lshl_or_b32 v10, v8, 12, v3
	v_cndmask_b32_e32 v3, v5, v6, vcc
	v_lshrrev_b32_e32 v6, v7, v9
	v_lshlrev_b32_e32 v7, v7, v6
	v_cmp_ne_u32_e32 vcc, v7, v9
	v_cndmask_b32_e64 v7, 0, 1, vcc
	v_or_b32_e32 v6, v6, v7
	v_cmp_gt_i32_e32 vcc, 1, v8
	v_cndmask_b32_e32 v6, v10, v6, vcc
	v_and_b32_e32 v7, 7, v6
	v_cmp_lt_i32_e32 vcc, 5, v7
	v_cndmask_b32_e64 v9, 0, 1, vcc
	v_cmp_eq_u32_e32 vcc, 3, v7
	v_cndmask_b32_e64 v7, 0, 1, vcc
	v_lshrrev_b32_e32 v6, 2, v6
	v_or_b32_e32 v7, v7, v9
	v_add_u32_e32 v6, v6, v7
	v_cmp_gt_i32_e32 vcc, 31, v8
	v_cndmask_b32_e32 v5, v5, v6, vcc
	v_cmp_eq_u32_e32 vcc, s10, v8
	v_lshrrev_b32_e32 v4, 16, v4
	v_cndmask_b32_e32 v3, v5, v3, vcc
	v_and_or_b32 v4, v4, s11, v3
	s_mov_b64 s[6:7], 0
	s_branch .LBB25_952
.LBB25_950:
	s_mov_b64 s[6:7], -1
                                        ; implicit-def: $vgpr4
	s_branch .LBB25_955
.LBB25_951:
	s_mov_b64 s[6:7], -1
                                        ; implicit-def: $vgpr4
.LBB25_952:
	s_andn2_b64 vcc, exec, s[6:7]
	s_cbranch_vccnz .LBB25_954
; %bb.953:
	global_load_dword v3, v[1:2], off
	s_waitcnt vmcnt(0)
	v_cvt_f16_f32_e32 v4, v3
.LBB25_954:
	s_mov_b64 s[6:7], 0
.LBB25_955:
	s_andn2_b64 vcc, exec, s[6:7]
	s_cbranch_vccnz .LBB25_957
; %bb.956:
	global_load_ushort v4, v[1:2], off
.LBB25_957:
	s_cbranch_execnz .LBB25_976
.LBB25_958:
	s_sext_i32_i16 s6, s74
	s_cmp_lt_i32 s6, 2
	s_cbranch_scc1 .LBB25_962
; %bb.959:
	s_cmp_lt_i32 s6, 3
	s_cbranch_scc1 .LBB25_963
; %bb.960:
	s_cmp_gt_i32 s6, 3
	s_cbranch_scc0 .LBB25_964
; %bb.961:
	global_load_dwordx2 v[3:4], v[1:2], off
	s_mov_b64 s[6:7], 0
	s_waitcnt vmcnt(0)
	v_xor_b32_e32 v6, v3, v4
	v_ffbh_i32_e32 v5, v4
	v_ashrrev_i32_e32 v6, 31, v6
	v_add_u32_e32 v5, -1, v5
	v_add_u32_e32 v6, 32, v6
	v_min_u32_e32 v5, v5, v6
	v_lshlrev_b64 v[3:4], v5, v[3:4]
	v_min_u32_e32 v3, 1, v3
	v_or_b32_e32 v3, v4, v3
	v_cvt_f32_i32_e32 v3, v3
	v_sub_u32_e32 v4, 32, v5
	v_ldexp_f32 v3, v3, v4
	v_cvt_f16_f32_e32 v4, v3
	s_branch .LBB25_965
.LBB25_962:
                                        ; implicit-def: $vgpr4
	s_branch .LBB25_971
.LBB25_963:
	s_mov_b64 s[6:7], -1
                                        ; implicit-def: $vgpr4
	s_branch .LBB25_968
.LBB25_964:
	s_mov_b64 s[6:7], -1
                                        ; implicit-def: $vgpr4
.LBB25_965:
	s_andn2_b64 vcc, exec, s[6:7]
	s_cbranch_vccnz .LBB25_967
; %bb.966:
	global_load_dword v3, v[1:2], off
	s_waitcnt vmcnt(0)
	v_cvt_f32_i32_e32 v3, v3
	v_cvt_f16_f32_e32 v4, v3
.LBB25_967:
	s_mov_b64 s[6:7], 0
.LBB25_968:
	s_andn2_b64 vcc, exec, s[6:7]
	s_cbranch_vccnz .LBB25_970
; %bb.969:
	global_load_ushort v3, v[1:2], off
	s_waitcnt vmcnt(0)
	v_cvt_f16_i16_e32 v4, v3
.LBB25_970:
	s_cbranch_execnz .LBB25_976
.LBB25_971:
	s_sext_i32_i16 s6, s74
	s_cmp_gt_i32 s6, 0
	s_cbranch_scc0 .LBB25_973
; %bb.972:
	global_load_sbyte v3, v[1:2], off
	s_mov_b64 s[6:7], 0
	s_waitcnt vmcnt(0)
	v_cvt_f16_i16_e32 v4, v3
	s_branch .LBB25_974
.LBB25_973:
	s_mov_b64 s[6:7], -1
                                        ; implicit-def: $vgpr4
.LBB25_974:
	s_andn2_b64 vcc, exec, s[6:7]
	s_cbranch_vccnz .LBB25_976
; %bb.975:
	global_load_ubyte v1, v[1:2], off
	s_waitcnt vmcnt(0)
	v_cvt_f16_u16_e32 v4, v1
.LBB25_976:
	s_or_b64 s[0:1], s[0:1], exec
.LBB25_977:
	s_or_b64 exec, exec, s[2:3]
	s_mov_b64 s[6:7], 0
	s_mov_b64 s[2:3], 0
                                        ; implicit-def: $sgpr16
                                        ; implicit-def: $vgpr1_vgpr2
                                        ; implicit-def: $vgpr3
	s_and_saveexec_b64 s[10:11], s[0:1]
	s_cbranch_execz .LBB25_999
; %bb.978:
	s_waitcnt vmcnt(0)
	v_cvt_f32_f16_e32 v1, v4
	s_brev_b32 s0, 18
                                        ; implicit-def: $vgpr3
                                        ; implicit-def: $vgpr4
	v_and_b32_e32 v2, 0x7fffffff, v1
	v_cmp_nlt_f32_e64 s[0:1], |v1|, s0
	s_and_saveexec_b64 s[2:3], s[0:1]
	s_xor_b64 s[12:13], exec, s[2:3]
	s_cbranch_execz .LBB25_980
; %bb.979:
	v_and_b32_e32 v3, 0x7fffff, v2
	v_or_b32_e32 v12, 0x800000, v3
	s_mov_b32 s0, 0xfe5163ab
	v_mad_u64_u32 v[3:4], s[0:1], v12, s0, 0
	v_mov_b32_e32 v5, 0
	s_mov_b32 s0, 0x3c439041
	v_mad_u64_u32 v[6:7], s[0:1], v12, s0, v[4:5]
	s_mov_b32 s0, 0xdb629599
	v_not_b32_e32 v11, 63
	v_mov_b32_e32 v4, v7
	v_mad_u64_u32 v[7:8], s[0:1], v12, s0, v[4:5]
	s_mov_b32 s0, 0xf534ddc0
	v_not_b32_e32 v14, 31
	v_mov_b32_e32 v4, v8
	v_mad_u64_u32 v[8:9], s[0:1], v12, s0, v[4:5]
	v_lshrrev_b32_e32 v4, 23, v2
	v_add_u32_e32 v13, 0xffffff88, v4
	v_mov_b32_e32 v4, v9
	s_mov_b32 s0, 0xfc2757d1
	v_mad_u64_u32 v[9:10], s[0:1], v12, s0, v[4:5]
	v_cmp_lt_u32_e32 vcc, 63, v13
	v_cndmask_b32_e32 v4, 0, v11, vcc
	v_add_u32_e32 v13, v4, v13
	v_mov_b32_e32 v4, v10
	s_mov_b32 s0, 0x4e441529
	v_mad_u64_u32 v[10:11], s[0:1], v12, s0, v[4:5]
	v_cmp_lt_u32_e64 s[0:1], 31, v13
	v_cndmask_b32_e64 v4, 0, v14, s[0:1]
	v_add_u32_e32 v13, v4, v13
	v_mov_b32_e32 v4, v11
	s_mov_b32 s2, 0xa2f9836e
	v_mad_u64_u32 v[4:5], s[2:3], v12, s2, v[4:5]
	v_cmp_lt_u32_e64 s[2:3], 31, v13
	v_cndmask_b32_e64 v11, 0, v14, s[2:3]
	v_cndmask_b32_e32 v12, v10, v8, vcc
	v_cndmask_b32_e32 v4, v4, v9, vcc
	v_cndmask_b32_e32 v5, v5, v10, vcc
	v_add_u32_e32 v11, v11, v13
	v_cndmask_b32_e64 v13, v4, v12, s[0:1]
	v_cndmask_b32_e64 v4, v5, v4, s[0:1]
	v_cndmask_b32_e32 v5, v9, v7, vcc
	v_cndmask_b32_e64 v9, v12, v5, s[0:1]
	v_cndmask_b32_e64 v4, v4, v13, s[2:3]
	;; [unrolled: 1-line block ×3, first 2 shown]
	v_sub_u32_e32 v12, 32, v11
	v_alignbit_b32 v13, v4, v10, v12
	v_cmp_eq_u32_e64 s[6:7], 0, v11
	v_cndmask_b32_e64 v11, v13, v4, s[6:7]
	v_cndmask_b32_e32 v4, v8, v6, vcc
	v_cndmask_b32_e64 v5, v5, v4, s[0:1]
	v_cndmask_b32_e64 v6, v9, v5, s[2:3]
	v_alignbit_b32 v8, v10, v6, v12
	v_cndmask_b32_e32 v3, v7, v3, vcc
	v_cndmask_b32_e64 v8, v8, v10, s[6:7]
	v_bfe_u32 v13, v11, 29, 1
	v_cndmask_b32_e64 v3, v4, v3, s[0:1]
	v_alignbit_b32 v9, v11, v8, 30
	v_sub_u32_e32 v14, 0, v13
	v_cndmask_b32_e64 v3, v5, v3, s[2:3]
	v_xor_b32_e32 v9, v9, v14
	v_alignbit_b32 v4, v6, v3, v12
	v_cndmask_b32_e64 v4, v4, v6, s[6:7]
	v_ffbh_u32_e32 v6, v9
	v_alignbit_b32 v5, v8, v4, 30
	v_min_u32_e32 v6, 32, v6
	v_alignbit_b32 v3, v4, v3, 30
	v_xor_b32_e32 v5, v5, v14
	v_sub_u32_e32 v7, 31, v6
	v_xor_b32_e32 v3, v3, v14
	v_alignbit_b32 v8, v9, v5, v7
	v_alignbit_b32 v3, v5, v3, v7
	;; [unrolled: 1-line block ×3, first 2 shown]
	v_ffbh_u32_e32 v5, v4
	v_min_u32_e32 v5, 32, v5
	v_lshrrev_b32_e32 v10, 29, v11
	v_not_b32_e32 v7, v5
	v_alignbit_b32 v3, v4, v3, v7
	v_lshlrev_b32_e32 v4, 31, v10
	v_or_b32_e32 v7, 0x33000000, v4
	v_add_lshl_u32 v5, v5, v6, 23
	v_lshrrev_b32_e32 v3, 9, v3
	v_sub_u32_e32 v5, v7, v5
	v_or_b32_e32 v4, 0.5, v4
	v_lshlrev_b32_e32 v6, 23, v6
	v_or_b32_e32 v3, v5, v3
	v_lshrrev_b32_e32 v5, 9, v8
	v_sub_u32_e32 v4, v4, v6
	v_or_b32_e32 v4, v5, v4
	s_mov_b32 s0, 0x3fc90fda
	v_mul_f32_e32 v5, 0x3fc90fda, v4
	v_fma_f32 v6, v4, s0, -v5
	v_fmac_f32_e32 v6, 0x33a22168, v4
	v_fmac_f32_e32 v6, 0x3fc90fda, v3
	v_lshrrev_b32_e32 v3, 30, v11
	v_add_f32_e32 v4, v5, v6
	v_add_u32_e32 v3, v13, v3
.LBB25_980:
	s_andn2_saveexec_b64 s[0:1], s[12:13]
	s_cbranch_execz .LBB25_982
; %bb.981:
	s_mov_b32 s2, 0x3f22f983
	v_mul_f32_e64 v3, |v1|, s2
	v_rndne_f32_e32 v5, v3
	s_mov_b32 s2, 0xbfc90fda
	v_cvt_i32_f32_e32 v3, v5
	v_fma_f32 v4, v5, s2, |v1|
	v_fmac_f32_e32 v4, 0xb3a22168, v5
	v_fmac_f32_e32 v4, 0xa7c234c4, v5
.LBB25_982:
	s_or_b64 exec, exec, s[0:1]
	v_mul_f32_e32 v5, v4, v4
	v_mov_b32_e32 v6, 0x3c0881c4
	v_fmac_f32_e32 v6, 0xb94c1982, v5
	v_mov_b32_e32 v7, 0xbe2aaa9d
	v_fmac_f32_e32 v7, v5, v6
	v_mul_f32_e32 v6, v5, v7
	v_fmac_f32_e32 v4, v4, v6
	v_mov_b32_e32 v6, 0xbab64f3b
	v_fmac_f32_e32 v6, 0x37d75334, v5
	v_mov_b32_e32 v7, 0x3d2aabf7
	;; [unrolled: 2-line block ×3, first 2 shown]
	v_fmac_f32_e32 v6, v5, v7
	v_fma_f32 v5, v5, v6, 1.0
	v_and_b32_e32 v6, 1, v3
	v_lshlrev_b32_e32 v3, 30, v3
	v_cmp_eq_u32_e32 vcc, 0, v6
	v_and_b32_e32 v3, 0x80000000, v3
	v_xor_b32_e32 v2, v2, v1
	v_cndmask_b32_e32 v4, v5, v4, vcc
	v_xor_b32_e32 v2, v2, v3
	s_movk_i32 s0, 0x1f8
	v_xor_b32_e32 v2, v2, v4
	v_mov_b32_e32 v3, 0x7fc00000
	v_cmp_class_f32_e64 vcc, v1, s0
	v_cndmask_b32_e32 v1, v3, v2, vcc
	v_cvt_f16_f32_e32 v3, v1
	s_waitcnt lgkmcnt(0)
	v_mov_b32_e32 v2, s25
	s_and_b32 s16, s73, 0xff
	v_add_co_u32_e32 v1, vcc, s24, v0
	s_cmp_lt_i32 s16, 11
	v_addc_co_u32_e32 v2, vcc, 0, v2, vcc
	s_cbranch_scc1 .LBB25_1002
; %bb.983:
	s_and_b32 s17, 0xffff, s16
	s_mov_b64 s[6:7], -1
	s_cmp_gt_i32 s17, 25
	s_mov_b64 s[0:1], s[54:55]
	s_cbranch_scc0 .LBB25_1020
; %bb.984:
	s_mov_b64 s[2:3], -1
	s_cmp_gt_i32 s17, 28
	s_mov_b64 s[0:1], s[54:55]
	s_cbranch_scc0 .LBB25_1004
; %bb.985:
	s_cmp_gt_i32 s17, 43
	s_mov_b64 s[0:1], s[54:55]
	s_cbranch_scc0 .LBB25_996
; %bb.986:
	;; [unrolled: 4-line block ×3, first 2 shown]
	s_cmp_eq_u32 s17, 46
	s_mov_b64 s[0:1], -1
	s_cbranch_scc0 .LBB25_989
; %bb.988:
	v_cvt_f32_f16_e32 v0, v3
	s_movk_i32 s0, 0x7fff
	v_cmp_o_f16_e32 vcc, v3, v3
	v_mov_b32_e32 v4, 0x7fc0
	v_bfe_u32 v5, v0, 16, 1
	v_add3_u32 v0, v0, v5, s0
	v_cndmask_b32_sdwa v0, v4, v0, vcc dst_sel:DWORD dst_unused:UNUSED_PAD src0_sel:DWORD src1_sel:WORD_1
	global_store_dword v[1:2], v0, off
	s_mov_b64 s[0:1], 0
.LBB25_989:
	s_mov_b64 s[2:3], 0
.LBB25_990:
	s_and_b64 vcc, exec, s[2:3]
	s_cbranch_vccz .LBB25_995
; %bb.991:
	s_cmp_eq_u32 s17, 44
	s_mov_b64 s[0:1], -1
	s_cbranch_scc0 .LBB25_995
; %bb.992:
	v_cvt_f32_f16_e32 v0, v3
	s_movk_i32 s0, 0xff
	v_mov_b32_e32 v5, 0xff
	v_bfe_u32 v4, v0, 23, 8
	v_cmp_ne_u32_e32 vcc, s0, v4
	s_and_saveexec_b64 s[2:3], vcc
; %bb.993:
	s_mov_b32 s0, 0x3fffff
	v_lshrrev_b32_e32 v5, 23, v0
	v_and_b32_e32 v6, 0x400000, v0
	v_and_or_b32 v0, v0, s0, v4
	v_cmp_ne_u32_e32 vcc, 0, v6
	v_cmp_ne_u32_e64 s[0:1], 0, v0
	s_and_b64 s[0:1], vcc, s[0:1]
	v_cndmask_b32_e64 v0, 0, 1, s[0:1]
	v_add_u32_e32 v5, v5, v0
; %bb.994:
	s_or_b64 exec, exec, s[2:3]
	s_mov_b64 s[0:1], 0
	global_store_byte v[1:2], v5, off
.LBB25_995:
	s_mov_b64 s[2:3], 0
.LBB25_996:
	s_and_b64 vcc, exec, s[2:3]
	s_cbranch_vccz .LBB25_1003
; %bb.997:
	s_cmp_eq_u32 s17, 29
	s_mov_b64 s[0:1], -1
	s_cbranch_scc0 .LBB25_1003
; %bb.998:
	v_cvt_f32_f16_e32 v0, v3
	v_mov_b32_e32 v5, 0
	s_mov_b64 s[0:1], 0
	s_mov_b64 s[2:3], 0
	v_cvt_u32_f32_e32 v4, v0
	global_store_dwordx2 v[1:2], v[4:5], off
	s_branch .LBB25_1004
.LBB25_999:
	s_or_b64 exec, exec, s[10:11]
	s_and_saveexec_b64 s[0:1], s[54:55]
	s_cbranch_execnz .LBB25_1062
.LBB25_1000:
	s_or_b64 exec, exec, s[0:1]
	s_and_saveexec_b64 s[0:1], s[6:7]
	s_xor_b64 s[0:1], exec, s[0:1]
	s_cbranch_execz .LBB25_1063
.LBB25_1001:
	s_waitcnt vmcnt(0)
	v_cmp_neq_f16_e32 vcc, 0, v3
	v_cndmask_b32_e64 v0, 0, 1, vcc
	global_store_byte v[1:2], v0, off
	s_or_b64 exec, exec, s[0:1]
	s_and_saveexec_b64 s[0:1], s[2:3]
	s_xor_b64 s[0:1], exec, s[0:1]
	s_cbranch_execz .LBB25_1101
	s_branch .LBB25_1064
.LBB25_1002:
	s_mov_b64 s[6:7], 0
	s_mov_b64 s[2:3], -1
	s_mov_b64 s[0:1], s[54:55]
	s_branch .LBB25_1061
.LBB25_1003:
	s_mov_b64 s[2:3], 0
.LBB25_1004:
	s_and_b64 vcc, exec, s[2:3]
	s_cbranch_vccz .LBB25_1019
; %bb.1005:
	s_cmp_lt_i32 s17, 27
	s_mov_b64 s[2:3], -1
	s_cbranch_scc1 .LBB25_1011
; %bb.1006:
	s_cmp_gt_i32 s17, 27
	s_cbranch_scc0 .LBB25_1008
; %bb.1007:
	v_cvt_f32_f16_e32 v0, v3
	s_mov_b64 s[2:3], 0
	v_cvt_u32_f32_e32 v0, v0
	global_store_dword v[1:2], v0, off
.LBB25_1008:
	s_andn2_b64 vcc, exec, s[2:3]
	s_cbranch_vccnz .LBB25_1010
; %bb.1009:
	v_cvt_u16_f16_e32 v0, v3
	global_store_short v[1:2], v0, off
.LBB25_1010:
	s_mov_b64 s[2:3], 0
.LBB25_1011:
	s_andn2_b64 vcc, exec, s[2:3]
	s_cbranch_vccnz .LBB25_1019
; %bb.1012:
	v_cvt_f32_f16_e32 v0, v3
	s_mov_b32 s2, 0x43800000
	v_mov_b32_e32 v5, 0x80
	v_and_b32_e32 v4, 0x7fffffff, v0
	v_cmp_gt_u32_e32 vcc, s2, v4
	s_and_saveexec_b64 s[2:3], vcc
	s_cbranch_execz .LBB25_1018
; %bb.1013:
	s_mov_b32 s6, 0x3bffffff
	v_cmp_lt_u32_e32 vcc, s6, v4
	s_mov_b64 s[6:7], 0
                                        ; implicit-def: $vgpr4
	s_and_saveexec_b64 s[12:13], vcc
	s_xor_b64 s[12:13], exec, s[12:13]
	s_cbranch_execz .LBB25_1172
; %bb.1014:
	v_bfe_u32 v4, v0, 20, 1
	s_mov_b32 s14, 0x487ffff
	v_add3_u32 v4, v0, v4, s14
	s_mov_b64 s[6:7], exec
	v_lshrrev_b32_e32 v4, 20, v4
	s_andn2_saveexec_b64 s[12:13], s[12:13]
	s_cbranch_execnz .LBB25_1173
.LBB25_1015:
	s_or_b64 exec, exec, s[12:13]
	v_mov_b32_e32 v5, 0
	s_and_saveexec_b64 s[12:13], s[6:7]
.LBB25_1016:
	v_lshrrev_b32_e32 v0, 24, v0
	s_movk_i32 s6, 0x80
	v_and_or_b32 v5, v0, s6, v4
.LBB25_1017:
	s_or_b64 exec, exec, s[12:13]
.LBB25_1018:
	s_or_b64 exec, exec, s[2:3]
	global_store_byte v[1:2], v5, off
.LBB25_1019:
	s_mov_b64 s[6:7], 0
.LBB25_1020:
	s_mov_b64 s[2:3], 0
	s_and_b64 vcc, exec, s[6:7]
	s_cbranch_vccz .LBB25_1060
; %bb.1021:
	s_cmp_gt_i32 s17, 22
	s_mov_b64 s[6:7], -1
	s_cbranch_scc0 .LBB25_1053
; %bb.1022:
	s_cmp_lt_i32 s17, 24
	s_cbranch_scc1 .LBB25_1042
; %bb.1023:
	s_cmp_gt_i32 s17, 24
	s_cbranch_scc0 .LBB25_1031
; %bb.1024:
	v_cvt_f32_f16_e32 v0, v3
	s_mov_b32 s6, 0x47800000
	v_mov_b32_e32 v5, 0x80
	v_and_b32_e32 v4, 0x7fffffff, v0
	v_cmp_gt_u32_e32 vcc, s6, v4
	s_and_saveexec_b64 s[6:7], vcc
	s_cbranch_execz .LBB25_1030
; %bb.1025:
	s_mov_b32 s12, 0x37ffffff
	v_cmp_lt_u32_e32 vcc, s12, v4
	s_mov_b64 s[12:13], 0
                                        ; implicit-def: $vgpr4
	s_and_saveexec_b64 s[14:15], vcc
	s_xor_b64 s[14:15], exec, s[14:15]
	s_cbranch_execz .LBB25_1301
; %bb.1026:
	v_bfe_u32 v4, v0, 21, 1
	s_mov_b32 s18, 0x88fffff
	v_add3_u32 v4, v0, v4, s18
	s_mov_b64 s[12:13], exec
	v_lshrrev_b32_e32 v4, 21, v4
	s_andn2_saveexec_b64 s[14:15], s[14:15]
	s_cbranch_execnz .LBB25_1302
.LBB25_1027:
	s_or_b64 exec, exec, s[14:15]
	v_mov_b32_e32 v5, 0
	s_and_saveexec_b64 s[14:15], s[12:13]
.LBB25_1028:
	v_lshrrev_b32_e32 v0, 24, v0
	s_movk_i32 s12, 0x80
	v_and_or_b32 v5, v0, s12, v4
.LBB25_1029:
	s_or_b64 exec, exec, s[14:15]
.LBB25_1030:
	s_or_b64 exec, exec, s[6:7]
	s_mov_b64 s[6:7], 0
	global_store_byte v[1:2], v5, off
.LBB25_1031:
	s_and_b64 vcc, exec, s[6:7]
	s_cbranch_vccz .LBB25_1041
; %bb.1032:
	v_cvt_f32_f16_e32 v0, v3
	s_mov_b32 s6, 0x43f00000
                                        ; implicit-def: $vgpr4
	v_and_b32_e32 v5, 0x7fffffff, v0
	v_cmp_gt_u32_e32 vcc, s6, v5
	s_and_saveexec_b64 s[6:7], vcc
	s_xor_b64 s[6:7], exec, s[6:7]
	s_cbranch_execz .LBB25_1038
; %bb.1033:
	s_mov_b32 s12, 0x3c7fffff
	v_cmp_lt_u32_e32 vcc, s12, v5
                                        ; implicit-def: $vgpr4
	s_and_saveexec_b64 s[12:13], vcc
	s_xor_b64 s[12:13], exec, s[12:13]
; %bb.1034:
	v_bfe_u32 v4, v0, 20, 1
	s_mov_b32 s14, 0x407ffff
	v_add3_u32 v4, v0, v4, s14
	v_lshrrev_b32_e32 v5, 20, v4
	v_and_b32_e32 v4, 0xff00000, v4
	s_mov_b32 s14, 0x7f00000
	v_mov_b32_e32 v6, 0x7e
	v_cmp_ne_u32_e32 vcc, s14, v4
	v_cndmask_b32_e32 v4, v6, v5, vcc
; %bb.1035:
	s_andn2_saveexec_b64 s[12:13], s[12:13]
; %bb.1036:
	s_mov_b32 s14, 0x46800000
	v_add_f32_e64 v4, |v0|, s14
; %bb.1037:
	s_or_b64 exec, exec, s[12:13]
                                        ; implicit-def: $vgpr5
.LBB25_1038:
	s_andn2_saveexec_b64 s[6:7], s[6:7]
; %bb.1039:
	s_mov_b32 s12, 0x7f800000
	v_mov_b32_e32 v4, 0x7e
	v_mov_b32_e32 v6, 0x7f
	v_cmp_lt_u32_e32 vcc, s12, v5
	v_cndmask_b32_e32 v4, v4, v6, vcc
; %bb.1040:
	s_or_b64 exec, exec, s[6:7]
	v_lshrrev_b32_e32 v0, 24, v0
	s_movk_i32 s6, 0x80
	v_and_or_b32 v0, v0, s6, v4
	global_store_byte v[1:2], v0, off
.LBB25_1041:
	s_mov_b64 s[6:7], 0
.LBB25_1042:
	s_andn2_b64 vcc, exec, s[6:7]
	s_cbranch_vccnz .LBB25_1052
; %bb.1043:
	v_cvt_f32_f16_e32 v0, v3
	s_mov_b32 s6, 0x47800000
                                        ; implicit-def: $vgpr4
	v_and_b32_e32 v5, 0x7fffffff, v0
	v_cmp_gt_u32_e32 vcc, s6, v5
	s_and_saveexec_b64 s[6:7], vcc
	s_xor_b64 s[6:7], exec, s[6:7]
	s_cbranch_execz .LBB25_1049
; %bb.1044:
	s_mov_b32 s12, 0x387fffff
	v_cmp_lt_u32_e32 vcc, s12, v5
                                        ; implicit-def: $vgpr4
	s_and_saveexec_b64 s[12:13], vcc
	s_xor_b64 s[12:13], exec, s[12:13]
; %bb.1045:
	v_bfe_u32 v4, v0, 21, 1
	s_mov_b32 s14, 0x80fffff
	v_add3_u32 v4, v0, v4, s14
	v_lshrrev_b32_e32 v4, 21, v4
; %bb.1046:
	s_andn2_saveexec_b64 s[12:13], s[12:13]
; %bb.1047:
	s_mov_b32 s14, 0x43000000
	v_add_f32_e64 v4, |v0|, s14
; %bb.1048:
	s_or_b64 exec, exec, s[12:13]
                                        ; implicit-def: $vgpr5
.LBB25_1049:
	s_andn2_saveexec_b64 s[6:7], s[6:7]
; %bb.1050:
	s_mov_b32 s12, 0x7f800000
	v_mov_b32_e32 v4, 0x7c
	v_mov_b32_e32 v6, 0x7f
	v_cmp_lt_u32_e32 vcc, s12, v5
	v_cndmask_b32_e32 v4, v4, v6, vcc
; %bb.1051:
	s_or_b64 exec, exec, s[6:7]
	v_lshrrev_b32_e32 v0, 24, v0
	s_movk_i32 s6, 0x80
	v_and_or_b32 v0, v0, s6, v4
	global_store_byte v[1:2], v0, off
.LBB25_1052:
	s_mov_b64 s[6:7], 0
.LBB25_1053:
	s_andn2_b64 vcc, exec, s[6:7]
	s_mov_b64 s[6:7], 0
	s_cbranch_vccnz .LBB25_1061
; %bb.1054:
	s_cmp_gt_i32 s17, 14
	s_mov_b64 s[12:13], -1
	s_cbranch_scc0 .LBB25_1058
; %bb.1055:
	s_cmp_eq_u32 s17, 15
	s_mov_b64 s[0:1], -1
	s_cbranch_scc0 .LBB25_1057
; %bb.1056:
	v_cvt_f32_f16_e32 v0, v3
	s_movk_i32 s0, 0x7fff
	v_cmp_o_f16_e32 vcc, v3, v3
	v_mov_b32_e32 v4, 0x7fc0
	v_bfe_u32 v5, v0, 16, 1
	v_add3_u32 v0, v0, v5, s0
	v_cndmask_b32_sdwa v0, v4, v0, vcc dst_sel:DWORD dst_unused:UNUSED_PAD src0_sel:DWORD src1_sel:WORD_1
	global_store_short v[1:2], v0, off
	s_mov_b64 s[0:1], 0
.LBB25_1057:
	s_mov_b64 s[12:13], 0
.LBB25_1058:
	s_and_b64 vcc, exec, s[12:13]
	s_cbranch_vccz .LBB25_1061
; %bb.1059:
	s_cmp_lg_u32 s17, 11
	s_cselect_b64 s[12:13], -1, 0
	s_andn2_b64 s[0:1], s[0:1], exec
	s_and_b64 s[12:13], s[12:13], exec
	s_mov_b64 s[6:7], -1
	s_or_b64 s[0:1], s[0:1], s[12:13]
	s_branch .LBB25_1061
.LBB25_1060:
	s_mov_b64 s[6:7], 0
.LBB25_1061:
	s_andn2_b64 s[12:13], s[54:55], exec
	s_and_b64 s[0:1], s[0:1], exec
	s_and_b64 s[2:3], s[2:3], exec
	;; [unrolled: 1-line block ×3, first 2 shown]
	s_or_b64 s[54:55], s[12:13], s[0:1]
	s_or_b64 exec, exec, s[10:11]
	s_and_saveexec_b64 s[0:1], s[54:55]
	s_cbranch_execz .LBB25_1000
.LBB25_1062:
	s_or_b64 s[8:9], s[8:9], exec
	s_andn2_b64 s[6:7], s[6:7], exec
	s_trap 2
	s_or_b64 exec, exec, s[0:1]
	s_and_saveexec_b64 s[0:1], s[6:7]
	s_xor_b64 s[0:1], exec, s[0:1]
	s_cbranch_execnz .LBB25_1001
.LBB25_1063:
	s_or_b64 exec, exec, s[0:1]
	s_and_saveexec_b64 s[0:1], s[2:3]
	s_xor_b64 s[0:1], exec, s[0:1]
	s_cbranch_execz .LBB25_1101
.LBB25_1064:
	s_sext_i32_i16 s6, s16
	s_cmp_lt_i32 s6, 5
	s_mov_b64 s[2:3], -1
	s_cbranch_scc1 .LBB25_1085
; %bb.1065:
	s_cmp_lt_i32 s6, 8
	s_cbranch_scc1 .LBB25_1075
; %bb.1066:
	s_cmp_lt_i32 s6, 9
	s_cbranch_scc1 .LBB25_1072
; %bb.1067:
	s_cmp_gt_i32 s6, 9
	s_cbranch_scc0 .LBB25_1069
; %bb.1068:
	s_waitcnt vmcnt(0)
	v_cvt_f32_f16_e32 v0, v3
	v_mov_b32_e32 v6, 0
	v_mov_b32_e32 v7, v6
	s_mov_b64 s[2:3], 0
	v_cvt_f64_f32_e32 v[4:5], v0
	global_store_dwordx4 v[1:2], v[4:7], off
.LBB25_1069:
	s_andn2_b64 vcc, exec, s[2:3]
	s_cbranch_vccnz .LBB25_1071
; %bb.1070:
	s_waitcnt vmcnt(0)
	v_cvt_f32_f16_e32 v4, v3
	v_mov_b32_e32 v5, 0
	global_store_dwordx2 v[1:2], v[4:5], off
.LBB25_1071:
	s_mov_b64 s[2:3], 0
.LBB25_1072:
	s_andn2_b64 vcc, exec, s[2:3]
	s_cbranch_vccnz .LBB25_1074
; %bb.1073:
	s_waitcnt vmcnt(0)
	v_and_b32_e32 v0, 0xffff, v3
	global_store_dword v[1:2], v0, off
.LBB25_1074:
	s_mov_b64 s[2:3], 0
.LBB25_1075:
	s_andn2_b64 vcc, exec, s[2:3]
	s_cbranch_vccnz .LBB25_1084
; %bb.1076:
	s_sext_i32_i16 s6, s16
	s_cmp_lt_i32 s6, 6
	s_mov_b64 s[2:3], -1
	s_cbranch_scc1 .LBB25_1082
; %bb.1077:
	s_cmp_gt_i32 s6, 6
	s_cbranch_scc0 .LBB25_1079
; %bb.1078:
	s_waitcnt vmcnt(0)
	v_cvt_f32_f16_e32 v0, v3
	s_mov_b64 s[2:3], 0
	v_cvt_f64_f32_e32 v[4:5], v0
	global_store_dwordx2 v[1:2], v[4:5], off
.LBB25_1079:
	s_andn2_b64 vcc, exec, s[2:3]
	s_cbranch_vccnz .LBB25_1081
; %bb.1080:
	s_waitcnt vmcnt(0)
	v_cvt_f32_f16_e32 v0, v3
	global_store_dword v[1:2], v0, off
.LBB25_1081:
	s_mov_b64 s[2:3], 0
.LBB25_1082:
	s_andn2_b64 vcc, exec, s[2:3]
	s_cbranch_vccnz .LBB25_1084
; %bb.1083:
	s_waitcnt vmcnt(0)
	global_store_short v[1:2], v3, off
.LBB25_1084:
	s_mov_b64 s[2:3], 0
.LBB25_1085:
	s_andn2_b64 vcc, exec, s[2:3]
	s_cbranch_vccnz .LBB25_1101
; %bb.1086:
	s_sext_i32_i16 s6, s16
	s_cmp_lt_i32 s6, 2
	s_mov_b64 s[2:3], -1
	s_cbranch_scc1 .LBB25_1096
; %bb.1087:
	s_cmp_lt_i32 s6, 3
	s_cbranch_scc1 .LBB25_1093
; %bb.1088:
	s_cmp_gt_i32 s6, 3
	s_cbranch_scc0 .LBB25_1090
; %bb.1089:
	s_waitcnt vmcnt(0)
	v_cvt_f32_f16_e32 v0, v3
	s_mov_b64 s[2:3], 0
	v_cvt_i32_f32_e32 v4, v0
	v_ashrrev_i32_e32 v5, 31, v4
	global_store_dwordx2 v[1:2], v[4:5], off
.LBB25_1090:
	s_andn2_b64 vcc, exec, s[2:3]
	s_cbranch_vccnz .LBB25_1092
; %bb.1091:
	s_waitcnt vmcnt(0)
	v_cvt_f32_f16_e32 v0, v3
	v_cvt_i32_f32_e32 v0, v0
	global_store_dword v[1:2], v0, off
.LBB25_1092:
	s_mov_b64 s[2:3], 0
.LBB25_1093:
	s_andn2_b64 vcc, exec, s[2:3]
	s_cbranch_vccnz .LBB25_1095
; %bb.1094:
	s_waitcnt vmcnt(0)
	v_cvt_i16_f16_e32 v0, v3
	global_store_short v[1:2], v0, off
.LBB25_1095:
	s_mov_b64 s[2:3], 0
.LBB25_1096:
	s_andn2_b64 vcc, exec, s[2:3]
	s_cbranch_vccnz .LBB25_1101
; %bb.1097:
	s_sext_i32_i16 s2, s16
	s_cmp_gt_i32 s2, 0
	s_mov_b64 s[2:3], -1
	s_cbranch_scc0 .LBB25_1099
; %bb.1098:
	s_waitcnt vmcnt(0)
	v_cvt_i16_f16_e32 v0, v3
	s_mov_b64 s[2:3], 0
	global_store_byte v[1:2], v0, off
.LBB25_1099:
	s_andn2_b64 vcc, exec, s[2:3]
	s_cbranch_vccnz .LBB25_1101
; %bb.1100:
	s_waitcnt vmcnt(0)
	v_cvt_f32_f16_e32 v0, v3
	v_cvt_i32_f32_e32 v0, v0
	global_store_byte v[1:2], v0, off
.LBB25_1101:
	s_or_b64 exec, exec, s[0:1]
	s_and_b64 s[6:7], s[8:9], exec
                                        ; implicit-def: $vgpr15
                                        ; implicit-def: $vgpr8
.LBB25_1102:
	s_waitcnt lgkmcnt(0)
	s_or_saveexec_b64 s[28:29], s[44:45]
	s_mov_b64 s[0:1], 0
                                        ; implicit-def: $vgpr0_vgpr1
                                        ; implicit-def: $sgpr16
                                        ; implicit-def: $vgpr2
	s_xor_b64 exec, exec, s[28:29]
	s_cbranch_execz .LBB25_2122
; %bb.1103:
	v_cndmask_b32_e64 v0, 0, 1, s[42:43]
	v_cmp_ne_u32_e64 s[0:1], 1, v0
	s_andn2_b64 vcc, exec, s[42:43]
	s_cbranch_vccnz .LBB25_1109
; %bb.1104:
	s_cmp_lg_u32 s33, 0
	s_mov_b32 s36, 0
	s_cbranch_scc0 .LBB25_1110
; %bb.1105:
	s_min_u32 s37, s72, 15
	s_add_i32 s37, s37, 1
	s_cmp_eq_u32 s72, 2
	s_cbranch_scc1 .LBB25_1111
; %bb.1106:
	s_and_b32 s36, s37, 28
	s_add_u32 s2, s34, 0xc4
	s_addc_u32 s3, s35, 0
	v_mov_b32_e32 v13, 0
	s_mov_b32 s38, 0
	s_mov_b64 s[30:31], s[34:35]
	v_mov_b32_e32 v6, 0
	v_mov_b32_e32 v0, v8
.LBB25_1107:                            ; =>This Inner Loop Header: Depth=1
	s_load_dwordx8 s[16:23], s[30:31], 0x4
	s_load_dwordx4 s[24:27], s[30:31], 0x24
	s_load_dwordx8 s[8:15], s[2:3], 0x0
	s_add_u32 s30, s30, 48
	s_addc_u32 s31, s31, 0
	s_waitcnt lgkmcnt(0)
	v_mul_hi_u32 v1, s17, v0
	s_add_i32 s38, s38, 4
	s_add_u32 s2, s2, 32
	s_addc_u32 s3, s3, 0
	v_add_u32_e32 v1, v0, v1
	v_lshrrev_b32_e32 v1, s18, v1
	v_mul_lo_u32 v2, v1, s16
	s_waitcnt vmcnt(0)
	v_mul_hi_u32 v3, s20, v1
	s_cmp_lg_u32 s36, s38
	v_sub_u32_e32 v0, v0, v2
	v_add_u32_e32 v2, v1, v3
	v_mul_lo_u32 v3, v0, s8
	v_mul_lo_u32 v4, v0, s9
	v_lshrrev_b32_e32 v0, s21, v2
	v_mul_lo_u32 v2, v0, s19
	v_mul_hi_u32 v5, s23, v0
	v_sub_u32_e32 v1, v1, v2
	v_add_u32_e32 v2, v0, v5
	v_lshrrev_b32_e32 v2, s24, v2
	v_mul_hi_u32 v7, s26, v2
	v_mul_lo_u32 v9, v2, s22
	v_mul_lo_u32 v5, v1, s10
	;; [unrolled: 1-line block ×3, first 2 shown]
	v_sub_u32_e32 v9, v0, v9
	v_add_u32_e32 v0, v2, v7
	v_lshrrev_b32_e32 v0, s27, v0
	v_mul_lo_u32 v7, v0, s25
	v_mul_lo_u32 v10, v9, s12
	;; [unrolled: 1-line block ×3, first 2 shown]
	v_add3_u32 v3, v3, v6, v5
	v_sub_u32_e32 v2, v2, v7
	v_mul_lo_u32 v7, v2, s14
	v_mul_lo_u32 v2, v2, s15
	v_add3_u32 v1, v4, v13, v1
	v_add3_u32 v6, v10, v3, v7
	;; [unrolled: 1-line block ×3, first 2 shown]
	s_cbranch_scc1 .LBB25_1107
; %bb.1108:
	s_and_b32 s10, s37, 3
	s_cmp_eq_u32 s10, 0
	s_cbranch_scc0 .LBB25_1112
	s_branch .LBB25_1114
.LBB25_1109:
                                        ; implicit-def: $vgpr6
                                        ; implicit-def: $vgpr13
	s_branch .LBB25_1115
.LBB25_1110:
	v_mov_b32_e32 v6, 0
	v_mov_b32_e32 v13, 0
	s_branch .LBB25_1114
.LBB25_1111:
	v_mov_b32_e32 v6, 0
	v_mov_b32_e32 v13, 0
	;; [unrolled: 1-line block ×3, first 2 shown]
	s_and_b32 s10, s37, 3
	s_cmp_eq_u32 s10, 0
	s_cbranch_scc1 .LBB25_1114
.LBB25_1112:
	s_lshl_b32 s2, s36, 3
	s_add_u32 s2, s34, s2
	s_addc_u32 s3, s35, 0
	s_add_u32 s2, s2, 0xc4
	s_addc_u32 s3, s3, 0
	s_mul_i32 s8, s36, 12
	s_add_u32 s8, s34, s8
	s_addc_u32 s9, s35, 0
.LBB25_1113:                            ; =>This Inner Loop Header: Depth=1
	s_load_dwordx2 s[12:13], s[8:9], 0x4
	s_load_dword s11, s[8:9], 0xc
	s_load_dwordx2 s[14:15], s[2:3], 0x0
	s_add_u32 s8, s8, 12
	s_addc_u32 s9, s9, 0
	s_waitcnt lgkmcnt(0)
	v_mul_hi_u32 v1, s13, v0
	s_add_u32 s2, s2, 8
	s_addc_u32 s3, s3, 0
	s_add_i32 s10, s10, -1
	v_add_u32_e32 v1, v0, v1
	v_lshrrev_b32_e32 v1, s11, v1
	v_mul_lo_u32 v2, v1, s12
	s_cmp_lg_u32 s10, 0
	v_sub_u32_e32 v0, v0, v2
	v_mad_u64_u32 v[6:7], s[12:13], v0, s14, v[6:7]
	v_mad_u64_u32 v[13:14], s[12:13], v0, s15, v[13:14]
	v_mov_b32_e32 v0, v1
	s_cbranch_scc1 .LBB25_1113
.LBB25_1114:
	s_cbranch_execnz .LBB25_1117
.LBB25_1115:
	s_load_dwordx4 s[8:11], s[34:35], 0x4
	s_load_dwordx2 s[2:3], s[34:35], 0xc4
	s_cmp_lt_u32 s33, 2
	s_waitcnt lgkmcnt(0)
	v_mul_hi_u32 v0, s9, v8
	v_add_u32_e32 v0, v8, v0
	v_lshrrev_b32_e32 v0, s10, v0
	v_mul_lo_u32 v1, v0, s8
	v_sub_u32_e32 v1, v8, v1
	v_mul_lo_u32 v6, v1, s2
	v_mul_lo_u32 v13, v1, s3
	s_cbranch_scc1 .LBB25_1117
; %bb.1116:
	s_load_dwordx4 s[8:11], s[34:35], 0x10
	s_load_dwordx2 s[2:3], s[34:35], 0xcc
	s_waitcnt lgkmcnt(0)
	v_mul_hi_u32 v1, s9, v0
	v_add_u32_e32 v1, v0, v1
	v_lshrrev_b32_e32 v1, s10, v1
	v_mul_lo_u32 v1, v1, s8
	v_sub_u32_e32 v0, v0, v1
	v_mad_u64_u32 v[6:7], s[8:9], v0, s2, v[6:7]
	v_mad_u64_u32 v[13:14], s[2:3], v0, s3, v[13:14]
.LBB25_1117:
	s_and_b64 vcc, exec, s[0:1]
	v_add_u32_e32 v0, 0x80, v8
	s_cbranch_vccnz .LBB25_1123
; %bb.1118:
	s_cmp_lg_u32 s33, 0
	s_mov_b32 s36, 0
	s_cbranch_scc0 .LBB25_1124
; %bb.1119:
	s_min_u32 s37, s72, 15
	s_add_i32 s37, s37, 1
	s_cmp_eq_u32 s72, 2
	s_cbranch_scc1 .LBB25_1125
; %bb.1120:
	s_and_b32 s36, s37, 28
	s_add_u32 s2, s34, 0xc4
	s_addc_u32 s3, s35, 0
	v_mov_b32_e32 v11, 0
	s_mov_b32 s38, 0
	s_mov_b64 s[30:31], s[34:35]
	s_waitcnt vmcnt(0)
	v_mov_b32_e32 v4, 0
	v_mov_b32_e32 v1, v0
.LBB25_1121:                            ; =>This Inner Loop Header: Depth=1
	s_load_dwordx8 s[16:23], s[30:31], 0x4
	s_load_dwordx4 s[24:27], s[30:31], 0x24
	s_load_dwordx8 s[8:15], s[2:3], 0x0
	s_add_u32 s30, s30, 48
	s_addc_u32 s31, s31, 0
	s_waitcnt lgkmcnt(0)
	v_mul_hi_u32 v2, s17, v1
	s_add_i32 s38, s38, 4
	s_add_u32 s2, s2, 32
	s_addc_u32 s3, s3, 0
	v_add_u32_e32 v2, v1, v2
	v_lshrrev_b32_e32 v2, s18, v2
	v_mul_lo_u32 v3, v2, s16
	v_mul_hi_u32 v5, s20, v2
	s_cmp_lg_u32 s36, s38
	v_sub_u32_e32 v1, v1, v3
	v_add_u32_e32 v3, v2, v5
	v_mul_lo_u32 v5, v1, s8
	v_mul_lo_u32 v7, v1, s9
	v_lshrrev_b32_e32 v1, s21, v3
	v_mul_lo_u32 v3, v1, s19
	v_mul_hi_u32 v9, s23, v1
	v_sub_u32_e32 v2, v2, v3
	v_add_u32_e32 v3, v1, v9
	v_lshrrev_b32_e32 v3, s24, v3
	v_mul_hi_u32 v10, s26, v3
	v_mul_lo_u32 v12, v3, s22
	v_mul_lo_u32 v9, v2, s10
	;; [unrolled: 1-line block ×3, first 2 shown]
	v_sub_u32_e32 v12, v1, v12
	v_add_u32_e32 v1, v3, v10
	v_lshrrev_b32_e32 v1, s27, v1
	v_mul_lo_u32 v10, v1, s25
	v_mul_lo_u32 v14, v12, s12
	v_mul_lo_u32 v12, v12, s13
	v_add3_u32 v4, v5, v4, v9
	v_sub_u32_e32 v3, v3, v10
	v_mul_lo_u32 v10, v3, s14
	v_mul_lo_u32 v3, v3, s15
	v_add3_u32 v2, v7, v11, v2
	v_add3_u32 v4, v14, v4, v10
	;; [unrolled: 1-line block ×3, first 2 shown]
	s_cbranch_scc1 .LBB25_1121
; %bb.1122:
	s_and_b32 s10, s37, 3
	s_cmp_eq_u32 s10, 0
	s_cbranch_scc0 .LBB25_1126
	s_branch .LBB25_1128
.LBB25_1123:
                                        ; implicit-def: $vgpr4
                                        ; implicit-def: $vgpr11
	s_branch .LBB25_1129
.LBB25_1124:
	s_waitcnt vmcnt(0)
	v_mov_b32_e32 v4, 0
	v_mov_b32_e32 v11, 0
	s_branch .LBB25_1128
.LBB25_1125:
	s_waitcnt vmcnt(0)
	v_mov_b32_e32 v4, 0
	v_mov_b32_e32 v11, 0
	;; [unrolled: 1-line block ×3, first 2 shown]
	s_and_b32 s10, s37, 3
	s_cmp_eq_u32 s10, 0
	s_cbranch_scc1 .LBB25_1128
.LBB25_1126:
	s_lshl_b32 s2, s36, 3
	s_add_u32 s2, s34, s2
	s_addc_u32 s3, s35, 0
	s_add_u32 s2, s2, 0xc4
	s_addc_u32 s3, s3, 0
	s_mul_i32 s8, s36, 12
	s_add_u32 s8, s34, s8
	s_addc_u32 s9, s35, 0
.LBB25_1127:                            ; =>This Inner Loop Header: Depth=1
	s_load_dwordx2 s[12:13], s[8:9], 0x4
	s_load_dword s11, s[8:9], 0xc
	s_load_dwordx2 s[14:15], s[2:3], 0x0
	s_add_u32 s8, s8, 12
	s_addc_u32 s9, s9, 0
	s_waitcnt lgkmcnt(0)
	v_mul_hi_u32 v2, s13, v1
	s_add_u32 s2, s2, 8
	s_addc_u32 s3, s3, 0
	s_add_i32 s10, s10, -1
	v_add_u32_e32 v2, v1, v2
	v_lshrrev_b32_e32 v2, s11, v2
	v_mul_lo_u32 v3, v2, s12
	s_cmp_lg_u32 s10, 0
	v_sub_u32_e32 v1, v1, v3
	v_mad_u64_u32 v[4:5], s[12:13], v1, s14, v[4:5]
	v_mad_u64_u32 v[11:12], s[12:13], v1, s15, v[11:12]
	v_mov_b32_e32 v1, v2
	s_cbranch_scc1 .LBB25_1127
.LBB25_1128:
	s_cbranch_execnz .LBB25_1131
.LBB25_1129:
	s_load_dwordx4 s[8:11], s[34:35], 0x4
	s_load_dwordx2 s[2:3], s[34:35], 0xc4
	s_cmp_lt_u32 s33, 2
	s_waitcnt lgkmcnt(0)
	v_mul_hi_u32 v1, s9, v0
	v_add_u32_e32 v1, v0, v1
	v_lshrrev_b32_e32 v1, s10, v1
	v_mul_lo_u32 v2, v1, s8
	v_sub_u32_e32 v0, v0, v2
	s_waitcnt vmcnt(0)
	v_mul_lo_u32 v4, v0, s2
	v_mul_lo_u32 v11, v0, s3
	s_cbranch_scc1 .LBB25_1131
; %bb.1130:
	s_load_dwordx4 s[8:11], s[34:35], 0x10
	s_load_dwordx2 s[2:3], s[34:35], 0xcc
	s_waitcnt lgkmcnt(0)
	v_mul_hi_u32 v0, s9, v1
	v_add_u32_e32 v0, v1, v0
	v_lshrrev_b32_e32 v0, s10, v0
	v_mul_lo_u32 v0, v0, s8
	v_sub_u32_e32 v0, v1, v0
	v_mad_u64_u32 v[4:5], s[8:9], v0, s2, v[4:5]
	v_mad_u64_u32 v[11:12], s[2:3], v0, s3, v[11:12]
.LBB25_1131:
	s_and_b64 vcc, exec, s[0:1]
	v_add_u32_e32 v0, 0x100, v8
	s_cbranch_vccnz .LBB25_1137
; %bb.1132:
	s_cmp_lg_u32 s33, 0
	s_mov_b32 s36, 0
	s_cbranch_scc0 .LBB25_1138
; %bb.1133:
	s_min_u32 s37, s72, 15
	s_add_i32 s37, s37, 1
	s_cmp_eq_u32 s72, 2
	s_cbranch_scc1 .LBB25_1139
; %bb.1134:
	s_and_b32 s36, s37, 28
	s_add_u32 s2, s34, 0xc4
	s_addc_u32 s3, s35, 0
	v_mov_b32_e32 v9, 0
	s_mov_b32 s38, 0
	s_mov_b64 s[30:31], s[34:35]
	v_mov_b32_e32 v2, 0
	v_mov_b32_e32 v1, v0
.LBB25_1135:                            ; =>This Inner Loop Header: Depth=1
	s_load_dwordx8 s[16:23], s[30:31], 0x4
	s_load_dwordx4 s[24:27], s[30:31], 0x24
	s_load_dwordx8 s[8:15], s[2:3], 0x0
	s_add_u32 s30, s30, 48
	s_addc_u32 s31, s31, 0
	s_waitcnt vmcnt(0) lgkmcnt(0)
	v_mul_hi_u32 v3, s17, v1
	s_add_i32 s38, s38, 4
	s_add_u32 s2, s2, 32
	s_addc_u32 s3, s3, 0
	v_add_u32_e32 v3, v1, v3
	v_lshrrev_b32_e32 v3, s18, v3
	v_mul_lo_u32 v5, v3, s16
	v_mul_hi_u32 v7, s20, v3
	s_cmp_lg_u32 s36, s38
	v_sub_u32_e32 v1, v1, v5
	v_add_u32_e32 v5, v3, v7
	v_mul_lo_u32 v7, v1, s8
	v_mul_lo_u32 v8, v1, s9
	v_lshrrev_b32_e32 v1, s21, v5
	v_mul_lo_u32 v5, v1, s19
	v_mul_hi_u32 v10, s23, v1
	v_sub_u32_e32 v3, v3, v5
	v_add_u32_e32 v5, v1, v10
	v_lshrrev_b32_e32 v5, s24, v5
	v_mul_hi_u32 v12, s26, v5
	v_mul_lo_u32 v14, v5, s22
	v_mul_lo_u32 v10, v3, s10
	;; [unrolled: 1-line block ×3, first 2 shown]
	v_sub_u32_e32 v14, v1, v14
	v_add_u32_e32 v1, v5, v12
	v_lshrrev_b32_e32 v1, s27, v1
	v_mul_lo_u32 v12, v1, s25
	v_mul_lo_u32 v16, v14, s12
	v_mul_lo_u32 v14, v14, s13
	v_add3_u32 v2, v7, v2, v10
	v_sub_u32_e32 v5, v5, v12
	v_mul_lo_u32 v12, v5, s14
	v_mul_lo_u32 v5, v5, s15
	v_add3_u32 v3, v8, v9, v3
	v_add3_u32 v2, v16, v2, v12
	;; [unrolled: 1-line block ×3, first 2 shown]
	s_cbranch_scc1 .LBB25_1135
; %bb.1136:
	s_and_b32 s10, s37, 3
	s_cmp_eq_u32 s10, 0
	s_cbranch_scc0 .LBB25_1140
	s_branch .LBB25_1142
.LBB25_1137:
                                        ; implicit-def: $vgpr2
                                        ; implicit-def: $vgpr9
	s_branch .LBB25_1143
.LBB25_1138:
	v_mov_b32_e32 v2, 0
	v_mov_b32_e32 v9, 0
	s_branch .LBB25_1142
.LBB25_1139:
	v_mov_b32_e32 v2, 0
	v_mov_b32_e32 v9, 0
	;; [unrolled: 1-line block ×3, first 2 shown]
	s_and_b32 s10, s37, 3
	s_cmp_eq_u32 s10, 0
	s_cbranch_scc1 .LBB25_1142
.LBB25_1140:
	s_lshl_b32 s2, s36, 3
	s_add_u32 s2, s34, s2
	s_addc_u32 s3, s35, 0
	s_add_u32 s2, s2, 0xc4
	s_addc_u32 s3, s3, 0
	s_mul_i32 s8, s36, 12
	s_add_u32 s8, s34, s8
	s_addc_u32 s9, s35, 0
.LBB25_1141:                            ; =>This Inner Loop Header: Depth=1
	s_load_dwordx2 s[12:13], s[8:9], 0x4
	s_load_dword s11, s[8:9], 0xc
	s_load_dwordx2 s[14:15], s[2:3], 0x0
	s_add_u32 s8, s8, 12
	s_addc_u32 s9, s9, 0
	s_waitcnt vmcnt(0) lgkmcnt(0)
	v_mul_hi_u32 v3, s13, v1
	s_add_u32 s2, s2, 8
	s_addc_u32 s3, s3, 0
	s_add_i32 s10, s10, -1
	v_add_u32_e32 v3, v1, v3
	v_lshrrev_b32_e32 v5, s11, v3
	v_mul_lo_u32 v3, v5, s12
	s_cmp_lg_u32 s10, 0
	v_sub_u32_e32 v1, v1, v3
	v_mad_u64_u32 v[2:3], s[12:13], v1, s14, v[2:3]
	v_mad_u64_u32 v[9:10], s[12:13], v1, s15, v[9:10]
	v_mov_b32_e32 v1, v5
	s_cbranch_scc1 .LBB25_1141
.LBB25_1142:
	s_cbranch_execnz .LBB25_1145
.LBB25_1143:
	s_load_dwordx4 s[8:11], s[34:35], 0x4
	s_load_dwordx2 s[2:3], s[34:35], 0xc4
	s_cmp_lt_u32 s33, 2
	s_waitcnt lgkmcnt(0)
	v_mul_hi_u32 v1, s9, v0
	v_add_u32_e32 v1, v0, v1
	v_lshrrev_b32_e32 v1, s10, v1
	v_mul_lo_u32 v2, v1, s8
	v_sub_u32_e32 v0, v0, v2
	v_mul_lo_u32 v2, v0, s2
	v_mul_lo_u32 v9, v0, s3
	s_cbranch_scc1 .LBB25_1145
; %bb.1144:
	s_load_dwordx4 s[8:11], s[34:35], 0x10
	s_load_dwordx2 s[2:3], s[34:35], 0xcc
	s_waitcnt lgkmcnt(0)
	v_mul_hi_u32 v0, s9, v1
	v_add_u32_e32 v0, v1, v0
	v_lshrrev_b32_e32 v0, s10, v0
	v_mul_lo_u32 v0, v0, s8
	v_sub_u32_e32 v0, v1, v0
	s_waitcnt vmcnt(0)
	v_mad_u64_u32 v[2:3], s[8:9], v0, s2, v[2:3]
	v_mad_u64_u32 v[9:10], s[2:3], v0, s3, v[9:10]
.LBB25_1145:
	s_and_b64 vcc, exec, s[0:1]
	s_cbranch_vccnz .LBB25_1151
; %bb.1146:
	s_cmp_lg_u32 s33, 0
	s_mov_b32 s30, 0
	s_cbranch_scc0 .LBB25_1152
; %bb.1147:
	s_min_u32 s31, s72, 15
	s_add_i32 s31, s31, 1
	s_cmp_eq_u32 s72, 2
	s_cbranch_scc1 .LBB25_1153
; %bb.1148:
	s_and_b32 s30, s31, 28
	s_add_u32 s24, s34, 0xc4
	s_addc_u32 s25, s35, 0
	v_mov_b32_e32 v7, 0
	s_mov_b32 s36, 0
	s_mov_b64 s[26:27], s[34:35]
	v_mov_b32_e32 v0, 0
	v_mov_b32_e32 v1, v15
.LBB25_1149:                            ; =>This Inner Loop Header: Depth=1
	s_load_dwordx8 s[16:23], s[26:27], 0x4
	s_load_dwordx4 s[0:3], s[26:27], 0x24
	s_load_dwordx8 s[8:15], s[24:25], 0x0
	s_add_u32 s26, s26, 48
	s_addc_u32 s27, s27, 0
	s_waitcnt vmcnt(0) lgkmcnt(0)
	v_mul_hi_u32 v3, s17, v1
	s_add_i32 s36, s36, 4
	s_add_u32 s24, s24, 32
	s_addc_u32 s25, s25, 0
	v_add_u32_e32 v3, v1, v3
	v_lshrrev_b32_e32 v3, s18, v3
	v_mul_lo_u32 v5, v3, s16
	v_mul_hi_u32 v8, s20, v3
	s_cmp_lg_u32 s30, s36
	v_sub_u32_e32 v1, v1, v5
	v_add_u32_e32 v5, v3, v8
	v_mul_lo_u32 v8, v1, s8
	v_mul_lo_u32 v10, v1, s9
	v_lshrrev_b32_e32 v1, s21, v5
	v_mul_lo_u32 v5, v1, s19
	v_mul_hi_u32 v12, s23, v1
	v_sub_u32_e32 v3, v3, v5
	v_add_u32_e32 v5, v1, v12
	v_lshrrev_b32_e32 v5, s0, v5
	v_mul_hi_u32 v14, s2, v5
	v_mul_lo_u32 v16, v5, s22
	v_mul_lo_u32 v12, v3, s10
	;; [unrolled: 1-line block ×3, first 2 shown]
	v_sub_u32_e32 v16, v1, v16
	v_add_u32_e32 v1, v5, v14
	v_lshrrev_b32_e32 v1, s3, v1
	v_mul_lo_u32 v14, v1, s1
	v_mul_lo_u32 v17, v16, s12
	;; [unrolled: 1-line block ×3, first 2 shown]
	v_add3_u32 v0, v8, v0, v12
	v_sub_u32_e32 v5, v5, v14
	v_mul_lo_u32 v14, v5, s14
	v_mul_lo_u32 v5, v5, s15
	v_add3_u32 v3, v10, v7, v3
	v_add3_u32 v0, v17, v0, v14
	;; [unrolled: 1-line block ×3, first 2 shown]
	s_cbranch_scc1 .LBB25_1149
; %bb.1150:
	s_and_b32 s8, s31, 3
	s_cmp_eq_u32 s8, 0
	s_cbranch_scc0 .LBB25_1154
	s_branch .LBB25_1156
.LBB25_1151:
                                        ; implicit-def: $vgpr0
                                        ; implicit-def: $vgpr7
	s_branch .LBB25_1157
.LBB25_1152:
	v_mov_b32_e32 v0, 0
	v_mov_b32_e32 v7, 0
	s_branch .LBB25_1156
.LBB25_1153:
	v_mov_b32_e32 v0, 0
	v_mov_b32_e32 v7, 0
	;; [unrolled: 1-line block ×3, first 2 shown]
	s_and_b32 s8, s31, 3
	s_cmp_eq_u32 s8, 0
	s_cbranch_scc1 .LBB25_1156
.LBB25_1154:
	s_lshl_b32 s0, s30, 3
	s_add_u32 s0, s34, s0
	s_addc_u32 s1, s35, 0
	s_add_u32 s0, s0, 0xc4
	s_addc_u32 s1, s1, 0
	s_mul_i32 s2, s30, 12
	s_add_u32 s2, s34, s2
	s_addc_u32 s3, s35, 0
.LBB25_1155:                            ; =>This Inner Loop Header: Depth=1
	s_load_dwordx2 s[10:11], s[2:3], 0x4
	s_load_dword s9, s[2:3], 0xc
	s_load_dwordx2 s[12:13], s[0:1], 0x0
	s_add_u32 s2, s2, 12
	s_addc_u32 s3, s3, 0
	s_waitcnt vmcnt(0) lgkmcnt(0)
	v_mul_hi_u32 v3, s11, v1
	s_add_u32 s0, s0, 8
	s_addc_u32 s1, s1, 0
	s_add_i32 s8, s8, -1
	v_add_u32_e32 v3, v1, v3
	v_lshrrev_b32_e32 v3, s9, v3
	v_mul_lo_u32 v5, v3, s10
	s_cmp_lg_u32 s8, 0
	v_sub_u32_e32 v5, v1, v5
	v_mad_u64_u32 v[0:1], s[10:11], v5, s12, v[0:1]
	v_mad_u64_u32 v[7:8], s[10:11], v5, s13, v[7:8]
	v_mov_b32_e32 v1, v3
	s_cbranch_scc1 .LBB25_1155
.LBB25_1156:
	s_cbranch_execnz .LBB25_1159
.LBB25_1157:
	s_load_dwordx4 s[0:3], s[34:35], 0x4
	s_load_dwordx2 s[8:9], s[34:35], 0xc4
	s_cmp_lt_u32 s33, 2
	s_waitcnt lgkmcnt(0)
	v_mul_hi_u32 v0, s1, v15
	v_add_u32_e32 v0, v15, v0
	v_lshrrev_b32_e32 v1, s2, v0
	v_mul_lo_u32 v0, v1, s0
	s_waitcnt vmcnt(0)
	v_sub_u32_e32 v3, v15, v0
	v_mul_lo_u32 v0, v3, s8
	v_mul_lo_u32 v7, v3, s9
	s_cbranch_scc1 .LBB25_1159
; %bb.1158:
	s_load_dwordx4 s[0:3], s[34:35], 0x10
	s_load_dwordx2 s[8:9], s[34:35], 0xcc
	s_waitcnt lgkmcnt(0)
	v_mul_hi_u32 v3, s1, v1
	v_add_u32_e32 v3, v1, v3
	v_lshrrev_b32_e32 v3, s2, v3
	v_mul_lo_u32 v3, v3, s0
	v_sub_u32_e32 v3, v1, v3
	v_mad_u64_u32 v[0:1], s[0:1], v3, s8, v[0:1]
	v_mad_u64_u32 v[7:8], s[0:1], v3, s9, v[7:8]
.LBB25_1159:
	s_load_dwordx4 s[8:11], s[34:35], 0x148
	s_load_dword s18, s[4:5], 0x160
	s_waitcnt lgkmcnt(0)
	v_mov_b32_e32 v1, s11
	s_bfe_u32 s16, s18, 0x80010
	v_add_co_u32_e32 v12, vcc, s10, v13
	s_cmp_lt_i32 s16, 11
	v_addc_co_u32_e32 v13, vcc, 0, v1, vcc
	s_cbranch_scc1 .LBB25_1166
; %bb.1160:
	s_and_b32 s17, 0xffff, s16
	s_cmp_gt_i32 s17, 25
	s_mov_b64 s[2:3], 0
	s_cbranch_scc0 .LBB25_1168
; %bb.1161:
	s_cmp_gt_i32 s17, 28
	s_cbranch_scc0 .LBB25_1169
; %bb.1162:
	s_cmp_gt_i32 s17, 43
	s_cbranch_scc0 .LBB25_1170
; %bb.1163:
	s_cmp_gt_i32 s17, 45
	s_cbranch_scc0 .LBB25_1171
; %bb.1164:
	s_cmp_eq_u32 s17, 46
	s_mov_b64 s[12:13], 0
	s_cbranch_scc0 .LBB25_1174
; %bb.1165:
	global_load_dword v1, v[12:13], off
	s_mov_b64 s[0:1], 0
	s_mov_b64 s[4:5], -1
	s_waitcnt vmcnt(0)
	v_lshlrev_b32_e32 v1, 16, v1
	v_cvt_f16_f32_e32 v1, v1
	s_branch .LBB25_1175
.LBB25_1166:
	s_mov_b64 s[4:5], 0
                                        ; implicit-def: $vgpr1
	s_mov_b64 s[12:13], s[6:7]
	s_cbranch_execnz .LBB25_1238
.LBB25_1167:
	s_andn2_b64 vcc, exec, s[4:5]
	s_cbranch_vccz .LBB25_1283
	s_branch .LBB25_2120
.LBB25_1168:
	s_mov_b64 s[4:5], 0
	s_mov_b64 s[0:1], 0
                                        ; implicit-def: $vgpr1
	s_cbranch_execnz .LBB25_1203
	s_branch .LBB25_1234
.LBB25_1169:
	s_mov_b64 s[12:13], -1
	s_mov_b64 s[4:5], 0
	s_mov_b64 s[0:1], 0
                                        ; implicit-def: $vgpr1
	s_branch .LBB25_1184
.LBB25_1170:
	s_mov_b64 s[4:5], 0
	s_mov_b64 s[0:1], 0
                                        ; implicit-def: $vgpr1
	s_cbranch_execnz .LBB25_1180
	s_branch .LBB25_1183
.LBB25_1171:
	s_mov_b64 s[12:13], -1
	s_mov_b64 s[4:5], 0
	s_mov_b64 s[0:1], 0
                                        ; implicit-def: $vgpr1
	s_branch .LBB25_1175
.LBB25_1172:
	s_andn2_saveexec_b64 s[12:13], s[12:13]
	s_cbranch_execz .LBB25_1015
.LBB25_1173:
	s_mov_b32 s14, 0x46000000
	v_add_f32_e64 v4, |v0|, s14
	v_and_b32_e32 v4, 0xff, v4
	v_cmp_ne_u32_e32 vcc, 0, v4
	s_andn2_b64 s[6:7], s[6:7], exec
	s_and_b64 s[14:15], vcc, exec
	s_or_b64 s[6:7], s[6:7], s[14:15]
	s_or_b64 exec, exec, s[12:13]
	v_mov_b32_e32 v5, 0
	s_and_saveexec_b64 s[12:13], s[6:7]
	s_cbranch_execnz .LBB25_1016
	s_branch .LBB25_1017
.LBB25_1174:
	s_mov_b64 s[0:1], -1
                                        ; implicit-def: $vgpr1
	s_mov_b64 s[4:5], 0
.LBB25_1175:
	s_and_b64 vcc, exec, s[12:13]
	s_cbranch_vccz .LBB25_1178
; %bb.1176:
	s_cmp_eq_u32 s17, 44
	s_cbranch_scc0 .LBB25_1179
; %bb.1177:
	global_load_ubyte v1, v[12:13], off
	s_movk_i32 s4, 0xff
	v_mov_b32_e32 v5, 0x7e00
	s_mov_b64 s[0:1], 0
	s_waitcnt vmcnt(0)
	v_lshlrev_b32_e32 v3, 23, v1
	v_cvt_f16_f32_e32 v3, v3
	v_cmp_ne_u32_e32 vcc, s4, v1
	s_mov_b64 s[4:5], -1
	v_cndmask_b32_e32 v3, v5, v3, vcc
	v_cmp_ne_u32_e32 vcc, 0, v1
	v_cndmask_b32_e32 v1, 0, v3, vcc
.LBB25_1178:
	s_branch .LBB25_1183
.LBB25_1179:
	s_mov_b64 s[0:1], -1
                                        ; implicit-def: $vgpr1
	s_branch .LBB25_1183
.LBB25_1180:
	s_cmp_eq_u32 s17, 29
	s_cbranch_scc0 .LBB25_1182
; %bb.1181:
	global_load_dwordx2 v[14:15], v[12:13], off
	s_mov_b64 s[0:1], 0
	s_mov_b64 s[4:5], -1
	s_mov_b64 s[12:13], 0
	s_waitcnt vmcnt(0)
	v_ffbh_u32_e32 v1, v15
	v_min_u32_e32 v1, 32, v1
	v_lshlrev_b64 v[14:15], v1, v[14:15]
	v_sub_u32_e32 v1, 32, v1
	v_min_u32_e32 v3, 1, v14
	v_or_b32_e32 v3, v15, v3
	v_cvt_f32_u32_e32 v3, v3
	v_ldexp_f32 v1, v3, v1
	v_cvt_f16_f32_e32 v1, v1
	s_branch .LBB25_1184
.LBB25_1182:
	s_mov_b64 s[0:1], -1
                                        ; implicit-def: $vgpr1
.LBB25_1183:
	s_mov_b64 s[12:13], 0
.LBB25_1184:
	s_and_b64 vcc, exec, s[12:13]
	s_cbranch_vccz .LBB25_1202
; %bb.1185:
	s_cmp_lt_i32 s17, 27
	s_cbranch_scc1 .LBB25_1188
; %bb.1186:
	s_cmp_gt_i32 s17, 27
	s_cbranch_scc0 .LBB25_1189
; %bb.1187:
	global_load_dword v1, v[12:13], off
	s_mov_b64 s[4:5], 0
	s_waitcnt vmcnt(0)
	v_cvt_f32_u32_e32 v1, v1
	v_cvt_f16_f32_e32 v1, v1
	s_branch .LBB25_1190
.LBB25_1188:
	s_mov_b64 s[4:5], -1
                                        ; implicit-def: $vgpr1
	s_branch .LBB25_1193
.LBB25_1189:
	s_mov_b64 s[4:5], -1
                                        ; implicit-def: $vgpr1
.LBB25_1190:
	s_andn2_b64 vcc, exec, s[4:5]
	s_cbranch_vccnz .LBB25_1192
; %bb.1191:
	global_load_ushort v1, v[12:13], off
	s_waitcnt vmcnt(0)
	v_cvt_f16_u16_e32 v1, v1
.LBB25_1192:
	s_mov_b64 s[4:5], 0
.LBB25_1193:
	s_andn2_b64 vcc, exec, s[4:5]
	s_cbranch_vccnz .LBB25_1201
; %bb.1194:
	global_load_ubyte v3, v[12:13], off
	s_movk_i32 s4, 0x7f
	s_waitcnt vmcnt(0)
	v_cmp_lt_i16_e32 vcc, s4, v3
	s_mov_b64 s[4:5], 0
	s_and_saveexec_b64 s[12:13], vcc
	s_xor_b64 s[12:13], exec, s[12:13]
	s_cbranch_execz .LBB25_1214
; %bb.1195:
	s_movk_i32 s4, 0x80
	v_cmp_eq_u16_e32 vcc, s4, v3
	s_mov_b64 s[4:5], -1
	s_and_saveexec_b64 s[14:15], vcc
; %bb.1196:
	s_xor_b64 s[4:5], exec, -1
; %bb.1197:
	s_or_b64 exec, exec, s[14:15]
	s_and_b64 s[4:5], s[4:5], exec
	s_or_saveexec_b64 s[12:13], s[12:13]
	v_mov_b32_e32 v1, 0x7e00
	s_xor_b64 exec, exec, s[12:13]
	s_cbranch_execnz .LBB25_1215
.LBB25_1198:
	s_or_b64 exec, exec, s[12:13]
	s_and_saveexec_b64 s[12:13], s[4:5]
	s_cbranch_execz .LBB25_1200
.LBB25_1199:
	v_lshlrev_b32_e32 v1, 24, v3
	v_and_b32_e32 v3, 0xffff, v3
	v_and_b32_e32 v5, 7, v3
	v_ffbh_u32_e32 v10, v5
	v_min_u32_e32 v10, 32, v10
	v_subrev_u32_e32 v14, 28, v10
	v_bfe_u32 v8, v3, 3, 4
	v_lshlrev_b32_e32 v3, v14, v3
	v_sub_u32_e32 v10, 29, v10
	v_and_b32_e32 v3, 7, v3
	v_cmp_eq_u32_e32 vcc, 0, v8
	v_cndmask_b32_e32 v8, v8, v10, vcc
	v_cndmask_b32_e32 v3, v5, v3, vcc
	v_mov_b32_e32 v5, 0x3b800000
	v_lshlrev_b32_e32 v3, 20, v3
	v_and_b32_e32 v1, 0x80000000, v1
	v_lshl_add_u32 v5, v8, 23, v5
	v_or3_b32 v1, v1, v5, v3
	v_cvt_f16_f32_e32 v1, v1
.LBB25_1200:
	s_or_b64 exec, exec, s[12:13]
.LBB25_1201:
	s_mov_b64 s[4:5], -1
.LBB25_1202:
	s_branch .LBB25_1234
.LBB25_1203:
	s_cmp_gt_i32 s17, 22
	s_cbranch_scc0 .LBB25_1213
; %bb.1204:
	s_cmp_lt_i32 s17, 24
	s_cbranch_scc1 .LBB25_1216
; %bb.1205:
	s_cmp_gt_i32 s17, 24
	s_cbranch_scc0 .LBB25_1217
; %bb.1206:
	global_load_ubyte v3, v[12:13], off
	s_movk_i32 s2, 0x7f
	s_waitcnt vmcnt(0)
	v_cmp_lt_i16_e32 vcc, s2, v3
	s_mov_b64 s[2:3], 0
	s_and_saveexec_b64 s[4:5], vcc
	s_xor_b64 s[4:5], exec, s[4:5]
	s_cbranch_execz .LBB25_1228
; %bb.1207:
	s_movk_i32 s2, 0x80
	v_cmp_eq_u16_e32 vcc, s2, v3
	s_mov_b64 s[2:3], -1
	s_and_saveexec_b64 s[12:13], vcc
; %bb.1208:
	s_xor_b64 s[2:3], exec, -1
; %bb.1209:
	s_or_b64 exec, exec, s[12:13]
	s_and_b64 s[2:3], s[2:3], exec
	s_or_saveexec_b64 s[4:5], s[4:5]
	v_mov_b32_e32 v1, 0x7e00
	s_xor_b64 exec, exec, s[4:5]
	s_cbranch_execnz .LBB25_1229
.LBB25_1210:
	s_or_b64 exec, exec, s[4:5]
	s_and_saveexec_b64 s[4:5], s[2:3]
	s_cbranch_execz .LBB25_1212
.LBB25_1211:
	v_lshlrev_b32_e32 v1, 24, v3
	v_and_b32_e32 v3, 0xffff, v3
	v_and_b32_e32 v5, 3, v3
	v_ffbh_u32_e32 v10, v5
	v_min_u32_e32 v10, 32, v10
	v_subrev_u32_e32 v14, 29, v10
	v_bfe_u32 v8, v3, 2, 5
	v_lshlrev_b32_e32 v3, v14, v3
	v_sub_u32_e32 v10, 30, v10
	v_and_b32_e32 v3, 3, v3
	v_cmp_eq_u32_e32 vcc, 0, v8
	v_cndmask_b32_e32 v8, v8, v10, vcc
	v_cndmask_b32_e32 v3, v5, v3, vcc
	v_mov_b32_e32 v5, 0x37800000
	v_lshlrev_b32_e32 v3, 21, v3
	v_and_b32_e32 v1, 0x80000000, v1
	v_lshl_add_u32 v5, v8, 23, v5
	v_or3_b32 v1, v1, v5, v3
	v_cvt_f16_f32_e32 v1, v1
.LBB25_1212:
	s_or_b64 exec, exec, s[4:5]
	s_mov_b64 s[2:3], 0
	s_branch .LBB25_1218
.LBB25_1213:
                                        ; implicit-def: $vgpr1
	s_mov_b64 s[2:3], 0
	s_branch .LBB25_1224
.LBB25_1214:
	s_or_saveexec_b64 s[12:13], s[12:13]
	v_mov_b32_e32 v1, 0x7e00
	s_xor_b64 exec, exec, s[12:13]
	s_cbranch_execz .LBB25_1198
.LBB25_1215:
	v_cmp_ne_u16_e32 vcc, 0, v3
	s_andn2_b64 s[4:5], s[4:5], exec
	s_and_b64 s[14:15], vcc, exec
	s_or_b64 s[4:5], s[4:5], s[14:15]
	v_mov_b32_e32 v1, v3
	s_or_b64 exec, exec, s[12:13]
	s_and_saveexec_b64 s[12:13], s[4:5]
	s_cbranch_execnz .LBB25_1199
	s_branch .LBB25_1200
.LBB25_1216:
	s_mov_b64 s[2:3], -1
                                        ; implicit-def: $vgpr1
	s_branch .LBB25_1221
.LBB25_1217:
	s_mov_b64 s[2:3], -1
                                        ; implicit-def: $vgpr1
.LBB25_1218:
	s_and_b64 vcc, exec, s[2:3]
	s_cbranch_vccz .LBB25_1220
; %bb.1219:
	global_load_ubyte v1, v[12:13], off
	s_mov_b32 s2, 0x7f800000
	s_waitcnt vmcnt(0)
	v_lshlrev_b32_e32 v1, 24, v1
	v_and_b32_e32 v3, 0x7f000000, v1
	v_ffbh_u32_e32 v5, v3
	v_min_u32_e32 v5, 32, v5
	v_sub_u32_e64 v5, v5, 4 clamp
	v_lshlrev_b32_e32 v10, v5, v3
	v_lshlrev_b32_e32 v5, 23, v5
	v_lshrrev_b32_e32 v10, 4, v10
	v_add_u32_e32 v8, 0x1000000, v3
	v_sub_u32_e32 v5, v10, v5
	v_ashrrev_i32_e32 v8, 8, v8
	v_add_u32_e32 v5, 0x3c000000, v5
	v_and_or_b32 v5, v8, s2, v5
	v_cmp_ne_u32_e32 vcc, 0, v3
	v_cndmask_b32_e32 v3, 0, v5, vcc
	s_brev_b32 s2, 1
	v_and_or_b32 v1, v1, s2, v3
	v_cvt_f16_f32_e32 v1, v1
.LBB25_1220:
	s_mov_b64 s[2:3], 0
.LBB25_1221:
	s_andn2_b64 vcc, exec, s[2:3]
	s_cbranch_vccnz .LBB25_1223
; %bb.1222:
	global_load_ubyte v1, v[12:13], off
	s_movk_i32 s2, 0x7f00
	s_brev_b32 s3, 16
	s_waitcnt vmcnt(0)
	v_lshlrev_b16_e32 v3, 8, v1
	v_lshlrev_b32_e32 v1, 25, v1
	v_lshrrev_b32_e32 v5, 4, v1
	v_and_or_b32 v8, v3, s2, 0.5
	v_or_b32_e32 v5, 0x70000000, v5
	v_add_f32_e32 v8, -0.5, v8
	v_mul_f32_e32 v5, 0x7800000, v5
	v_cmp_gt_u32_e32 vcc, s3, v1
	v_bfe_i32 v3, v3, 0, 16
	v_cndmask_b32_e32 v1, v5, v8, vcc
	s_brev_b32 s2, 1
	v_and_or_b32 v1, v3, s2, v1
	v_cvt_f16_f32_e32 v1, v1
.LBB25_1223:
	s_mov_b64 s[4:5], -1
	s_mov_b64 s[2:3], 0
	s_cbranch_execnz .LBB25_1234
.LBB25_1224:
	s_cmp_gt_i32 s17, 14
	s_cbranch_scc0 .LBB25_1227
; %bb.1225:
	s_cmp_eq_u32 s17, 15
	s_cbranch_scc0 .LBB25_1230
; %bb.1226:
	global_load_ushort v1, v[12:13], off
	s_mov_b64 s[0:1], 0
	s_mov_b64 s[4:5], -1
	s_waitcnt vmcnt(0)
	v_lshlrev_b32_e32 v1, 16, v1
	v_cvt_f16_f32_e32 v1, v1
	s_branch .LBB25_1231
.LBB25_1227:
	s_mov_b64 s[12:13], -1
                                        ; implicit-def: $vgpr1
	s_branch .LBB25_1232
.LBB25_1228:
	s_or_saveexec_b64 s[4:5], s[4:5]
	v_mov_b32_e32 v1, 0x7e00
	s_xor_b64 exec, exec, s[4:5]
	s_cbranch_execz .LBB25_1210
.LBB25_1229:
	v_cmp_ne_u16_e32 vcc, 0, v3
	s_andn2_b64 s[2:3], s[2:3], exec
	s_and_b64 s[12:13], vcc, exec
	s_or_b64 s[2:3], s[2:3], s[12:13]
	v_mov_b32_e32 v1, v3
	s_or_b64 exec, exec, s[4:5]
	s_and_saveexec_b64 s[4:5], s[2:3]
	s_cbranch_execnz .LBB25_1211
	s_branch .LBB25_1212
.LBB25_1230:
	s_mov_b64 s[0:1], -1
                                        ; implicit-def: $vgpr1
.LBB25_1231:
	s_mov_b64 s[12:13], 0
.LBB25_1232:
	s_and_b64 vcc, exec, s[12:13]
	s_cbranch_vccz .LBB25_1234
; %bb.1233:
	s_cmp_lg_u32 s17, 11
	s_mov_b64 s[2:3], -1
	s_cselect_b64 s[0:1], -1, 0
.LBB25_1234:
	s_and_b64 vcc, exec, s[0:1]
	s_mov_b64 s[12:13], s[6:7]
	s_cbranch_vccnz .LBB25_1299
; %bb.1235:
	s_andn2_b64 vcc, exec, s[2:3]
	s_cbranch_vccnz .LBB25_1237
.LBB25_1236:
	global_load_ubyte v1, v[12:13], off
	s_waitcnt vmcnt(1)
	v_mov_b32_e32 v3, 0x3c00
	s_mov_b64 s[4:5], -1
	s_waitcnt vmcnt(0)
	v_cmp_ne_u16_e32 vcc, 0, v1
	v_cndmask_b32_e32 v1, 0, v3, vcc
.LBB25_1237:
	s_branch .LBB25_1167
.LBB25_1238:
	s_and_b32 s2, 0xffff, s16
	s_cmp_lt_i32 s2, 5
	s_cbranch_scc1 .LBB25_1243
; %bb.1239:
	s_cmp_lt_i32 s2, 8
	s_cbranch_scc1 .LBB25_1244
; %bb.1240:
	;; [unrolled: 3-line block ×3, first 2 shown]
	s_cmp_gt_i32 s2, 9
	s_cbranch_scc0 .LBB25_1246
; %bb.1242:
	global_load_dwordx2 v[14:15], v[12:13], off
	s_movk_i32 s0, 0x1ff
	s_movk_i32 s1, 0xffe
	v_mov_b32_e32 v1, 0x7c00
	s_waitcnt vmcnt(1)
	v_mov_b32_e32 v3, 0x7e00
	s_movk_i32 s3, 0x40f
	s_mov_b32 s4, 0x8000
	s_waitcnt vmcnt(0)
	v_and_or_b32 v5, v15, s0, v14
	v_cmp_ne_u32_e32 vcc, 0, v5
	v_lshrrev_b32_e32 v8, 8, v15
	v_bfe_u32 v10, v15, 20, 11
	v_cndmask_b32_e64 v5, 0, 1, vcc
	v_lshrrev_b32_e32 v14, 16, v15
	v_sub_u32_e32 v15, 0x3f1, v10
	v_and_or_b32 v5, v8, s1, v5
	v_add_u32_e32 v10, 0xfffffc10, v10
	v_med3_i32 v8, v15, 0, 13
	v_or_b32_e32 v15, 0x1000, v5
	v_lshl_or_b32 v16, v10, 12, v5
	v_cmp_ne_u32_e32 vcc, 0, v5
	v_lshrrev_b32_e32 v5, v8, v15
	v_lshlrev_b32_e32 v8, v8, v5
	v_cndmask_b32_e32 v3, v1, v3, vcc
	v_cmp_ne_u32_e32 vcc, v8, v15
	v_cndmask_b32_e64 v8, 0, 1, vcc
	v_or_b32_e32 v5, v5, v8
	v_cmp_gt_i32_e32 vcc, 1, v10
	v_cndmask_b32_e32 v5, v16, v5, vcc
	v_and_b32_e32 v8, 7, v5
	v_cmp_lt_i32_e32 vcc, 5, v8
	v_cndmask_b32_e64 v15, 0, 1, vcc
	v_cmp_eq_u32_e32 vcc, 3, v8
	v_cndmask_b32_e64 v8, 0, 1, vcc
	v_lshrrev_b32_e32 v5, 2, v5
	v_or_b32_e32 v8, v8, v15
	v_add_u32_e32 v5, v5, v8
	v_cmp_gt_i32_e32 vcc, 31, v10
	v_cndmask_b32_e32 v1, v1, v5, vcc
	v_cmp_eq_u32_e32 vcc, s3, v10
	v_cndmask_b32_e32 v1, v1, v3, vcc
	v_and_or_b32 v1, v14, s4, v1
	s_mov_b64 s[0:1], 0
	s_branch .LBB25_1247
.LBB25_1243:
                                        ; implicit-def: $vgpr1
	s_branch .LBB25_1264
.LBB25_1244:
                                        ; implicit-def: $vgpr1
	s_branch .LBB25_1253
.LBB25_1245:
	s_mov_b64 s[0:1], -1
                                        ; implicit-def: $vgpr1
	s_branch .LBB25_1250
.LBB25_1246:
	s_mov_b64 s[0:1], -1
                                        ; implicit-def: $vgpr1
.LBB25_1247:
	s_andn2_b64 vcc, exec, s[0:1]
	s_cbranch_vccnz .LBB25_1249
; %bb.1248:
	global_load_dword v1, v[12:13], off
	s_waitcnt vmcnt(0)
	v_cvt_f16_f32_e32 v1, v1
.LBB25_1249:
	s_mov_b64 s[0:1], 0
.LBB25_1250:
	s_andn2_b64 vcc, exec, s[0:1]
	s_cbranch_vccnz .LBB25_1252
; %bb.1251:
	global_load_dword v1, v[12:13], off
.LBB25_1252:
	s_cbranch_execnz .LBB25_1263
.LBB25_1253:
	s_cmp_lt_i32 s2, 6
	s_cbranch_scc1 .LBB25_1256
; %bb.1254:
	s_cmp_gt_i32 s2, 6
	s_cbranch_scc0 .LBB25_1257
; %bb.1255:
	global_load_dwordx2 v[14:15], v[12:13], off
	s_movk_i32 s0, 0x1ff
	s_movk_i32 s1, 0xffe
	s_waitcnt vmcnt(1)
	v_mov_b32_e32 v1, 0x7c00
	v_mov_b32_e32 v3, 0x7e00
	s_movk_i32 s3, 0x40f
	s_mov_b32 s4, 0x8000
	s_waitcnt vmcnt(0)
	v_and_or_b32 v5, v15, s0, v14
	v_cmp_ne_u32_e32 vcc, 0, v5
	v_lshrrev_b32_e32 v8, 8, v15
	v_bfe_u32 v10, v15, 20, 11
	v_cndmask_b32_e64 v5, 0, 1, vcc
	v_lshrrev_b32_e32 v14, 16, v15
	v_sub_u32_e32 v15, 0x3f1, v10
	v_and_or_b32 v5, v8, s1, v5
	v_add_u32_e32 v10, 0xfffffc10, v10
	v_med3_i32 v8, v15, 0, 13
	v_or_b32_e32 v15, 0x1000, v5
	v_lshl_or_b32 v16, v10, 12, v5
	v_cmp_ne_u32_e32 vcc, 0, v5
	v_lshrrev_b32_e32 v5, v8, v15
	v_lshlrev_b32_e32 v8, v8, v5
	v_cndmask_b32_e32 v3, v1, v3, vcc
	v_cmp_ne_u32_e32 vcc, v8, v15
	v_cndmask_b32_e64 v8, 0, 1, vcc
	v_or_b32_e32 v5, v5, v8
	v_cmp_gt_i32_e32 vcc, 1, v10
	v_cndmask_b32_e32 v5, v16, v5, vcc
	v_and_b32_e32 v8, 7, v5
	v_cmp_lt_i32_e32 vcc, 5, v8
	v_cndmask_b32_e64 v15, 0, 1, vcc
	v_cmp_eq_u32_e32 vcc, 3, v8
	v_cndmask_b32_e64 v8, 0, 1, vcc
	v_lshrrev_b32_e32 v5, 2, v5
	v_or_b32_e32 v8, v8, v15
	v_add_u32_e32 v5, v5, v8
	v_cmp_gt_i32_e32 vcc, 31, v10
	v_cndmask_b32_e32 v1, v1, v5, vcc
	v_cmp_eq_u32_e32 vcc, s3, v10
	v_cndmask_b32_e32 v1, v1, v3, vcc
	v_and_or_b32 v1, v14, s4, v1
	s_mov_b64 s[0:1], 0
	s_branch .LBB25_1258
.LBB25_1256:
	s_mov_b64 s[0:1], -1
                                        ; implicit-def: $vgpr1
	s_branch .LBB25_1261
.LBB25_1257:
	s_mov_b64 s[0:1], -1
                                        ; implicit-def: $vgpr1
.LBB25_1258:
	s_andn2_b64 vcc, exec, s[0:1]
	s_cbranch_vccnz .LBB25_1260
; %bb.1259:
	global_load_dword v1, v[12:13], off
	s_waitcnt vmcnt(0)
	v_cvt_f16_f32_e32 v1, v1
.LBB25_1260:
	s_mov_b64 s[0:1], 0
.LBB25_1261:
	s_andn2_b64 vcc, exec, s[0:1]
	s_cbranch_vccnz .LBB25_1263
; %bb.1262:
	global_load_ushort v1, v[12:13], off
.LBB25_1263:
	s_cbranch_execnz .LBB25_1282
.LBB25_1264:
	s_cmp_lt_i32 s2, 2
	s_cbranch_scc1 .LBB25_1268
; %bb.1265:
	s_cmp_lt_i32 s2, 3
	s_cbranch_scc1 .LBB25_1269
; %bb.1266:
	s_cmp_gt_i32 s2, 3
	s_cbranch_scc0 .LBB25_1270
; %bb.1267:
	global_load_dwordx2 v[14:15], v[12:13], off
	s_mov_b64 s[0:1], 0
	s_waitcnt vmcnt(0)
	v_xor_b32_e32 v3, v14, v15
	v_ffbh_i32_e32 v1, v15
	v_ashrrev_i32_e32 v3, 31, v3
	v_add_u32_e32 v1, -1, v1
	v_add_u32_e32 v3, 32, v3
	v_min_u32_e32 v1, v1, v3
	v_lshlrev_b64 v[14:15], v1, v[14:15]
	v_sub_u32_e32 v1, 32, v1
	v_min_u32_e32 v3, 1, v14
	v_or_b32_e32 v3, v15, v3
	v_cvt_f32_i32_e32 v3, v3
	v_ldexp_f32 v1, v3, v1
	v_cvt_f16_f32_e32 v1, v1
	s_branch .LBB25_1271
.LBB25_1268:
                                        ; implicit-def: $vgpr1
	s_branch .LBB25_1277
.LBB25_1269:
	s_mov_b64 s[0:1], -1
                                        ; implicit-def: $vgpr1
	s_branch .LBB25_1274
.LBB25_1270:
	s_mov_b64 s[0:1], -1
                                        ; implicit-def: $vgpr1
.LBB25_1271:
	s_andn2_b64 vcc, exec, s[0:1]
	s_cbranch_vccnz .LBB25_1273
; %bb.1272:
	global_load_dword v1, v[12:13], off
	s_waitcnt vmcnt(0)
	v_cvt_f32_i32_e32 v1, v1
	v_cvt_f16_f32_e32 v1, v1
.LBB25_1273:
	s_mov_b64 s[0:1], 0
.LBB25_1274:
	s_andn2_b64 vcc, exec, s[0:1]
	s_cbranch_vccnz .LBB25_1276
; %bb.1275:
	global_load_ushort v1, v[12:13], off
	s_waitcnt vmcnt(0)
	v_cvt_f16_i16_e32 v1, v1
.LBB25_1276:
	s_cbranch_execnz .LBB25_1282
.LBB25_1277:
	s_cmp_gt_i32 s2, 0
	s_cbranch_scc0 .LBB25_1279
; %bb.1278:
	global_load_sbyte v1, v[12:13], off
	s_mov_b64 s[0:1], 0
	s_waitcnt vmcnt(0)
	v_cvt_f16_i16_e32 v1, v1
	s_branch .LBB25_1280
.LBB25_1279:
	s_mov_b64 s[0:1], -1
                                        ; implicit-def: $vgpr1
.LBB25_1280:
	s_andn2_b64 vcc, exec, s[0:1]
	s_cbranch_vccnz .LBB25_1282
; %bb.1281:
	global_load_ubyte v1, v[12:13], off
	s_waitcnt vmcnt(0)
	v_cvt_f16_u16_e32 v1, v1
.LBB25_1282:
.LBB25_1283:
	s_waitcnt vmcnt(0)
	v_cvt_f32_f16_e32 v1, v1
	s_brev_b32 s0, 18
                                        ; implicit-def: $vgpr5
                                        ; implicit-def: $vgpr12
	v_and_b32_e32 v3, 0x7fffffff, v1
	v_cmp_nlt_f32_e64 s[0:1], |v1|, s0
	s_and_saveexec_b64 s[2:3], s[0:1]
	s_xor_b64 s[14:15], exec, s[2:3]
	s_cbranch_execz .LBB25_1285
; %bb.1284:
	v_and_b32_e32 v5, 0x7fffff, v3
	v_or_b32_e32 v5, 0x800000, v5
	s_mov_b32 s0, 0xfe5163ab
	v_mad_u64_u32 v[12:13], s[0:1], v5, s0, 0
	v_mov_b32_e32 v14, 0
	s_mov_b32 s0, 0x3c439041
	v_mad_u64_u32 v[15:16], s[0:1], v5, s0, v[13:14]
	s_mov_b32 s0, 0xdb629599
	v_lshrrev_b32_e32 v8, 23, v3
	v_mov_b32_e32 v13, v16
	v_mad_u64_u32 v[16:17], s[0:1], v5, s0, v[13:14]
	s_mov_b32 s0, 0xf534ddc0
	v_add_u32_e32 v8, 0xffffff88, v8
	v_mov_b32_e32 v13, v17
	v_mad_u64_u32 v[17:18], s[0:1], v5, s0, v[13:14]
	s_mov_b32 s0, 0xfc2757d1
	v_not_b32_e32 v10, 63
	v_mov_b32_e32 v13, v18
	v_mad_u64_u32 v[18:19], s[0:1], v5, s0, v[13:14]
	v_cmp_lt_u32_e32 vcc, 63, v8
	s_mov_b32 s0, 0x4e441529
	v_mov_b32_e32 v13, v19
	v_cndmask_b32_e32 v10, 0, v10, vcc
	v_mad_u64_u32 v[19:20], s[0:1], v5, s0, v[13:14]
	v_add_u32_e32 v8, v10, v8
	v_not_b32_e32 v10, 31
	v_cmp_lt_u32_e64 s[0:1], 31, v8
	v_cndmask_b32_e64 v13, 0, v10, s[0:1]
	v_add_u32_e32 v8, v13, v8
	v_mov_b32_e32 v13, v20
	s_mov_b32 s2, 0xa2f9836e
	v_mad_u64_u32 v[13:14], s[2:3], v5, s2, v[13:14]
	v_cmp_lt_u32_e64 s[2:3], 31, v8
	v_cndmask_b32_e64 v5, 0, v10, s[2:3]
	v_add_u32_e32 v5, v5, v8
	v_cndmask_b32_e32 v8, v19, v17, vcc
	v_cndmask_b32_e32 v10, v13, v18, vcc
	;; [unrolled: 1-line block ×3, first 2 shown]
	v_cndmask_b32_e64 v13, v10, v8, s[0:1]
	v_cndmask_b32_e64 v10, v14, v10, s[0:1]
	v_cndmask_b32_e32 v14, v18, v16, vcc
	v_cndmask_b32_e64 v8, v8, v14, s[0:1]
	v_cndmask_b32_e64 v10, v10, v13, s[2:3]
	;; [unrolled: 1-line block ×3, first 2 shown]
	v_sub_u32_e32 v18, 32, v5
	v_alignbit_b32 v19, v10, v13, v18
	v_cmp_eq_u32_e64 s[4:5], 0, v5
	v_cndmask_b32_e64 v5, v19, v10, s[4:5]
	v_cndmask_b32_e32 v10, v17, v15, vcc
	v_cndmask_b32_e64 v14, v14, v10, s[0:1]
	v_cndmask_b32_e64 v8, v8, v14, s[2:3]
	v_cndmask_b32_e32 v12, v16, v12, vcc
	v_alignbit_b32 v15, v13, v8, v18
	v_cndmask_b32_e64 v10, v10, v12, s[0:1]
	v_cndmask_b32_e64 v13, v15, v13, s[4:5]
	v_bfe_u32 v19, v5, 29, 1
	v_cndmask_b32_e64 v10, v14, v10, s[2:3]
	v_alignbit_b32 v15, v5, v13, 30
	v_sub_u32_e32 v20, 0, v19
	v_alignbit_b32 v12, v8, v10, v18
	v_xor_b32_e32 v15, v15, v20
	v_cndmask_b32_e64 v8, v12, v8, s[4:5]
	v_alignbit_b32 v12, v13, v8, 30
	v_ffbh_u32_e32 v13, v15
	v_min_u32_e32 v13, 32, v13
	v_alignbit_b32 v8, v8, v10, 30
	v_xor_b32_e32 v12, v12, v20
	v_sub_u32_e32 v14, 31, v13
	v_xor_b32_e32 v8, v8, v20
	v_alignbit_b32 v15, v15, v12, v14
	v_alignbit_b32 v8, v12, v8, v14
	;; [unrolled: 1-line block ×3, first 2 shown]
	v_ffbh_u32_e32 v12, v10
	v_min_u32_e32 v12, 32, v12
	v_lshrrev_b32_e32 v17, 29, v5
	v_not_b32_e32 v14, v12
	v_alignbit_b32 v8, v10, v8, v14
	v_lshlrev_b32_e32 v10, 31, v17
	v_or_b32_e32 v14, 0x33000000, v10
	v_add_lshl_u32 v12, v12, v13, 23
	v_lshrrev_b32_e32 v8, 9, v8
	v_sub_u32_e32 v12, v14, v12
	v_or_b32_e32 v10, 0.5, v10
	v_lshlrev_b32_e32 v13, 23, v13
	v_or_b32_e32 v8, v12, v8
	v_lshrrev_b32_e32 v12, 9, v15
	v_sub_u32_e32 v10, v10, v13
	v_or_b32_e32 v10, v12, v10
	s_mov_b32 s0, 0x3fc90fda
	v_mul_f32_e32 v12, 0x3fc90fda, v10
	v_fma_f32 v13, v10, s0, -v12
	v_fmac_f32_e32 v13, 0x33a22168, v10
	v_fmac_f32_e32 v13, 0x3fc90fda, v8
	v_lshrrev_b32_e32 v5, 30, v5
	v_add_f32_e32 v12, v12, v13
	v_add_u32_e32 v5, v19, v5
.LBB25_1285:
	s_andn2_saveexec_b64 s[0:1], s[14:15]
	s_cbranch_execz .LBB25_1287
; %bb.1286:
	s_mov_b32 s2, 0x3f22f983
	v_mul_f32_e64 v5, |v1|, s2
	v_rndne_f32_e32 v8, v5
	s_mov_b32 s2, 0xbfc90fda
	v_cvt_i32_f32_e32 v5, v8
	v_fma_f32 v12, v8, s2, |v1|
	v_fmac_f32_e32 v12, 0xb3a22168, v8
	v_fmac_f32_e32 v12, 0xa7c234c4, v8
.LBB25_1287:
	s_or_b64 exec, exec, s[0:1]
	s_lshr_b32 s0, s18, 16
	v_mov_b32_e32 v8, s11
	s_and_b32 s19, s0, 0xff
	v_add_co_u32_e32 v10, vcc, s10, v11
	s_cmp_lt_i32 s19, 11
	v_addc_co_u32_e32 v11, vcc, 0, v8, vcc
	s_cbranch_scc1 .LBB25_1294
; %bb.1288:
	s_and_b32 s20, 0xffff, s19
	s_cmp_gt_i32 s20, 25
	s_mov_b64 s[2:3], 0
	s_cbranch_scc0 .LBB25_1296
; %bb.1289:
	s_cmp_gt_i32 s20, 28
	s_cbranch_scc0 .LBB25_1297
; %bb.1290:
	s_cmp_gt_i32 s20, 43
	;; [unrolled: 3-line block ×3, first 2 shown]
	s_cbranch_scc0 .LBB25_1300
; %bb.1292:
	s_cmp_eq_u32 s20, 46
	s_mov_b64 s[14:15], 0
	s_cbranch_scc0 .LBB25_1303
; %bb.1293:
	global_load_dword v8, v[10:11], off
	s_mov_b64 s[0:1], 0
	s_mov_b64 s[4:5], -1
	s_waitcnt vmcnt(0)
	v_lshlrev_b32_e32 v8, 16, v8
	v_cvt_f16_f32_e32 v8, v8
	s_branch .LBB25_1304
.LBB25_1294:
	s_mov_b64 s[4:5], 0
                                        ; implicit-def: $vgpr8
	s_cbranch_execnz .LBB25_1369
.LBB25_1295:
	s_andn2_b64 vcc, exec, s[4:5]
	s_cbranch_vccnz .LBB25_2120
	s_branch .LBB25_1416
.LBB25_1296:
	s_mov_b64 s[4:5], 0
	s_mov_b64 s[0:1], 0
                                        ; implicit-def: $vgpr8
	s_cbranch_execnz .LBB25_1333
	s_branch .LBB25_1365
.LBB25_1297:
	s_mov_b64 s[14:15], -1
	s_mov_b64 s[4:5], 0
	s_mov_b64 s[0:1], 0
                                        ; implicit-def: $vgpr8
	s_branch .LBB25_1314
.LBB25_1298:
	s_mov_b64 s[14:15], -1
	s_mov_b64 s[4:5], 0
	s_mov_b64 s[0:1], 0
                                        ; implicit-def: $vgpr8
	s_branch .LBB25_1309
.LBB25_1299:
	s_or_b64 s[12:13], s[6:7], exec
	s_trap 2
	s_cbranch_execz .LBB25_1236
	s_branch .LBB25_1237
.LBB25_1300:
	s_mov_b64 s[14:15], -1
	s_mov_b64 s[4:5], 0
	s_mov_b64 s[0:1], 0
                                        ; implicit-def: $vgpr8
	s_branch .LBB25_1304
.LBB25_1301:
	s_andn2_saveexec_b64 s[14:15], s[14:15]
	s_cbranch_execz .LBB25_1027
.LBB25_1302:
	s_mov_b32 s18, 0x42800000
	v_add_f32_e64 v4, |v0|, s18
	v_and_b32_e32 v4, 0xff, v4
	v_cmp_ne_u32_e32 vcc, 0, v4
	s_andn2_b64 s[12:13], s[12:13], exec
	s_and_b64 s[18:19], vcc, exec
	s_or_b64 s[12:13], s[12:13], s[18:19]
	s_or_b64 exec, exec, s[14:15]
	v_mov_b32_e32 v5, 0
	s_and_saveexec_b64 s[14:15], s[12:13]
	s_cbranch_execnz .LBB25_1028
	s_branch .LBB25_1029
.LBB25_1303:
	s_mov_b64 s[0:1], -1
                                        ; implicit-def: $vgpr8
	s_mov_b64 s[4:5], 0
.LBB25_1304:
	s_and_b64 vcc, exec, s[14:15]
	s_cbranch_vccz .LBB25_1308
; %bb.1305:
	s_cmp_eq_u32 s20, 44
	s_cbranch_scc0 .LBB25_1307
; %bb.1306:
	global_load_ubyte v8, v[10:11], off
	s_movk_i32 s4, 0xff
	v_mov_b32_e32 v14, 0x7e00
	s_mov_b64 s[0:1], 0
	s_waitcnt vmcnt(0)
	v_lshlrev_b32_e32 v13, 23, v8
	v_cvt_f16_f32_e32 v13, v13
	v_cmp_ne_u32_e32 vcc, s4, v8
	s_mov_b64 s[4:5], -1
	v_cndmask_b32_e32 v13, v14, v13, vcc
	v_cmp_ne_u32_e32 vcc, 0, v8
	v_cndmask_b32_e32 v8, 0, v13, vcc
	s_branch .LBB25_1308
.LBB25_1307:
	s_mov_b64 s[0:1], -1
                                        ; implicit-def: $vgpr8
.LBB25_1308:
	s_mov_b64 s[14:15], 0
.LBB25_1309:
	s_and_b64 vcc, exec, s[14:15]
	s_cbranch_vccz .LBB25_1313
; %bb.1310:
	s_cmp_eq_u32 s20, 29
	s_cbranch_scc0 .LBB25_1312
; %bb.1311:
	global_load_dwordx2 v[13:14], v[10:11], off
	s_mov_b64 s[0:1], 0
	s_mov_b64 s[4:5], -1
	s_mov_b64 s[14:15], 0
	s_waitcnt vmcnt(0)
	v_ffbh_u32_e32 v8, v14
	v_min_u32_e32 v8, 32, v8
	v_lshlrev_b64 v[13:14], v8, v[13:14]
	v_sub_u32_e32 v8, 32, v8
	v_min_u32_e32 v13, 1, v13
	v_or_b32_e32 v13, v14, v13
	v_cvt_f32_u32_e32 v13, v13
	v_ldexp_f32 v8, v13, v8
	v_cvt_f16_f32_e32 v8, v8
	s_branch .LBB25_1314
.LBB25_1312:
	s_mov_b64 s[0:1], -1
                                        ; implicit-def: $vgpr8
.LBB25_1313:
	s_mov_b64 s[14:15], 0
.LBB25_1314:
	s_and_b64 vcc, exec, s[14:15]
	s_cbranch_vccz .LBB25_1332
; %bb.1315:
	s_cmp_lt_i32 s20, 27
	s_cbranch_scc1 .LBB25_1318
; %bb.1316:
	s_cmp_gt_i32 s20, 27
	s_cbranch_scc0 .LBB25_1319
; %bb.1317:
	global_load_dword v8, v[10:11], off
	s_mov_b64 s[4:5], 0
	s_waitcnt vmcnt(0)
	v_cvt_f32_u32_e32 v8, v8
	v_cvt_f16_f32_e32 v8, v8
	s_branch .LBB25_1320
.LBB25_1318:
	s_mov_b64 s[4:5], -1
                                        ; implicit-def: $vgpr8
	s_branch .LBB25_1323
.LBB25_1319:
	s_mov_b64 s[4:5], -1
                                        ; implicit-def: $vgpr8
.LBB25_1320:
	s_andn2_b64 vcc, exec, s[4:5]
	s_cbranch_vccnz .LBB25_1322
; %bb.1321:
	global_load_ushort v8, v[10:11], off
	s_waitcnt vmcnt(0)
	v_cvt_f16_u16_e32 v8, v8
.LBB25_1322:
	s_mov_b64 s[4:5], 0
.LBB25_1323:
	s_andn2_b64 vcc, exec, s[4:5]
	s_cbranch_vccnz .LBB25_1331
; %bb.1324:
	global_load_ubyte v13, v[10:11], off
	s_movk_i32 s4, 0x7f
	s_waitcnt vmcnt(0)
	v_cmp_lt_i16_e32 vcc, s4, v13
	s_mov_b64 s[4:5], 0
	s_and_saveexec_b64 s[14:15], vcc
	s_xor_b64 s[14:15], exec, s[14:15]
	s_cbranch_execz .LBB25_1344
; %bb.1325:
	s_movk_i32 s4, 0x80
	v_cmp_eq_u16_e32 vcc, s4, v13
	s_mov_b64 s[4:5], -1
	s_and_saveexec_b64 s[16:17], vcc
; %bb.1326:
	s_xor_b64 s[4:5], exec, -1
; %bb.1327:
	s_or_b64 exec, exec, s[16:17]
	s_and_b64 s[4:5], s[4:5], exec
	s_or_saveexec_b64 s[14:15], s[14:15]
	v_mov_b32_e32 v8, 0x7e00
	s_xor_b64 exec, exec, s[14:15]
	s_cbranch_execnz .LBB25_1345
.LBB25_1328:
	s_or_b64 exec, exec, s[14:15]
	s_and_saveexec_b64 s[14:15], s[4:5]
	s_cbranch_execz .LBB25_1330
.LBB25_1329:
	v_lshlrev_b32_e32 v8, 24, v13
	v_and_b32_e32 v13, 0xffff, v13
	v_and_b32_e32 v14, 7, v13
	v_ffbh_u32_e32 v16, v14
	v_min_u32_e32 v16, 32, v16
	v_subrev_u32_e32 v17, 28, v16
	v_bfe_u32 v15, v13, 3, 4
	v_lshlrev_b32_e32 v13, v17, v13
	v_sub_u32_e32 v16, 29, v16
	v_and_b32_e32 v13, 7, v13
	v_cmp_eq_u32_e32 vcc, 0, v15
	v_cndmask_b32_e32 v15, v15, v16, vcc
	v_cndmask_b32_e32 v13, v14, v13, vcc
	v_mov_b32_e32 v14, 0x3b800000
	v_lshlrev_b32_e32 v13, 20, v13
	v_and_b32_e32 v8, 0x80000000, v8
	v_lshl_add_u32 v14, v15, 23, v14
	v_or3_b32 v8, v8, v14, v13
	v_cvt_f16_f32_e32 v8, v8
.LBB25_1330:
	s_or_b64 exec, exec, s[14:15]
.LBB25_1331:
	s_mov_b64 s[4:5], -1
.LBB25_1332:
	s_branch .LBB25_1365
.LBB25_1333:
	s_cmp_gt_i32 s20, 22
	s_cbranch_scc0 .LBB25_1343
; %bb.1334:
	s_cmp_lt_i32 s20, 24
	s_cbranch_scc1 .LBB25_1346
; %bb.1335:
	s_cmp_gt_i32 s20, 24
	s_cbranch_scc0 .LBB25_1347
; %bb.1336:
	global_load_ubyte v13, v[10:11], off
	s_movk_i32 s2, 0x7f
	s_waitcnt vmcnt(0)
	v_cmp_lt_i16_e32 vcc, s2, v13
	s_mov_b64 s[2:3], 0
	s_and_saveexec_b64 s[4:5], vcc
	s_xor_b64 s[4:5], exec, s[4:5]
	s_cbranch_execz .LBB25_1359
; %bb.1337:
	s_movk_i32 s2, 0x80
	v_cmp_eq_u16_e32 vcc, s2, v13
	s_mov_b64 s[2:3], -1
	s_and_saveexec_b64 s[14:15], vcc
; %bb.1338:
	s_xor_b64 s[2:3], exec, -1
; %bb.1339:
	s_or_b64 exec, exec, s[14:15]
	s_and_b64 s[2:3], s[2:3], exec
	s_or_saveexec_b64 s[4:5], s[4:5]
	v_mov_b32_e32 v8, 0x7e00
	s_xor_b64 exec, exec, s[4:5]
	s_cbranch_execnz .LBB25_1360
.LBB25_1340:
	s_or_b64 exec, exec, s[4:5]
	s_and_saveexec_b64 s[4:5], s[2:3]
	s_cbranch_execz .LBB25_1342
.LBB25_1341:
	v_lshlrev_b32_e32 v8, 24, v13
	v_and_b32_e32 v13, 0xffff, v13
	v_and_b32_e32 v14, 3, v13
	v_ffbh_u32_e32 v16, v14
	v_min_u32_e32 v16, 32, v16
	v_subrev_u32_e32 v17, 29, v16
	v_bfe_u32 v15, v13, 2, 5
	v_lshlrev_b32_e32 v13, v17, v13
	v_sub_u32_e32 v16, 30, v16
	v_and_b32_e32 v13, 3, v13
	v_cmp_eq_u32_e32 vcc, 0, v15
	v_cndmask_b32_e32 v15, v15, v16, vcc
	v_cndmask_b32_e32 v13, v14, v13, vcc
	v_mov_b32_e32 v14, 0x37800000
	v_lshlrev_b32_e32 v13, 21, v13
	v_and_b32_e32 v8, 0x80000000, v8
	v_lshl_add_u32 v14, v15, 23, v14
	v_or3_b32 v8, v8, v14, v13
	v_cvt_f16_f32_e32 v8, v8
.LBB25_1342:
	s_or_b64 exec, exec, s[4:5]
	s_mov_b64 s[2:3], 0
	s_branch .LBB25_1348
.LBB25_1343:
	s_mov_b64 s[2:3], -1
                                        ; implicit-def: $vgpr8
	s_branch .LBB25_1354
.LBB25_1344:
	s_or_saveexec_b64 s[14:15], s[14:15]
	v_mov_b32_e32 v8, 0x7e00
	s_xor_b64 exec, exec, s[14:15]
	s_cbranch_execz .LBB25_1328
.LBB25_1345:
	v_cmp_ne_u16_e32 vcc, 0, v13
	s_andn2_b64 s[4:5], s[4:5], exec
	s_and_b64 s[16:17], vcc, exec
	s_or_b64 s[4:5], s[4:5], s[16:17]
	v_mov_b32_e32 v8, v13
	s_or_b64 exec, exec, s[14:15]
	s_and_saveexec_b64 s[14:15], s[4:5]
	s_cbranch_execnz .LBB25_1329
	s_branch .LBB25_1330
.LBB25_1346:
	s_mov_b64 s[2:3], -1
                                        ; implicit-def: $vgpr8
	s_branch .LBB25_1351
.LBB25_1347:
	s_mov_b64 s[2:3], -1
                                        ; implicit-def: $vgpr8
.LBB25_1348:
	s_and_b64 vcc, exec, s[2:3]
	s_cbranch_vccz .LBB25_1350
; %bb.1349:
	global_load_ubyte v8, v[10:11], off
	s_mov_b32 s2, 0x7f800000
	s_waitcnt vmcnt(0)
	v_lshlrev_b32_e32 v8, 24, v8
	v_and_b32_e32 v13, 0x7f000000, v8
	v_ffbh_u32_e32 v14, v13
	v_min_u32_e32 v14, 32, v14
	v_sub_u32_e64 v14, v14, 4 clamp
	v_lshlrev_b32_e32 v16, v14, v13
	v_lshlrev_b32_e32 v14, 23, v14
	v_lshrrev_b32_e32 v16, 4, v16
	v_add_u32_e32 v15, 0x1000000, v13
	v_sub_u32_e32 v14, v16, v14
	v_ashrrev_i32_e32 v15, 8, v15
	v_add_u32_e32 v14, 0x3c000000, v14
	v_and_or_b32 v14, v15, s2, v14
	v_cmp_ne_u32_e32 vcc, 0, v13
	v_cndmask_b32_e32 v13, 0, v14, vcc
	s_brev_b32 s2, 1
	v_and_or_b32 v8, v8, s2, v13
	v_cvt_f16_f32_e32 v8, v8
.LBB25_1350:
	s_mov_b64 s[2:3], 0
.LBB25_1351:
	s_andn2_b64 vcc, exec, s[2:3]
	s_cbranch_vccnz .LBB25_1353
; %bb.1352:
	global_load_ubyte v8, v[10:11], off
	s_movk_i32 s2, 0x7f00
	s_brev_b32 s3, 16
	s_waitcnt vmcnt(0)
	v_lshlrev_b16_e32 v13, 8, v8
	v_lshlrev_b32_e32 v8, 25, v8
	v_lshrrev_b32_e32 v14, 4, v8
	v_and_or_b32 v15, v13, s2, 0.5
	v_or_b32_e32 v14, 0x70000000, v14
	v_add_f32_e32 v15, -0.5, v15
	v_mul_f32_e32 v14, 0x7800000, v14
	v_cmp_gt_u32_e32 vcc, s3, v8
	v_bfe_i32 v13, v13, 0, 16
	v_cndmask_b32_e32 v8, v14, v15, vcc
	s_brev_b32 s2, 1
	v_and_or_b32 v8, v13, s2, v8
	v_cvt_f16_f32_e32 v8, v8
.LBB25_1353:
	s_mov_b64 s[2:3], 0
	s_mov_b64 s[4:5], -1
.LBB25_1354:
	s_andn2_b64 vcc, exec, s[2:3]
	s_mov_b64 s[2:3], 0
	s_cbranch_vccnz .LBB25_1365
; %bb.1355:
	s_cmp_gt_i32 s20, 14
	s_cbranch_scc0 .LBB25_1358
; %bb.1356:
	s_cmp_eq_u32 s20, 15
	s_cbranch_scc0 .LBB25_1361
; %bb.1357:
	global_load_ushort v8, v[10:11], off
	s_mov_b64 s[0:1], 0
	s_mov_b64 s[4:5], -1
	s_waitcnt vmcnt(0)
	v_lshlrev_b32_e32 v8, 16, v8
	v_cvt_f16_f32_e32 v8, v8
	s_branch .LBB25_1362
.LBB25_1358:
	s_mov_b64 s[14:15], -1
                                        ; implicit-def: $vgpr8
	s_branch .LBB25_1363
.LBB25_1359:
	s_or_saveexec_b64 s[4:5], s[4:5]
	v_mov_b32_e32 v8, 0x7e00
	s_xor_b64 exec, exec, s[4:5]
	s_cbranch_execz .LBB25_1340
.LBB25_1360:
	v_cmp_ne_u16_e32 vcc, 0, v13
	s_andn2_b64 s[2:3], s[2:3], exec
	s_and_b64 s[14:15], vcc, exec
	s_or_b64 s[2:3], s[2:3], s[14:15]
	v_mov_b32_e32 v8, v13
	s_or_b64 exec, exec, s[4:5]
	s_and_saveexec_b64 s[4:5], s[2:3]
	s_cbranch_execnz .LBB25_1341
	s_branch .LBB25_1342
.LBB25_1361:
	s_mov_b64 s[0:1], -1
                                        ; implicit-def: $vgpr8
.LBB25_1362:
	s_mov_b64 s[14:15], 0
.LBB25_1363:
	s_and_b64 vcc, exec, s[14:15]
	s_cbranch_vccz .LBB25_1365
; %bb.1364:
	s_cmp_lg_u32 s20, 11
	s_mov_b64 s[2:3], -1
	s_cselect_b64 s[0:1], -1, 0
.LBB25_1365:
	s_and_b64 vcc, exec, s[0:1]
	s_cbranch_vccnz .LBB25_1432
; %bb.1366:
	s_andn2_b64 vcc, exec, s[2:3]
	s_cbranch_vccnz .LBB25_1368
.LBB25_1367:
	global_load_ubyte v8, v[10:11], off
	v_mov_b32_e32 v13, 0x3c00
	s_mov_b64 s[4:5], -1
	s_waitcnt vmcnt(0)
	v_cmp_ne_u16_e32 vcc, 0, v8
	v_cndmask_b32_e32 v8, 0, v13, vcc
.LBB25_1368:
	s_branch .LBB25_1295
.LBB25_1369:
	s_and_b32 s2, 0xffff, s19
	s_cmp_lt_i32 s2, 5
	s_cbranch_scc1 .LBB25_1374
; %bb.1370:
	s_cmp_lt_i32 s2, 8
	s_cbranch_scc1 .LBB25_1375
; %bb.1371:
	;; [unrolled: 3-line block ×3, first 2 shown]
	s_cmp_gt_i32 s2, 9
	s_cbranch_scc0 .LBB25_1377
; %bb.1373:
	global_load_dwordx2 v[13:14], v[10:11], off
	s_movk_i32 s0, 0x1ff
	s_movk_i32 s1, 0xffe
	v_mov_b32_e32 v8, 0x7c00
	v_mov_b32_e32 v15, 0x7e00
	s_movk_i32 s3, 0x40f
	s_mov_b32 s4, 0x8000
	s_waitcnt vmcnt(0)
	v_and_or_b32 v13, v14, s0, v13
	v_cmp_ne_u32_e32 vcc, 0, v13
	v_lshrrev_b32_e32 v16, 8, v14
	v_bfe_u32 v17, v14, 20, 11
	v_cndmask_b32_e64 v13, 0, 1, vcc
	v_sub_u32_e32 v18, 0x3f1, v17
	v_and_or_b32 v13, v16, s1, v13
	v_add_u32_e32 v17, 0xfffffc10, v17
	v_med3_i32 v16, v18, 0, 13
	v_or_b32_e32 v18, 0x1000, v13
	v_cmp_ne_u32_e32 vcc, 0, v13
	v_lshl_or_b32 v19, v17, 12, v13
	v_cndmask_b32_e32 v13, v8, v15, vcc
	v_lshrrev_b32_e32 v15, v16, v18
	v_lshlrev_b32_e32 v16, v16, v15
	v_cmp_ne_u32_e32 vcc, v16, v18
	v_cndmask_b32_e64 v16, 0, 1, vcc
	v_or_b32_e32 v15, v15, v16
	v_cmp_gt_i32_e32 vcc, 1, v17
	v_cndmask_b32_e32 v15, v19, v15, vcc
	v_and_b32_e32 v16, 7, v15
	v_cmp_lt_i32_e32 vcc, 5, v16
	v_cndmask_b32_e64 v18, 0, 1, vcc
	v_cmp_eq_u32_e32 vcc, 3, v16
	v_cndmask_b32_e64 v16, 0, 1, vcc
	v_lshrrev_b32_e32 v15, 2, v15
	v_or_b32_e32 v16, v16, v18
	v_add_u32_e32 v15, v15, v16
	v_cmp_gt_i32_e32 vcc, 31, v17
	v_cndmask_b32_e32 v8, v8, v15, vcc
	v_cmp_eq_u32_e32 vcc, s3, v17
	v_lshrrev_b32_e32 v14, 16, v14
	v_cndmask_b32_e32 v8, v8, v13, vcc
	v_and_or_b32 v8, v14, s4, v8
	s_mov_b64 s[0:1], 0
	s_branch .LBB25_1378
.LBB25_1374:
                                        ; implicit-def: $vgpr8
	s_branch .LBB25_1396
.LBB25_1375:
	s_mov_b64 s[0:1], -1
                                        ; implicit-def: $vgpr8
	s_branch .LBB25_1384
.LBB25_1376:
	s_mov_b64 s[0:1], -1
                                        ; implicit-def: $vgpr8
	s_branch .LBB25_1381
.LBB25_1377:
	s_mov_b64 s[0:1], -1
                                        ; implicit-def: $vgpr8
.LBB25_1378:
	s_andn2_b64 vcc, exec, s[0:1]
	s_cbranch_vccnz .LBB25_1380
; %bb.1379:
	global_load_dword v8, v[10:11], off
	s_waitcnt vmcnt(0)
	v_cvt_f16_f32_e32 v8, v8
.LBB25_1380:
	s_mov_b64 s[0:1], 0
.LBB25_1381:
	s_andn2_b64 vcc, exec, s[0:1]
	s_cbranch_vccnz .LBB25_1383
; %bb.1382:
	global_load_dword v8, v[10:11], off
.LBB25_1383:
	s_mov_b64 s[0:1], 0
.LBB25_1384:
	s_andn2_b64 vcc, exec, s[0:1]
	s_cbranch_vccnz .LBB25_1395
; %bb.1385:
	s_cmp_lt_i32 s2, 6
	s_cbranch_scc1 .LBB25_1388
; %bb.1386:
	s_cmp_gt_i32 s2, 6
	s_cbranch_scc0 .LBB25_1389
; %bb.1387:
	global_load_dwordx2 v[13:14], v[10:11], off
	s_movk_i32 s0, 0x1ff
	s_movk_i32 s1, 0xffe
	s_waitcnt vmcnt(1)
	v_mov_b32_e32 v8, 0x7c00
	v_mov_b32_e32 v15, 0x7e00
	s_movk_i32 s3, 0x40f
	s_mov_b32 s4, 0x8000
	s_waitcnt vmcnt(0)
	v_and_or_b32 v13, v14, s0, v13
	v_cmp_ne_u32_e32 vcc, 0, v13
	v_lshrrev_b32_e32 v16, 8, v14
	v_bfe_u32 v17, v14, 20, 11
	v_cndmask_b32_e64 v13, 0, 1, vcc
	v_sub_u32_e32 v18, 0x3f1, v17
	v_and_or_b32 v13, v16, s1, v13
	v_add_u32_e32 v17, 0xfffffc10, v17
	v_med3_i32 v16, v18, 0, 13
	v_or_b32_e32 v18, 0x1000, v13
	v_cmp_ne_u32_e32 vcc, 0, v13
	v_lshl_or_b32 v19, v17, 12, v13
	v_cndmask_b32_e32 v13, v8, v15, vcc
	v_lshrrev_b32_e32 v15, v16, v18
	v_lshlrev_b32_e32 v16, v16, v15
	v_cmp_ne_u32_e32 vcc, v16, v18
	v_cndmask_b32_e64 v16, 0, 1, vcc
	v_or_b32_e32 v15, v15, v16
	v_cmp_gt_i32_e32 vcc, 1, v17
	v_cndmask_b32_e32 v15, v19, v15, vcc
	v_and_b32_e32 v16, 7, v15
	v_cmp_lt_i32_e32 vcc, 5, v16
	v_cndmask_b32_e64 v18, 0, 1, vcc
	v_cmp_eq_u32_e32 vcc, 3, v16
	v_cndmask_b32_e64 v16, 0, 1, vcc
	v_lshrrev_b32_e32 v15, 2, v15
	v_or_b32_e32 v16, v16, v18
	v_add_u32_e32 v15, v15, v16
	v_cmp_gt_i32_e32 vcc, 31, v17
	v_cndmask_b32_e32 v8, v8, v15, vcc
	v_cmp_eq_u32_e32 vcc, s3, v17
	v_lshrrev_b32_e32 v14, 16, v14
	v_cndmask_b32_e32 v8, v8, v13, vcc
	v_and_or_b32 v8, v14, s4, v8
	s_mov_b64 s[0:1], 0
	s_branch .LBB25_1390
.LBB25_1388:
	s_mov_b64 s[0:1], -1
                                        ; implicit-def: $vgpr8
	s_branch .LBB25_1393
.LBB25_1389:
	s_mov_b64 s[0:1], -1
                                        ; implicit-def: $vgpr8
.LBB25_1390:
	s_andn2_b64 vcc, exec, s[0:1]
	s_cbranch_vccnz .LBB25_1392
; %bb.1391:
	global_load_dword v8, v[10:11], off
	s_waitcnt vmcnt(0)
	v_cvt_f16_f32_e32 v8, v8
.LBB25_1392:
	s_mov_b64 s[0:1], 0
.LBB25_1393:
	s_andn2_b64 vcc, exec, s[0:1]
	s_cbranch_vccnz .LBB25_1395
; %bb.1394:
	global_load_ushort v8, v[10:11], off
.LBB25_1395:
	s_cbranch_execnz .LBB25_1415
.LBB25_1396:
	s_cmp_lt_i32 s2, 2
	s_cbranch_scc1 .LBB25_1400
; %bb.1397:
	s_cmp_lt_i32 s2, 3
	s_cbranch_scc1 .LBB25_1401
; %bb.1398:
	s_cmp_gt_i32 s2, 3
	s_cbranch_scc0 .LBB25_1402
; %bb.1399:
	global_load_dwordx2 v[13:14], v[10:11], off
	s_mov_b64 s[0:1], 0
	s_waitcnt vmcnt(0)
	v_xor_b32_e32 v15, v13, v14
	v_ffbh_i32_e32 v8, v14
	v_ashrrev_i32_e32 v15, 31, v15
	v_add_u32_e32 v8, -1, v8
	v_add_u32_e32 v15, 32, v15
	v_min_u32_e32 v8, v8, v15
	v_lshlrev_b64 v[13:14], v8, v[13:14]
	v_sub_u32_e32 v8, 32, v8
	v_min_u32_e32 v13, 1, v13
	v_or_b32_e32 v13, v14, v13
	v_cvt_f32_i32_e32 v13, v13
	v_ldexp_f32 v8, v13, v8
	v_cvt_f16_f32_e32 v8, v8
	s_branch .LBB25_1403
.LBB25_1400:
	s_mov_b64 s[0:1], -1
                                        ; implicit-def: $vgpr8
	s_branch .LBB25_1409
.LBB25_1401:
	s_mov_b64 s[0:1], -1
                                        ; implicit-def: $vgpr8
	s_branch .LBB25_1406
.LBB25_1402:
	s_mov_b64 s[0:1], -1
                                        ; implicit-def: $vgpr8
.LBB25_1403:
	s_andn2_b64 vcc, exec, s[0:1]
	s_cbranch_vccnz .LBB25_1405
; %bb.1404:
	global_load_dword v8, v[10:11], off
	s_waitcnt vmcnt(0)
	v_cvt_f32_i32_e32 v8, v8
	v_cvt_f16_f32_e32 v8, v8
.LBB25_1405:
	s_mov_b64 s[0:1], 0
.LBB25_1406:
	s_andn2_b64 vcc, exec, s[0:1]
	s_cbranch_vccnz .LBB25_1408
; %bb.1407:
	global_load_ushort v8, v[10:11], off
	s_waitcnt vmcnt(0)
	v_cvt_f16_i16_e32 v8, v8
.LBB25_1408:
	s_mov_b64 s[0:1], 0
.LBB25_1409:
	s_andn2_b64 vcc, exec, s[0:1]
	s_cbranch_vccnz .LBB25_1415
; %bb.1410:
	s_cmp_gt_i32 s2, 0
	s_cbranch_scc0 .LBB25_1412
; %bb.1411:
	global_load_sbyte v8, v[10:11], off
	s_mov_b64 s[0:1], 0
	s_waitcnt vmcnt(0)
	v_cvt_f16_i16_e32 v8, v8
	s_branch .LBB25_1413
.LBB25_1412:
	s_mov_b64 s[0:1], -1
                                        ; implicit-def: $vgpr8
.LBB25_1413:
	s_andn2_b64 vcc, exec, s[0:1]
	s_cbranch_vccnz .LBB25_1415
; %bb.1414:
	global_load_ubyte v8, v[10:11], off
	s_waitcnt vmcnt(0)
	v_cvt_f16_u16_e32 v8, v8
.LBB25_1415:
.LBB25_1416:
	s_waitcnt vmcnt(0)
	v_cvt_f32_f16_e32 v10, v8
	s_brev_b32 s0, 18
                                        ; implicit-def: $vgpr13
                                        ; implicit-def: $vgpr14
	v_and_b32_e32 v11, 0x7fffffff, v10
	v_cmp_nlt_f32_e64 s[0:1], |v10|, s0
	s_and_saveexec_b64 s[2:3], s[0:1]
	s_xor_b64 s[14:15], exec, s[2:3]
	s_cbranch_execz .LBB25_1418
; %bb.1417:
	v_and_b32_e32 v8, 0x7fffff, v11
	v_or_b32_e32 v8, 0x800000, v8
	s_mov_b32 s0, 0xfe5163ab
	v_mad_u64_u32 v[13:14], s[0:1], v8, s0, 0
	v_mov_b32_e32 v15, 0
	s_mov_b32 s0, 0x3c439041
	v_mad_u64_u32 v[16:17], s[0:1], v8, s0, v[14:15]
	s_mov_b32 s0, 0xdb629599
	v_not_b32_e32 v21, 63
	v_mov_b32_e32 v14, v17
	v_mad_u64_u32 v[17:18], s[0:1], v8, s0, v[14:15]
	s_mov_b32 s0, 0xf534ddc0
	v_not_b32_e32 v23, 31
	v_mov_b32_e32 v14, v18
	v_mad_u64_u32 v[18:19], s[0:1], v8, s0, v[14:15]
	v_lshrrev_b32_e32 v14, 23, v11
	v_add_u32_e32 v22, 0xffffff88, v14
	v_mov_b32_e32 v14, v19
	s_mov_b32 s0, 0xfc2757d1
	v_mad_u64_u32 v[19:20], s[0:1], v8, s0, v[14:15]
	v_cmp_lt_u32_e32 vcc, 63, v22
	v_cndmask_b32_e32 v14, 0, v21, vcc
	v_add_u32_e32 v22, v14, v22
	v_mov_b32_e32 v14, v20
	s_mov_b32 s0, 0x4e441529
	v_mad_u64_u32 v[20:21], s[0:1], v8, s0, v[14:15]
	v_cmp_lt_u32_e64 s[0:1], 31, v22
	v_cndmask_b32_e64 v14, 0, v23, s[0:1]
	v_add_u32_e32 v22, v14, v22
	v_mov_b32_e32 v14, v21
	s_mov_b32 s2, 0xa2f9836e
	v_mad_u64_u32 v[14:15], s[2:3], v8, s2, v[14:15]
	v_cmp_lt_u32_e64 s[2:3], 31, v22
	v_cndmask_b32_e64 v8, 0, v23, s[2:3]
	v_cndmask_b32_e32 v21, v20, v18, vcc
	v_cndmask_b32_e32 v14, v14, v19, vcc
	;; [unrolled: 1-line block ×3, first 2 shown]
	v_add_u32_e32 v8, v8, v22
	v_cndmask_b32_e64 v22, v14, v21, s[0:1]
	v_cndmask_b32_e64 v14, v15, v14, s[0:1]
	v_cndmask_b32_e32 v15, v19, v17, vcc
	v_cndmask_b32_e64 v19, v21, v15, s[0:1]
	v_cndmask_b32_e64 v14, v14, v22, s[2:3]
	v_cndmask_b32_e64 v20, v22, v19, s[2:3]
	v_sub_u32_e32 v21, 32, v8
	v_alignbit_b32 v22, v14, v20, v21
	v_cmp_eq_u32_e64 s[4:5], 0, v8
	v_cndmask_b32_e64 v8, v22, v14, s[4:5]
	v_cndmask_b32_e32 v14, v18, v16, vcc
	v_cndmask_b32_e64 v15, v15, v14, s[0:1]
	v_cndmask_b32_e64 v16, v19, v15, s[2:3]
	v_alignbit_b32 v18, v20, v16, v21
	v_cndmask_b32_e32 v13, v17, v13, vcc
	v_cndmask_b32_e64 v18, v18, v20, s[4:5]
	v_bfe_u32 v22, v8, 29, 1
	v_cndmask_b32_e64 v13, v14, v13, s[0:1]
	v_alignbit_b32 v19, v8, v18, 30
	v_sub_u32_e32 v23, 0, v22
	v_cndmask_b32_e64 v13, v15, v13, s[2:3]
	v_xor_b32_e32 v19, v19, v23
	v_alignbit_b32 v14, v16, v13, v21
	v_cndmask_b32_e64 v14, v14, v16, s[4:5]
	v_ffbh_u32_e32 v16, v19
	v_alignbit_b32 v15, v18, v14, 30
	v_min_u32_e32 v16, 32, v16
	v_alignbit_b32 v13, v14, v13, 30
	v_xor_b32_e32 v15, v15, v23
	v_sub_u32_e32 v17, 31, v16
	v_xor_b32_e32 v13, v13, v23
	v_alignbit_b32 v18, v19, v15, v17
	v_alignbit_b32 v13, v15, v13, v17
	;; [unrolled: 1-line block ×3, first 2 shown]
	v_ffbh_u32_e32 v15, v14
	v_min_u32_e32 v15, 32, v15
	v_lshrrev_b32_e32 v20, 29, v8
	v_not_b32_e32 v17, v15
	v_alignbit_b32 v13, v14, v13, v17
	v_lshlrev_b32_e32 v14, 31, v20
	v_or_b32_e32 v17, 0x33000000, v14
	v_add_lshl_u32 v15, v15, v16, 23
	v_lshrrev_b32_e32 v13, 9, v13
	v_sub_u32_e32 v15, v17, v15
	v_or_b32_e32 v14, 0.5, v14
	v_lshlrev_b32_e32 v16, 23, v16
	v_or_b32_e32 v13, v15, v13
	v_lshrrev_b32_e32 v15, 9, v18
	v_sub_u32_e32 v14, v14, v16
	v_or_b32_e32 v14, v15, v14
	s_mov_b32 s0, 0x3fc90fda
	v_mul_f32_e32 v15, 0x3fc90fda, v14
	v_fma_f32 v16, v14, s0, -v15
	v_fmac_f32_e32 v16, 0x33a22168, v14
	v_fmac_f32_e32 v16, 0x3fc90fda, v13
	v_lshrrev_b32_e32 v8, 30, v8
	v_add_f32_e32 v14, v15, v16
	v_add_u32_e32 v13, v22, v8
.LBB25_1418:
	s_andn2_saveexec_b64 s[0:1], s[14:15]
	s_cbranch_execz .LBB25_1420
; %bb.1419:
	s_mov_b32 s2, 0x3f22f983
	v_mul_f32_e64 v8, |v10|, s2
	v_rndne_f32_e32 v8, v8
	s_mov_b32 s2, 0xbfc90fda
	v_cvt_i32_f32_e32 v13, v8
	v_fma_f32 v14, v8, s2, |v10|
	v_fmac_f32_e32 v14, 0xb3a22168, v8
	v_fmac_f32_e32 v14, 0xa7c234c4, v8
.LBB25_1420:
	s_or_b64 exec, exec, s[0:1]
	v_mov_b32_e32 v15, s11
	v_add_co_u32_e32 v8, vcc, s10, v9
	s_cmp_lt_i32 s19, 11
	v_addc_co_u32_e32 v9, vcc, 0, v15, vcc
	s_cbranch_scc1 .LBB25_1427
; %bb.1421:
	s_and_b32 s20, 0xffff, s19
	s_cmp_gt_i32 s20, 25
	s_mov_b64 s[2:3], 0
	s_cbranch_scc0 .LBB25_1429
; %bb.1422:
	s_cmp_gt_i32 s20, 28
	s_cbranch_scc0 .LBB25_1430
; %bb.1423:
	s_cmp_gt_i32 s20, 43
	;; [unrolled: 3-line block ×3, first 2 shown]
	s_cbranch_scc0 .LBB25_1433
; %bb.1425:
	s_cmp_eq_u32 s20, 46
	s_mov_b64 s[14:15], 0
	s_cbranch_scc0 .LBB25_1434
; %bb.1426:
	global_load_dword v15, v[8:9], off
	s_mov_b64 s[0:1], 0
	s_mov_b64 s[4:5], -1
	s_waitcnt vmcnt(0)
	v_lshlrev_b32_e32 v15, 16, v15
	v_cvt_f16_f32_e32 v15, v15
	s_branch .LBB25_1435
.LBB25_1427:
	s_mov_b64 s[4:5], 0
                                        ; implicit-def: $vgpr15
	s_cbranch_execnz .LBB25_1501
.LBB25_1428:
	s_andn2_b64 vcc, exec, s[4:5]
	s_cbranch_vccnz .LBB25_2120
	s_branch .LBB25_1549
.LBB25_1429:
	s_mov_b64 s[14:15], -1
	s_mov_b64 s[4:5], 0
	s_mov_b64 s[0:1], 0
                                        ; implicit-def: $vgpr15
	s_branch .LBB25_1464
.LBB25_1430:
	s_mov_b64 s[14:15], -1
	s_mov_b64 s[4:5], 0
	s_mov_b64 s[0:1], 0
                                        ; implicit-def: $vgpr15
	s_branch .LBB25_1445
.LBB25_1431:
	s_mov_b64 s[14:15], -1
	s_mov_b64 s[4:5], 0
	s_mov_b64 s[0:1], 0
                                        ; implicit-def: $vgpr15
	s_branch .LBB25_1440
.LBB25_1432:
	s_trap 2
	s_or_b64 s[12:13], s[12:13], exec
	s_cbranch_execz .LBB25_1367
	s_branch .LBB25_1368
.LBB25_1433:
	s_mov_b64 s[14:15], -1
	s_mov_b64 s[4:5], 0
	s_mov_b64 s[0:1], 0
                                        ; implicit-def: $vgpr15
	s_branch .LBB25_1435
.LBB25_1434:
	s_mov_b64 s[0:1], -1
                                        ; implicit-def: $vgpr15
	s_mov_b64 s[4:5], 0
.LBB25_1435:
	s_and_b64 vcc, exec, s[14:15]
	s_cbranch_vccz .LBB25_1439
; %bb.1436:
	s_cmp_eq_u32 s20, 44
	s_cbranch_scc0 .LBB25_1438
; %bb.1437:
	global_load_ubyte v15, v[8:9], off
	s_movk_i32 s4, 0xff
	v_mov_b32_e32 v17, 0x7e00
	s_mov_b64 s[0:1], 0
	s_waitcnt vmcnt(0)
	v_lshlrev_b32_e32 v16, 23, v15
	v_cvt_f16_f32_e32 v16, v16
	v_cmp_ne_u32_e32 vcc, s4, v15
	s_mov_b64 s[4:5], -1
	v_cndmask_b32_e32 v16, v17, v16, vcc
	v_cmp_ne_u32_e32 vcc, 0, v15
	v_cndmask_b32_e32 v15, 0, v16, vcc
	s_branch .LBB25_1439
.LBB25_1438:
	s_mov_b64 s[0:1], -1
                                        ; implicit-def: $vgpr15
.LBB25_1439:
	s_mov_b64 s[14:15], 0
.LBB25_1440:
	s_and_b64 vcc, exec, s[14:15]
	s_cbranch_vccz .LBB25_1444
; %bb.1441:
	s_cmp_eq_u32 s20, 29
	s_cbranch_scc0 .LBB25_1443
; %bb.1442:
	global_load_dwordx2 v[15:16], v[8:9], off
	s_mov_b64 s[0:1], 0
	s_mov_b64 s[4:5], -1
	s_mov_b64 s[14:15], 0
	s_waitcnt vmcnt(0)
	v_ffbh_u32_e32 v17, v16
	v_min_u32_e32 v17, 32, v17
	v_lshlrev_b64 v[15:16], v17, v[15:16]
	v_min_u32_e32 v15, 1, v15
	v_or_b32_e32 v15, v16, v15
	v_cvt_f32_u32_e32 v15, v15
	v_sub_u32_e32 v16, 32, v17
	v_ldexp_f32 v15, v15, v16
	v_cvt_f16_f32_e32 v15, v15
	s_branch .LBB25_1445
.LBB25_1443:
	s_mov_b64 s[0:1], -1
                                        ; implicit-def: $vgpr15
.LBB25_1444:
	s_mov_b64 s[14:15], 0
.LBB25_1445:
	s_and_b64 vcc, exec, s[14:15]
	s_cbranch_vccz .LBB25_1463
; %bb.1446:
	s_cmp_lt_i32 s20, 27
	s_cbranch_scc1 .LBB25_1449
; %bb.1447:
	s_cmp_gt_i32 s20, 27
	s_cbranch_scc0 .LBB25_1450
; %bb.1448:
	global_load_dword v15, v[8:9], off
	s_mov_b64 s[4:5], 0
	s_waitcnt vmcnt(0)
	v_cvt_f32_u32_e32 v15, v15
	v_cvt_f16_f32_e32 v15, v15
	s_branch .LBB25_1451
.LBB25_1449:
	s_mov_b64 s[4:5], -1
                                        ; implicit-def: $vgpr15
	s_branch .LBB25_1454
.LBB25_1450:
	s_mov_b64 s[4:5], -1
                                        ; implicit-def: $vgpr15
.LBB25_1451:
	s_andn2_b64 vcc, exec, s[4:5]
	s_cbranch_vccnz .LBB25_1453
; %bb.1452:
	global_load_ushort v15, v[8:9], off
	s_waitcnt vmcnt(0)
	v_cvt_f16_u16_e32 v15, v15
.LBB25_1453:
	s_mov_b64 s[4:5], 0
.LBB25_1454:
	s_andn2_b64 vcc, exec, s[4:5]
	s_cbranch_vccnz .LBB25_1462
; %bb.1455:
	global_load_ubyte v16, v[8:9], off
	s_movk_i32 s4, 0x7f
	s_waitcnt vmcnt(0)
	v_cmp_lt_i16_e32 vcc, s4, v16
	s_mov_b64 s[4:5], 0
	s_and_saveexec_b64 s[14:15], vcc
	s_xor_b64 s[14:15], exec, s[14:15]
	s_cbranch_execz .LBB25_1476
; %bb.1456:
	s_movk_i32 s4, 0x80
	v_cmp_eq_u16_e32 vcc, s4, v16
	s_mov_b64 s[4:5], -1
	s_and_saveexec_b64 s[16:17], vcc
; %bb.1457:
	s_xor_b64 s[4:5], exec, -1
; %bb.1458:
	s_or_b64 exec, exec, s[16:17]
	s_and_b64 s[4:5], s[4:5], exec
	s_or_saveexec_b64 s[14:15], s[14:15]
	v_mov_b32_e32 v15, 0x7e00
	s_xor_b64 exec, exec, s[14:15]
	s_cbranch_execnz .LBB25_1477
.LBB25_1459:
	s_or_b64 exec, exec, s[14:15]
	s_and_saveexec_b64 s[14:15], s[4:5]
	s_cbranch_execz .LBB25_1461
.LBB25_1460:
	v_lshlrev_b32_e32 v15, 24, v16
	v_and_b32_e32 v16, 0xffff, v16
	v_and_b32_e32 v17, 7, v16
	v_ffbh_u32_e32 v19, v17
	v_min_u32_e32 v19, 32, v19
	v_subrev_u32_e32 v20, 28, v19
	v_bfe_u32 v18, v16, 3, 4
	v_lshlrev_b32_e32 v16, v20, v16
	v_sub_u32_e32 v19, 29, v19
	v_and_b32_e32 v16, 7, v16
	v_cmp_eq_u32_e32 vcc, 0, v18
	v_cndmask_b32_e32 v18, v18, v19, vcc
	v_cndmask_b32_e32 v16, v17, v16, vcc
	v_mov_b32_e32 v17, 0x3b800000
	v_lshlrev_b32_e32 v16, 20, v16
	v_and_b32_e32 v15, 0x80000000, v15
	v_lshl_add_u32 v17, v18, 23, v17
	v_or3_b32 v15, v15, v17, v16
	v_cvt_f16_f32_e32 v15, v15
.LBB25_1461:
	s_or_b64 exec, exec, s[14:15]
.LBB25_1462:
	s_mov_b64 s[4:5], -1
.LBB25_1463:
	s_mov_b64 s[14:15], 0
.LBB25_1464:
	s_and_b64 vcc, exec, s[14:15]
	s_cbranch_vccz .LBB25_1497
; %bb.1465:
	s_cmp_gt_i32 s20, 22
	s_cbranch_scc0 .LBB25_1475
; %bb.1466:
	s_cmp_lt_i32 s20, 24
	s_cbranch_scc1 .LBB25_1478
; %bb.1467:
	s_cmp_gt_i32 s20, 24
	s_cbranch_scc0 .LBB25_1479
; %bb.1468:
	global_load_ubyte v16, v[8:9], off
	s_movk_i32 s2, 0x7f
	s_waitcnt vmcnt(0)
	v_cmp_lt_i16_e32 vcc, s2, v16
	s_mov_b64 s[2:3], 0
	s_and_saveexec_b64 s[4:5], vcc
	s_xor_b64 s[4:5], exec, s[4:5]
	s_cbranch_execz .LBB25_1491
; %bb.1469:
	s_movk_i32 s2, 0x80
	v_cmp_eq_u16_e32 vcc, s2, v16
	s_mov_b64 s[2:3], -1
	s_and_saveexec_b64 s[14:15], vcc
; %bb.1470:
	s_xor_b64 s[2:3], exec, -1
; %bb.1471:
	s_or_b64 exec, exec, s[14:15]
	s_and_b64 s[2:3], s[2:3], exec
	s_or_saveexec_b64 s[4:5], s[4:5]
	v_mov_b32_e32 v15, 0x7e00
	s_xor_b64 exec, exec, s[4:5]
	s_cbranch_execnz .LBB25_1492
.LBB25_1472:
	s_or_b64 exec, exec, s[4:5]
	s_and_saveexec_b64 s[4:5], s[2:3]
	s_cbranch_execz .LBB25_1474
.LBB25_1473:
	v_lshlrev_b32_e32 v15, 24, v16
	v_and_b32_e32 v16, 0xffff, v16
	v_and_b32_e32 v17, 3, v16
	v_ffbh_u32_e32 v19, v17
	v_min_u32_e32 v19, 32, v19
	v_subrev_u32_e32 v20, 29, v19
	v_bfe_u32 v18, v16, 2, 5
	v_lshlrev_b32_e32 v16, v20, v16
	v_sub_u32_e32 v19, 30, v19
	v_and_b32_e32 v16, 3, v16
	v_cmp_eq_u32_e32 vcc, 0, v18
	v_cndmask_b32_e32 v18, v18, v19, vcc
	v_cndmask_b32_e32 v16, v17, v16, vcc
	v_mov_b32_e32 v17, 0x37800000
	v_lshlrev_b32_e32 v16, 21, v16
	v_and_b32_e32 v15, 0x80000000, v15
	v_lshl_add_u32 v17, v18, 23, v17
	v_or3_b32 v15, v15, v17, v16
	v_cvt_f16_f32_e32 v15, v15
.LBB25_1474:
	s_or_b64 exec, exec, s[4:5]
	s_mov_b64 s[2:3], 0
	s_branch .LBB25_1480
.LBB25_1475:
	s_mov_b64 s[2:3], -1
                                        ; implicit-def: $vgpr15
	s_branch .LBB25_1486
.LBB25_1476:
	s_or_saveexec_b64 s[14:15], s[14:15]
	v_mov_b32_e32 v15, 0x7e00
	s_xor_b64 exec, exec, s[14:15]
	s_cbranch_execz .LBB25_1459
.LBB25_1477:
	v_cmp_ne_u16_e32 vcc, 0, v16
	s_andn2_b64 s[4:5], s[4:5], exec
	s_and_b64 s[16:17], vcc, exec
	s_or_b64 s[4:5], s[4:5], s[16:17]
	v_mov_b32_e32 v15, v16
	s_or_b64 exec, exec, s[14:15]
	s_and_saveexec_b64 s[14:15], s[4:5]
	s_cbranch_execnz .LBB25_1460
	s_branch .LBB25_1461
.LBB25_1478:
	s_mov_b64 s[2:3], -1
                                        ; implicit-def: $vgpr15
	s_branch .LBB25_1483
.LBB25_1479:
	s_mov_b64 s[2:3], -1
                                        ; implicit-def: $vgpr15
.LBB25_1480:
	s_and_b64 vcc, exec, s[2:3]
	s_cbranch_vccz .LBB25_1482
; %bb.1481:
	global_load_ubyte v15, v[8:9], off
	s_mov_b32 s2, 0x7f800000
	s_waitcnt vmcnt(0)
	v_lshlrev_b32_e32 v15, 24, v15
	v_and_b32_e32 v16, 0x7f000000, v15
	v_ffbh_u32_e32 v17, v16
	v_min_u32_e32 v17, 32, v17
	v_sub_u32_e64 v17, v17, 4 clamp
	v_lshlrev_b32_e32 v19, v17, v16
	v_lshlrev_b32_e32 v17, 23, v17
	v_lshrrev_b32_e32 v19, 4, v19
	v_add_u32_e32 v18, 0x1000000, v16
	v_sub_u32_e32 v17, v19, v17
	v_ashrrev_i32_e32 v18, 8, v18
	v_add_u32_e32 v17, 0x3c000000, v17
	v_and_or_b32 v17, v18, s2, v17
	v_cmp_ne_u32_e32 vcc, 0, v16
	v_cndmask_b32_e32 v16, 0, v17, vcc
	s_brev_b32 s2, 1
	v_and_or_b32 v15, v15, s2, v16
	v_cvt_f16_f32_e32 v15, v15
.LBB25_1482:
	s_mov_b64 s[2:3], 0
.LBB25_1483:
	s_andn2_b64 vcc, exec, s[2:3]
	s_cbranch_vccnz .LBB25_1485
; %bb.1484:
	global_load_ubyte v15, v[8:9], off
	s_movk_i32 s2, 0x7f00
	s_brev_b32 s3, 16
	s_waitcnt vmcnt(0)
	v_lshlrev_b16_e32 v16, 8, v15
	v_lshlrev_b32_e32 v15, 25, v15
	v_lshrrev_b32_e32 v17, 4, v15
	v_and_or_b32 v18, v16, s2, 0.5
	v_or_b32_e32 v17, 0x70000000, v17
	v_add_f32_e32 v18, -0.5, v18
	v_mul_f32_e32 v17, 0x7800000, v17
	v_cmp_gt_u32_e32 vcc, s3, v15
	v_bfe_i32 v16, v16, 0, 16
	v_cndmask_b32_e32 v15, v17, v18, vcc
	s_brev_b32 s2, 1
	v_and_or_b32 v15, v16, s2, v15
	v_cvt_f16_f32_e32 v15, v15
.LBB25_1485:
	s_mov_b64 s[2:3], 0
	s_mov_b64 s[4:5], -1
.LBB25_1486:
	s_andn2_b64 vcc, exec, s[2:3]
	s_mov_b64 s[2:3], 0
	s_cbranch_vccnz .LBB25_1497
; %bb.1487:
	s_cmp_gt_i32 s20, 14
	s_cbranch_scc0 .LBB25_1490
; %bb.1488:
	s_cmp_eq_u32 s20, 15
	s_cbranch_scc0 .LBB25_1493
; %bb.1489:
	global_load_ushort v15, v[8:9], off
	s_mov_b64 s[0:1], 0
	s_mov_b64 s[4:5], -1
	s_waitcnt vmcnt(0)
	v_lshlrev_b32_e32 v15, 16, v15
	v_cvt_f16_f32_e32 v15, v15
	s_branch .LBB25_1494
.LBB25_1490:
	s_mov_b64 s[14:15], -1
                                        ; implicit-def: $vgpr15
	s_branch .LBB25_1495
.LBB25_1491:
	s_or_saveexec_b64 s[4:5], s[4:5]
	v_mov_b32_e32 v15, 0x7e00
	s_xor_b64 exec, exec, s[4:5]
	s_cbranch_execz .LBB25_1472
.LBB25_1492:
	v_cmp_ne_u16_e32 vcc, 0, v16
	s_andn2_b64 s[2:3], s[2:3], exec
	s_and_b64 s[14:15], vcc, exec
	s_or_b64 s[2:3], s[2:3], s[14:15]
	v_mov_b32_e32 v15, v16
	s_or_b64 exec, exec, s[4:5]
	s_and_saveexec_b64 s[4:5], s[2:3]
	s_cbranch_execnz .LBB25_1473
	s_branch .LBB25_1474
.LBB25_1493:
	s_mov_b64 s[0:1], -1
                                        ; implicit-def: $vgpr15
.LBB25_1494:
	s_mov_b64 s[14:15], 0
.LBB25_1495:
	s_and_b64 vcc, exec, s[14:15]
	s_cbranch_vccz .LBB25_1497
; %bb.1496:
	s_cmp_lg_u32 s20, 11
	s_mov_b64 s[2:3], -1
	s_cselect_b64 s[0:1], -1, 0
.LBB25_1497:
	s_and_b64 vcc, exec, s[0:1]
	s_cbranch_vccnz .LBB25_1564
; %bb.1498:
	s_andn2_b64 vcc, exec, s[2:3]
	s_cbranch_vccnz .LBB25_1500
.LBB25_1499:
	global_load_ubyte v15, v[8:9], off
	v_mov_b32_e32 v16, 0x3c00
	s_mov_b64 s[4:5], -1
	s_waitcnt vmcnt(0)
	v_cmp_ne_u16_e32 vcc, 0, v15
	v_cndmask_b32_e32 v15, 0, v16, vcc
.LBB25_1500:
	s_branch .LBB25_1428
.LBB25_1501:
	s_and_b32 s2, 0xffff, s19
	s_cmp_lt_i32 s2, 5
	s_cbranch_scc1 .LBB25_1506
; %bb.1502:
	s_cmp_lt_i32 s2, 8
	s_cbranch_scc1 .LBB25_1507
; %bb.1503:
	;; [unrolled: 3-line block ×3, first 2 shown]
	s_cmp_gt_i32 s2, 9
	s_cbranch_scc0 .LBB25_1509
; %bb.1505:
	global_load_dwordx2 v[15:16], v[8:9], off
	s_movk_i32 s0, 0x1ff
	s_movk_i32 s1, 0xffe
	v_mov_b32_e32 v17, 0x7c00
	v_mov_b32_e32 v18, 0x7e00
	s_movk_i32 s3, 0x40f
	s_mov_b32 s4, 0x8000
	s_waitcnt vmcnt(0)
	v_and_or_b32 v15, v16, s0, v15
	v_cmp_ne_u32_e32 vcc, 0, v15
	v_lshrrev_b32_e32 v19, 8, v16
	v_bfe_u32 v20, v16, 20, 11
	v_cndmask_b32_e64 v15, 0, 1, vcc
	v_sub_u32_e32 v21, 0x3f1, v20
	v_and_or_b32 v15, v19, s1, v15
	v_add_u32_e32 v20, 0xfffffc10, v20
	v_med3_i32 v19, v21, 0, 13
	v_or_b32_e32 v21, 0x1000, v15
	v_cmp_ne_u32_e32 vcc, 0, v15
	v_lshl_or_b32 v22, v20, 12, v15
	v_cndmask_b32_e32 v15, v17, v18, vcc
	v_lshrrev_b32_e32 v18, v19, v21
	v_lshlrev_b32_e32 v19, v19, v18
	v_cmp_ne_u32_e32 vcc, v19, v21
	v_cndmask_b32_e64 v19, 0, 1, vcc
	v_or_b32_e32 v18, v18, v19
	v_cmp_gt_i32_e32 vcc, 1, v20
	v_cndmask_b32_e32 v18, v22, v18, vcc
	v_and_b32_e32 v19, 7, v18
	v_cmp_lt_i32_e32 vcc, 5, v19
	v_cndmask_b32_e64 v21, 0, 1, vcc
	v_cmp_eq_u32_e32 vcc, 3, v19
	v_cndmask_b32_e64 v19, 0, 1, vcc
	v_lshrrev_b32_e32 v18, 2, v18
	v_or_b32_e32 v19, v19, v21
	v_add_u32_e32 v18, v18, v19
	v_cmp_gt_i32_e32 vcc, 31, v20
	v_cndmask_b32_e32 v17, v17, v18, vcc
	v_cmp_eq_u32_e32 vcc, s3, v20
	v_lshrrev_b32_e32 v16, 16, v16
	v_cndmask_b32_e32 v15, v17, v15, vcc
	v_and_or_b32 v15, v16, s4, v15
	s_mov_b64 s[0:1], 0
	s_branch .LBB25_1510
.LBB25_1506:
	s_mov_b64 s[0:1], -1
                                        ; implicit-def: $vgpr15
	s_branch .LBB25_1528
.LBB25_1507:
	s_mov_b64 s[0:1], -1
                                        ; implicit-def: $vgpr15
	s_branch .LBB25_1516
.LBB25_1508:
	s_mov_b64 s[0:1], -1
                                        ; implicit-def: $vgpr15
	s_branch .LBB25_1513
.LBB25_1509:
	s_mov_b64 s[0:1], -1
                                        ; implicit-def: $vgpr15
.LBB25_1510:
	s_andn2_b64 vcc, exec, s[0:1]
	s_cbranch_vccnz .LBB25_1512
; %bb.1511:
	global_load_dword v15, v[8:9], off
	s_waitcnt vmcnt(0)
	v_cvt_f16_f32_e32 v15, v15
.LBB25_1512:
	s_mov_b64 s[0:1], 0
.LBB25_1513:
	s_andn2_b64 vcc, exec, s[0:1]
	s_cbranch_vccnz .LBB25_1515
; %bb.1514:
	global_load_dword v15, v[8:9], off
.LBB25_1515:
	s_mov_b64 s[0:1], 0
.LBB25_1516:
	s_andn2_b64 vcc, exec, s[0:1]
	s_cbranch_vccnz .LBB25_1527
; %bb.1517:
	s_cmp_lt_i32 s2, 6
	s_cbranch_scc1 .LBB25_1520
; %bb.1518:
	s_cmp_gt_i32 s2, 6
	s_cbranch_scc0 .LBB25_1521
; %bb.1519:
	global_load_dwordx2 v[15:16], v[8:9], off
	s_movk_i32 s0, 0x1ff
	s_movk_i32 s1, 0xffe
	v_mov_b32_e32 v17, 0x7c00
	v_mov_b32_e32 v18, 0x7e00
	s_movk_i32 s3, 0x40f
	s_mov_b32 s4, 0x8000
	s_waitcnt vmcnt(0)
	v_and_or_b32 v15, v16, s0, v15
	v_cmp_ne_u32_e32 vcc, 0, v15
	v_lshrrev_b32_e32 v19, 8, v16
	v_bfe_u32 v20, v16, 20, 11
	v_cndmask_b32_e64 v15, 0, 1, vcc
	v_sub_u32_e32 v21, 0x3f1, v20
	v_and_or_b32 v15, v19, s1, v15
	v_add_u32_e32 v20, 0xfffffc10, v20
	v_med3_i32 v19, v21, 0, 13
	v_or_b32_e32 v21, 0x1000, v15
	v_cmp_ne_u32_e32 vcc, 0, v15
	v_lshl_or_b32 v22, v20, 12, v15
	v_cndmask_b32_e32 v15, v17, v18, vcc
	v_lshrrev_b32_e32 v18, v19, v21
	v_lshlrev_b32_e32 v19, v19, v18
	v_cmp_ne_u32_e32 vcc, v19, v21
	v_cndmask_b32_e64 v19, 0, 1, vcc
	v_or_b32_e32 v18, v18, v19
	v_cmp_gt_i32_e32 vcc, 1, v20
	v_cndmask_b32_e32 v18, v22, v18, vcc
	v_and_b32_e32 v19, 7, v18
	v_cmp_lt_i32_e32 vcc, 5, v19
	v_cndmask_b32_e64 v21, 0, 1, vcc
	v_cmp_eq_u32_e32 vcc, 3, v19
	v_cndmask_b32_e64 v19, 0, 1, vcc
	v_lshrrev_b32_e32 v18, 2, v18
	v_or_b32_e32 v19, v19, v21
	v_add_u32_e32 v18, v18, v19
	v_cmp_gt_i32_e32 vcc, 31, v20
	v_cndmask_b32_e32 v17, v17, v18, vcc
	v_cmp_eq_u32_e32 vcc, s3, v20
	v_lshrrev_b32_e32 v16, 16, v16
	v_cndmask_b32_e32 v15, v17, v15, vcc
	v_and_or_b32 v15, v16, s4, v15
	s_mov_b64 s[0:1], 0
	s_branch .LBB25_1522
.LBB25_1520:
	s_mov_b64 s[0:1], -1
                                        ; implicit-def: $vgpr15
	s_branch .LBB25_1525
.LBB25_1521:
	s_mov_b64 s[0:1], -1
                                        ; implicit-def: $vgpr15
.LBB25_1522:
	s_andn2_b64 vcc, exec, s[0:1]
	s_cbranch_vccnz .LBB25_1524
; %bb.1523:
	global_load_dword v15, v[8:9], off
	s_waitcnt vmcnt(0)
	v_cvt_f16_f32_e32 v15, v15
.LBB25_1524:
	s_mov_b64 s[0:1], 0
.LBB25_1525:
	s_andn2_b64 vcc, exec, s[0:1]
	s_cbranch_vccnz .LBB25_1527
; %bb.1526:
	global_load_ushort v15, v[8:9], off
.LBB25_1527:
	s_mov_b64 s[0:1], 0
.LBB25_1528:
	s_andn2_b64 vcc, exec, s[0:1]
	s_cbranch_vccnz .LBB25_1548
; %bb.1529:
	s_cmp_lt_i32 s2, 2
	s_cbranch_scc1 .LBB25_1533
; %bb.1530:
	s_cmp_lt_i32 s2, 3
	s_cbranch_scc1 .LBB25_1534
; %bb.1531:
	s_cmp_gt_i32 s2, 3
	s_cbranch_scc0 .LBB25_1535
; %bb.1532:
	global_load_dwordx2 v[15:16], v[8:9], off
	s_mov_b64 s[0:1], 0
	s_waitcnt vmcnt(0)
	v_xor_b32_e32 v18, v15, v16
	v_ffbh_i32_e32 v17, v16
	v_ashrrev_i32_e32 v18, 31, v18
	v_add_u32_e32 v17, -1, v17
	v_add_u32_e32 v18, 32, v18
	v_min_u32_e32 v17, v17, v18
	v_lshlrev_b64 v[15:16], v17, v[15:16]
	v_min_u32_e32 v15, 1, v15
	v_or_b32_e32 v15, v16, v15
	v_cvt_f32_i32_e32 v15, v15
	v_sub_u32_e32 v16, 32, v17
	v_ldexp_f32 v15, v15, v16
	v_cvt_f16_f32_e32 v15, v15
	s_branch .LBB25_1536
.LBB25_1533:
	s_mov_b64 s[0:1], -1
                                        ; implicit-def: $vgpr15
	s_branch .LBB25_1542
.LBB25_1534:
	s_mov_b64 s[0:1], -1
                                        ; implicit-def: $vgpr15
	s_branch .LBB25_1539
.LBB25_1535:
	s_mov_b64 s[0:1], -1
                                        ; implicit-def: $vgpr15
.LBB25_1536:
	s_andn2_b64 vcc, exec, s[0:1]
	s_cbranch_vccnz .LBB25_1538
; %bb.1537:
	global_load_dword v15, v[8:9], off
	s_waitcnt vmcnt(0)
	v_cvt_f32_i32_e32 v15, v15
	v_cvt_f16_f32_e32 v15, v15
.LBB25_1538:
	s_mov_b64 s[0:1], 0
.LBB25_1539:
	s_andn2_b64 vcc, exec, s[0:1]
	s_cbranch_vccnz .LBB25_1541
; %bb.1540:
	global_load_ushort v15, v[8:9], off
	s_waitcnt vmcnt(0)
	v_cvt_f16_i16_e32 v15, v15
.LBB25_1541:
	s_mov_b64 s[0:1], 0
.LBB25_1542:
	s_andn2_b64 vcc, exec, s[0:1]
	s_cbranch_vccnz .LBB25_1548
; %bb.1543:
	s_cmp_gt_i32 s2, 0
	s_cbranch_scc0 .LBB25_1545
; %bb.1544:
	global_load_sbyte v15, v[8:9], off
	s_mov_b64 s[0:1], 0
	s_waitcnt vmcnt(0)
	v_cvt_f16_i16_e32 v15, v15
	s_branch .LBB25_1546
.LBB25_1545:
	s_mov_b64 s[0:1], -1
                                        ; implicit-def: $vgpr15
.LBB25_1546:
	s_andn2_b64 vcc, exec, s[0:1]
	s_cbranch_vccnz .LBB25_1548
; %bb.1547:
	global_load_ubyte v8, v[8:9], off
	s_waitcnt vmcnt(0)
	v_cvt_f16_u16_e32 v15, v8
.LBB25_1548:
.LBB25_1549:
	s_waitcnt vmcnt(0)
	v_cvt_f32_f16_e32 v9, v15
	s_brev_b32 s0, 18
                                        ; implicit-def: $vgpr16
                                        ; implicit-def: $vgpr17
	v_and_b32_e32 v15, 0x7fffffff, v9
	v_cmp_nlt_f32_e64 s[0:1], |v9|, s0
	s_and_saveexec_b64 s[2:3], s[0:1]
	s_xor_b64 s[14:15], exec, s[2:3]
	s_cbranch_execz .LBB25_1551
; %bb.1550:
	v_and_b32_e32 v8, 0x7fffff, v15
	v_or_b32_e32 v8, 0x800000, v8
	s_mov_b32 s0, 0xfe5163ab
	v_mad_u64_u32 v[16:17], s[0:1], v8, s0, 0
	v_mov_b32_e32 v18, 0
	s_mov_b32 s0, 0x3c439041
	v_mad_u64_u32 v[19:20], s[0:1], v8, s0, v[17:18]
	s_mov_b32 s0, 0xdb629599
	v_not_b32_e32 v24, 63
	v_mov_b32_e32 v17, v20
	v_mad_u64_u32 v[20:21], s[0:1], v8, s0, v[17:18]
	s_mov_b32 s0, 0xf534ddc0
	v_not_b32_e32 v26, 31
	v_mov_b32_e32 v17, v21
	v_mad_u64_u32 v[21:22], s[0:1], v8, s0, v[17:18]
	v_lshrrev_b32_e32 v17, 23, v15
	v_add_u32_e32 v25, 0xffffff88, v17
	v_mov_b32_e32 v17, v22
	s_mov_b32 s0, 0xfc2757d1
	v_mad_u64_u32 v[22:23], s[0:1], v8, s0, v[17:18]
	v_cmp_lt_u32_e32 vcc, 63, v25
	v_cndmask_b32_e32 v17, 0, v24, vcc
	v_add_u32_e32 v25, v17, v25
	v_mov_b32_e32 v17, v23
	s_mov_b32 s0, 0x4e441529
	v_mad_u64_u32 v[23:24], s[0:1], v8, s0, v[17:18]
	v_cmp_lt_u32_e64 s[0:1], 31, v25
	v_cndmask_b32_e64 v17, 0, v26, s[0:1]
	v_add_u32_e32 v25, v17, v25
	v_mov_b32_e32 v17, v24
	s_mov_b32 s2, 0xa2f9836e
	v_mad_u64_u32 v[17:18], s[2:3], v8, s2, v[17:18]
	v_cmp_lt_u32_e64 s[2:3], 31, v25
	v_cndmask_b32_e64 v8, 0, v26, s[2:3]
	v_cndmask_b32_e32 v24, v23, v21, vcc
	v_cndmask_b32_e32 v17, v17, v22, vcc
	;; [unrolled: 1-line block ×3, first 2 shown]
	v_add_u32_e32 v8, v8, v25
	v_cndmask_b32_e64 v25, v17, v24, s[0:1]
	v_cndmask_b32_e64 v17, v18, v17, s[0:1]
	v_cndmask_b32_e32 v18, v22, v20, vcc
	v_cndmask_b32_e64 v22, v24, v18, s[0:1]
	v_cndmask_b32_e64 v17, v17, v25, s[2:3]
	;; [unrolled: 1-line block ×3, first 2 shown]
	v_sub_u32_e32 v24, 32, v8
	v_alignbit_b32 v25, v17, v23, v24
	v_cmp_eq_u32_e64 s[4:5], 0, v8
	v_cndmask_b32_e64 v8, v25, v17, s[4:5]
	v_cndmask_b32_e32 v17, v21, v19, vcc
	v_cndmask_b32_e64 v18, v18, v17, s[0:1]
	v_cndmask_b32_e64 v19, v22, v18, s[2:3]
	v_alignbit_b32 v21, v23, v19, v24
	v_cndmask_b32_e32 v16, v20, v16, vcc
	v_cndmask_b32_e64 v21, v21, v23, s[4:5]
	v_bfe_u32 v25, v8, 29, 1
	v_cndmask_b32_e64 v16, v17, v16, s[0:1]
	v_alignbit_b32 v22, v8, v21, 30
	v_sub_u32_e32 v26, 0, v25
	v_cndmask_b32_e64 v16, v18, v16, s[2:3]
	v_xor_b32_e32 v22, v22, v26
	v_alignbit_b32 v17, v19, v16, v24
	v_cndmask_b32_e64 v17, v17, v19, s[4:5]
	v_ffbh_u32_e32 v19, v22
	v_alignbit_b32 v18, v21, v17, 30
	v_min_u32_e32 v19, 32, v19
	v_alignbit_b32 v16, v17, v16, 30
	v_xor_b32_e32 v18, v18, v26
	v_sub_u32_e32 v20, 31, v19
	v_xor_b32_e32 v16, v16, v26
	v_alignbit_b32 v21, v22, v18, v20
	v_alignbit_b32 v16, v18, v16, v20
	;; [unrolled: 1-line block ×3, first 2 shown]
	v_ffbh_u32_e32 v18, v17
	v_min_u32_e32 v18, 32, v18
	v_lshrrev_b32_e32 v23, 29, v8
	v_not_b32_e32 v20, v18
	v_alignbit_b32 v16, v17, v16, v20
	v_lshlrev_b32_e32 v17, 31, v23
	v_or_b32_e32 v20, 0x33000000, v17
	v_add_lshl_u32 v18, v18, v19, 23
	v_lshrrev_b32_e32 v16, 9, v16
	v_sub_u32_e32 v18, v20, v18
	v_or_b32_e32 v17, 0.5, v17
	v_lshlrev_b32_e32 v19, 23, v19
	v_or_b32_e32 v16, v18, v16
	v_lshrrev_b32_e32 v18, 9, v21
	v_sub_u32_e32 v17, v17, v19
	v_or_b32_e32 v17, v18, v17
	s_mov_b32 s0, 0x3fc90fda
	v_mul_f32_e32 v18, 0x3fc90fda, v17
	v_fma_f32 v19, v17, s0, -v18
	v_fmac_f32_e32 v19, 0x33a22168, v17
	v_fmac_f32_e32 v19, 0x3fc90fda, v16
	v_lshrrev_b32_e32 v8, 30, v8
	v_add_f32_e32 v17, v18, v19
	v_add_u32_e32 v16, v25, v8
.LBB25_1551:
	s_andn2_saveexec_b64 s[0:1], s[14:15]
	s_cbranch_execz .LBB25_1553
; %bb.1552:
	s_mov_b32 s2, 0x3f22f983
	v_mul_f32_e64 v8, |v9|, s2
	v_rndne_f32_e32 v8, v8
	s_mov_b32 s2, 0xbfc90fda
	v_cvt_i32_f32_e32 v16, v8
	v_fma_f32 v17, v8, s2, |v9|
	v_fmac_f32_e32 v17, 0xb3a22168, v8
	v_fmac_f32_e32 v17, 0xa7c234c4, v8
.LBB25_1553:
	s_or_b64 exec, exec, s[0:1]
	v_mov_b32_e32 v8, s11
	v_add_co_u32_e32 v7, vcc, s10, v7
	s_cmp_lt_i32 s19, 11
	v_addc_co_u32_e32 v8, vcc, 0, v8, vcc
	s_cbranch_scc1 .LBB25_1560
; %bb.1554:
	s_and_b32 s16, 0xffff, s19
	s_cmp_gt_i32 s16, 25
	s_mov_b64 s[2:3], 0
	s_cbranch_scc0 .LBB25_1561
; %bb.1555:
	s_cmp_gt_i32 s16, 28
	s_cbranch_scc0 .LBB25_1562
; %bb.1556:
	s_cmp_gt_i32 s16, 43
	;; [unrolled: 3-line block ×3, first 2 shown]
	s_cbranch_scc0 .LBB25_1565
; %bb.1558:
	s_cmp_eq_u32 s16, 46
	s_mov_b64 s[10:11], 0
	s_cbranch_scc0 .LBB25_1566
; %bb.1559:
	global_load_dword v18, v[7:8], off
	s_mov_b64 s[0:1], 0
	s_mov_b64 s[4:5], -1
	s_waitcnt vmcnt(0)
	v_lshlrev_b32_e32 v18, 16, v18
	v_cvt_f16_f32_e32 v18, v18
	s_branch .LBB25_1567
.LBB25_1560:
	s_mov_b64 s[0:1], -1
	s_mov_b64 s[4:5], 0
                                        ; implicit-def: $vgpr18
	s_branch .LBB25_1633
.LBB25_1561:
	s_mov_b64 s[10:11], -1
	s_mov_b64 s[4:5], 0
	s_mov_b64 s[0:1], 0
                                        ; implicit-def: $vgpr18
	s_branch .LBB25_1596
.LBB25_1562:
	s_mov_b64 s[10:11], -1
	s_mov_b64 s[4:5], 0
	s_mov_b64 s[0:1], 0
                                        ; implicit-def: $vgpr18
	s_branch .LBB25_1577
.LBB25_1563:
	s_mov_b64 s[10:11], -1
	s_mov_b64 s[4:5], 0
	s_mov_b64 s[0:1], 0
                                        ; implicit-def: $vgpr18
	s_branch .LBB25_1572
.LBB25_1564:
	s_trap 2
	s_or_b64 s[12:13], s[12:13], exec
	s_cbranch_execz .LBB25_1499
	s_branch .LBB25_1500
.LBB25_1565:
	s_mov_b64 s[10:11], -1
	s_mov_b64 s[4:5], 0
	s_mov_b64 s[0:1], 0
                                        ; implicit-def: $vgpr18
	s_branch .LBB25_1567
.LBB25_1566:
	s_mov_b64 s[0:1], -1
                                        ; implicit-def: $vgpr18
	s_mov_b64 s[4:5], 0
.LBB25_1567:
	s_and_b64 vcc, exec, s[10:11]
	s_cbranch_vccz .LBB25_1571
; %bb.1568:
	s_cmp_eq_u32 s16, 44
	s_cbranch_scc0 .LBB25_1570
; %bb.1569:
	global_load_ubyte v18, v[7:8], off
	s_movk_i32 s4, 0xff
	v_mov_b32_e32 v20, 0x7e00
	s_mov_b64 s[0:1], 0
	s_waitcnt vmcnt(0)
	v_lshlrev_b32_e32 v19, 23, v18
	v_cvt_f16_f32_e32 v19, v19
	v_cmp_ne_u32_e32 vcc, s4, v18
	s_mov_b64 s[4:5], -1
	v_cndmask_b32_e32 v19, v20, v19, vcc
	v_cmp_ne_u32_e32 vcc, 0, v18
	v_cndmask_b32_e32 v18, 0, v19, vcc
	s_branch .LBB25_1571
.LBB25_1570:
	s_mov_b64 s[0:1], -1
                                        ; implicit-def: $vgpr18
.LBB25_1571:
	s_mov_b64 s[10:11], 0
.LBB25_1572:
	s_and_b64 vcc, exec, s[10:11]
	s_cbranch_vccz .LBB25_1576
; %bb.1573:
	s_cmp_eq_u32 s16, 29
	s_cbranch_scc0 .LBB25_1575
; %bb.1574:
	global_load_dwordx2 v[18:19], v[7:8], off
	s_mov_b64 s[0:1], 0
	s_mov_b64 s[4:5], -1
	s_mov_b64 s[10:11], 0
	s_waitcnt vmcnt(0)
	v_ffbh_u32_e32 v20, v19
	v_min_u32_e32 v20, 32, v20
	v_lshlrev_b64 v[18:19], v20, v[18:19]
	v_min_u32_e32 v18, 1, v18
	v_or_b32_e32 v18, v19, v18
	v_cvt_f32_u32_e32 v18, v18
	v_sub_u32_e32 v19, 32, v20
	v_ldexp_f32 v18, v18, v19
	v_cvt_f16_f32_e32 v18, v18
	s_branch .LBB25_1577
.LBB25_1575:
	s_mov_b64 s[0:1], -1
                                        ; implicit-def: $vgpr18
.LBB25_1576:
	s_mov_b64 s[10:11], 0
.LBB25_1577:
	s_and_b64 vcc, exec, s[10:11]
	s_cbranch_vccz .LBB25_1595
; %bb.1578:
	s_cmp_lt_i32 s16, 27
	s_cbranch_scc1 .LBB25_1581
; %bb.1579:
	s_cmp_gt_i32 s16, 27
	s_cbranch_scc0 .LBB25_1582
; %bb.1580:
	global_load_dword v18, v[7:8], off
	s_mov_b64 s[4:5], 0
	s_waitcnt vmcnt(0)
	v_cvt_f32_u32_e32 v18, v18
	v_cvt_f16_f32_e32 v18, v18
	s_branch .LBB25_1583
.LBB25_1581:
	s_mov_b64 s[4:5], -1
                                        ; implicit-def: $vgpr18
	s_branch .LBB25_1586
.LBB25_1582:
	s_mov_b64 s[4:5], -1
                                        ; implicit-def: $vgpr18
.LBB25_1583:
	s_andn2_b64 vcc, exec, s[4:5]
	s_cbranch_vccnz .LBB25_1585
; %bb.1584:
	global_load_ushort v18, v[7:8], off
	s_waitcnt vmcnt(0)
	v_cvt_f16_u16_e32 v18, v18
.LBB25_1585:
	s_mov_b64 s[4:5], 0
.LBB25_1586:
	s_andn2_b64 vcc, exec, s[4:5]
	s_cbranch_vccnz .LBB25_1594
; %bb.1587:
	global_load_ubyte v19, v[7:8], off
	s_movk_i32 s4, 0x7f
	s_waitcnt vmcnt(0)
	v_cmp_lt_i16_e32 vcc, s4, v19
	s_mov_b64 s[4:5], 0
	s_and_saveexec_b64 s[10:11], vcc
	s_xor_b64 s[10:11], exec, s[10:11]
	s_cbranch_execz .LBB25_1608
; %bb.1588:
	s_movk_i32 s4, 0x80
	v_cmp_eq_u16_e32 vcc, s4, v19
	s_mov_b64 s[4:5], -1
	s_and_saveexec_b64 s[14:15], vcc
; %bb.1589:
	s_xor_b64 s[4:5], exec, -1
; %bb.1590:
	s_or_b64 exec, exec, s[14:15]
	s_and_b64 s[4:5], s[4:5], exec
	s_or_saveexec_b64 s[10:11], s[10:11]
	v_mov_b32_e32 v18, 0x7e00
	s_xor_b64 exec, exec, s[10:11]
	s_cbranch_execnz .LBB25_1609
.LBB25_1591:
	s_or_b64 exec, exec, s[10:11]
	s_and_saveexec_b64 s[10:11], s[4:5]
	s_cbranch_execz .LBB25_1593
.LBB25_1592:
	v_lshlrev_b32_e32 v18, 24, v19
	v_and_b32_e32 v19, 0xffff, v19
	v_and_b32_e32 v20, 7, v19
	v_ffbh_u32_e32 v22, v20
	v_min_u32_e32 v22, 32, v22
	v_subrev_u32_e32 v23, 28, v22
	v_bfe_u32 v21, v19, 3, 4
	v_lshlrev_b32_e32 v19, v23, v19
	v_sub_u32_e32 v22, 29, v22
	v_and_b32_e32 v19, 7, v19
	v_cmp_eq_u32_e32 vcc, 0, v21
	v_cndmask_b32_e32 v21, v21, v22, vcc
	v_cndmask_b32_e32 v19, v20, v19, vcc
	v_mov_b32_e32 v20, 0x3b800000
	v_lshlrev_b32_e32 v19, 20, v19
	v_and_b32_e32 v18, 0x80000000, v18
	v_lshl_add_u32 v20, v21, 23, v20
	v_or3_b32 v18, v18, v20, v19
	v_cvt_f16_f32_e32 v18, v18
.LBB25_1593:
	s_or_b64 exec, exec, s[10:11]
.LBB25_1594:
	s_mov_b64 s[4:5], -1
.LBB25_1595:
	s_mov_b64 s[10:11], 0
.LBB25_1596:
	s_and_b64 vcc, exec, s[10:11]
	s_cbranch_vccz .LBB25_1629
; %bb.1597:
	s_cmp_gt_i32 s16, 22
	s_cbranch_scc0 .LBB25_1607
; %bb.1598:
	s_cmp_lt_i32 s16, 24
	s_cbranch_scc1 .LBB25_1610
; %bb.1599:
	s_cmp_gt_i32 s16, 24
	s_cbranch_scc0 .LBB25_1611
; %bb.1600:
	global_load_ubyte v19, v[7:8], off
	s_movk_i32 s2, 0x7f
	s_waitcnt vmcnt(0)
	v_cmp_lt_i16_e32 vcc, s2, v19
	s_mov_b64 s[2:3], 0
	s_and_saveexec_b64 s[4:5], vcc
	s_xor_b64 s[4:5], exec, s[4:5]
	s_cbranch_execz .LBB25_1623
; %bb.1601:
	s_movk_i32 s2, 0x80
	v_cmp_eq_u16_e32 vcc, s2, v19
	s_mov_b64 s[2:3], -1
	s_and_saveexec_b64 s[10:11], vcc
; %bb.1602:
	s_xor_b64 s[2:3], exec, -1
; %bb.1603:
	s_or_b64 exec, exec, s[10:11]
	s_and_b64 s[2:3], s[2:3], exec
	s_or_saveexec_b64 s[4:5], s[4:5]
	v_mov_b32_e32 v18, 0x7e00
	s_xor_b64 exec, exec, s[4:5]
	s_cbranch_execnz .LBB25_1624
.LBB25_1604:
	s_or_b64 exec, exec, s[4:5]
	s_and_saveexec_b64 s[4:5], s[2:3]
	s_cbranch_execz .LBB25_1606
.LBB25_1605:
	v_lshlrev_b32_e32 v18, 24, v19
	v_and_b32_e32 v19, 0xffff, v19
	v_and_b32_e32 v20, 3, v19
	v_ffbh_u32_e32 v22, v20
	v_min_u32_e32 v22, 32, v22
	v_subrev_u32_e32 v23, 29, v22
	v_bfe_u32 v21, v19, 2, 5
	v_lshlrev_b32_e32 v19, v23, v19
	v_sub_u32_e32 v22, 30, v22
	v_and_b32_e32 v19, 3, v19
	v_cmp_eq_u32_e32 vcc, 0, v21
	v_cndmask_b32_e32 v21, v21, v22, vcc
	v_cndmask_b32_e32 v19, v20, v19, vcc
	v_mov_b32_e32 v20, 0x37800000
	v_lshlrev_b32_e32 v19, 21, v19
	v_and_b32_e32 v18, 0x80000000, v18
	v_lshl_add_u32 v20, v21, 23, v20
	v_or3_b32 v18, v18, v20, v19
	v_cvt_f16_f32_e32 v18, v18
.LBB25_1606:
	s_or_b64 exec, exec, s[4:5]
	s_mov_b64 s[2:3], 0
	s_branch .LBB25_1612
.LBB25_1607:
	s_mov_b64 s[2:3], -1
                                        ; implicit-def: $vgpr18
	s_branch .LBB25_1618
.LBB25_1608:
	s_or_saveexec_b64 s[10:11], s[10:11]
	v_mov_b32_e32 v18, 0x7e00
	s_xor_b64 exec, exec, s[10:11]
	s_cbranch_execz .LBB25_1591
.LBB25_1609:
	v_cmp_ne_u16_e32 vcc, 0, v19
	s_andn2_b64 s[4:5], s[4:5], exec
	s_and_b64 s[14:15], vcc, exec
	s_or_b64 s[4:5], s[4:5], s[14:15]
	v_mov_b32_e32 v18, v19
	s_or_b64 exec, exec, s[10:11]
	s_and_saveexec_b64 s[10:11], s[4:5]
	s_cbranch_execnz .LBB25_1592
	s_branch .LBB25_1593
.LBB25_1610:
	s_mov_b64 s[2:3], -1
                                        ; implicit-def: $vgpr18
	s_branch .LBB25_1615
.LBB25_1611:
	s_mov_b64 s[2:3], -1
                                        ; implicit-def: $vgpr18
.LBB25_1612:
	s_and_b64 vcc, exec, s[2:3]
	s_cbranch_vccz .LBB25_1614
; %bb.1613:
	global_load_ubyte v18, v[7:8], off
	s_mov_b32 s2, 0x7f800000
	s_waitcnt vmcnt(0)
	v_lshlrev_b32_e32 v18, 24, v18
	v_and_b32_e32 v19, 0x7f000000, v18
	v_ffbh_u32_e32 v20, v19
	v_min_u32_e32 v20, 32, v20
	v_sub_u32_e64 v20, v20, 4 clamp
	v_lshlrev_b32_e32 v22, v20, v19
	v_lshlrev_b32_e32 v20, 23, v20
	v_lshrrev_b32_e32 v22, 4, v22
	v_add_u32_e32 v21, 0x1000000, v19
	v_sub_u32_e32 v20, v22, v20
	v_ashrrev_i32_e32 v21, 8, v21
	v_add_u32_e32 v20, 0x3c000000, v20
	v_and_or_b32 v20, v21, s2, v20
	v_cmp_ne_u32_e32 vcc, 0, v19
	v_cndmask_b32_e32 v19, 0, v20, vcc
	s_brev_b32 s2, 1
	v_and_or_b32 v18, v18, s2, v19
	v_cvt_f16_f32_e32 v18, v18
.LBB25_1614:
	s_mov_b64 s[2:3], 0
.LBB25_1615:
	s_andn2_b64 vcc, exec, s[2:3]
	s_cbranch_vccnz .LBB25_1617
; %bb.1616:
	global_load_ubyte v18, v[7:8], off
	s_movk_i32 s2, 0x7f00
	s_brev_b32 s3, 16
	s_waitcnt vmcnt(0)
	v_lshlrev_b16_e32 v19, 8, v18
	v_lshlrev_b32_e32 v18, 25, v18
	v_lshrrev_b32_e32 v20, 4, v18
	v_and_or_b32 v21, v19, s2, 0.5
	v_or_b32_e32 v20, 0x70000000, v20
	v_add_f32_e32 v21, -0.5, v21
	v_mul_f32_e32 v20, 0x7800000, v20
	v_cmp_gt_u32_e32 vcc, s3, v18
	v_bfe_i32 v19, v19, 0, 16
	v_cndmask_b32_e32 v18, v20, v21, vcc
	s_brev_b32 s2, 1
	v_and_or_b32 v18, v19, s2, v18
	v_cvt_f16_f32_e32 v18, v18
.LBB25_1617:
	s_mov_b64 s[2:3], 0
	s_mov_b64 s[4:5], -1
.LBB25_1618:
	s_andn2_b64 vcc, exec, s[2:3]
	s_mov_b64 s[2:3], 0
	s_cbranch_vccnz .LBB25_1629
; %bb.1619:
	s_cmp_gt_i32 s16, 14
	s_cbranch_scc0 .LBB25_1622
; %bb.1620:
	s_cmp_eq_u32 s16, 15
	s_cbranch_scc0 .LBB25_1625
; %bb.1621:
	global_load_ushort v18, v[7:8], off
	s_mov_b64 s[0:1], 0
	s_mov_b64 s[4:5], -1
	s_waitcnt vmcnt(0)
	v_lshlrev_b32_e32 v18, 16, v18
	v_cvt_f16_f32_e32 v18, v18
	s_branch .LBB25_1626
.LBB25_1622:
	s_mov_b64 s[10:11], -1
                                        ; implicit-def: $vgpr18
	s_branch .LBB25_1627
.LBB25_1623:
	s_or_saveexec_b64 s[4:5], s[4:5]
	v_mov_b32_e32 v18, 0x7e00
	s_xor_b64 exec, exec, s[4:5]
	s_cbranch_execz .LBB25_1604
.LBB25_1624:
	v_cmp_ne_u16_e32 vcc, 0, v19
	s_andn2_b64 s[2:3], s[2:3], exec
	s_and_b64 s[10:11], vcc, exec
	s_or_b64 s[2:3], s[2:3], s[10:11]
	v_mov_b32_e32 v18, v19
	s_or_b64 exec, exec, s[4:5]
	s_and_saveexec_b64 s[4:5], s[2:3]
	s_cbranch_execnz .LBB25_1605
	s_branch .LBB25_1606
.LBB25_1625:
	s_mov_b64 s[0:1], -1
                                        ; implicit-def: $vgpr18
.LBB25_1626:
	s_mov_b64 s[10:11], 0
.LBB25_1627:
	s_and_b64 vcc, exec, s[10:11]
	s_cbranch_vccz .LBB25_1629
; %bb.1628:
	s_cmp_lg_u32 s16, 11
	s_mov_b64 s[2:3], -1
	s_cselect_b64 s[0:1], -1, 0
.LBB25_1629:
	s_and_b64 vcc, exec, s[0:1]
	s_cbranch_vccnz .LBB25_2166
; %bb.1630:
	s_andn2_b64 vcc, exec, s[2:3]
	s_cbranch_vccnz .LBB25_1632
.LBB25_1631:
	global_load_ubyte v18, v[7:8], off
	v_mov_b32_e32 v19, 0x3c00
	s_mov_b64 s[4:5], -1
	s_waitcnt vmcnt(0)
	v_cmp_ne_u16_e32 vcc, 0, v18
	v_cndmask_b32_e32 v18, 0, v19, vcc
.LBB25_1632:
	s_mov_b64 s[0:1], 0
.LBB25_1633:
	s_and_b64 vcc, exec, s[0:1]
	s_cbranch_vccz .LBB25_1682
; %bb.1634:
	s_and_b32 s2, 0xffff, s19
	s_cmp_lt_i32 s2, 5
	s_cbranch_scc1 .LBB25_1639
; %bb.1635:
	s_cmp_lt_i32 s2, 8
	s_cbranch_scc1 .LBB25_1640
; %bb.1636:
	;; [unrolled: 3-line block ×3, first 2 shown]
	s_cmp_gt_i32 s2, 9
	s_cbranch_scc0 .LBB25_1642
; %bb.1638:
	global_load_dwordx2 v[18:19], v[7:8], off
	s_movk_i32 s0, 0x1ff
	s_movk_i32 s1, 0xffe
	v_mov_b32_e32 v20, 0x7c00
	v_mov_b32_e32 v21, 0x7e00
	s_movk_i32 s3, 0x40f
	s_mov_b32 s4, 0x8000
	s_waitcnt vmcnt(0)
	v_and_or_b32 v18, v19, s0, v18
	v_cmp_ne_u32_e32 vcc, 0, v18
	v_lshrrev_b32_e32 v22, 8, v19
	v_bfe_u32 v23, v19, 20, 11
	v_cndmask_b32_e64 v18, 0, 1, vcc
	v_sub_u32_e32 v24, 0x3f1, v23
	v_and_or_b32 v18, v22, s1, v18
	v_add_u32_e32 v23, 0xfffffc10, v23
	v_med3_i32 v22, v24, 0, 13
	v_or_b32_e32 v24, 0x1000, v18
	v_cmp_ne_u32_e32 vcc, 0, v18
	v_lshl_or_b32 v25, v23, 12, v18
	v_cndmask_b32_e32 v18, v20, v21, vcc
	v_lshrrev_b32_e32 v21, v22, v24
	v_lshlrev_b32_e32 v22, v22, v21
	v_cmp_ne_u32_e32 vcc, v22, v24
	v_cndmask_b32_e64 v22, 0, 1, vcc
	v_or_b32_e32 v21, v21, v22
	v_cmp_gt_i32_e32 vcc, 1, v23
	v_cndmask_b32_e32 v21, v25, v21, vcc
	v_and_b32_e32 v22, 7, v21
	v_cmp_lt_i32_e32 vcc, 5, v22
	v_cndmask_b32_e64 v24, 0, 1, vcc
	v_cmp_eq_u32_e32 vcc, 3, v22
	v_cndmask_b32_e64 v22, 0, 1, vcc
	v_lshrrev_b32_e32 v21, 2, v21
	v_or_b32_e32 v22, v22, v24
	v_add_u32_e32 v21, v21, v22
	v_cmp_gt_i32_e32 vcc, 31, v23
	v_cndmask_b32_e32 v20, v20, v21, vcc
	v_cmp_eq_u32_e32 vcc, s3, v23
	v_lshrrev_b32_e32 v19, 16, v19
	v_cndmask_b32_e32 v18, v20, v18, vcc
	v_and_or_b32 v18, v19, s4, v18
	s_mov_b64 s[0:1], 0
	s_branch .LBB25_1643
.LBB25_1639:
	s_mov_b64 s[0:1], -1
                                        ; implicit-def: $vgpr18
	s_branch .LBB25_1661
.LBB25_1640:
	s_mov_b64 s[0:1], -1
                                        ; implicit-def: $vgpr18
	s_branch .LBB25_1649
.LBB25_1641:
	s_mov_b64 s[0:1], -1
                                        ; implicit-def: $vgpr18
	s_branch .LBB25_1646
.LBB25_1642:
	s_mov_b64 s[0:1], -1
                                        ; implicit-def: $vgpr18
.LBB25_1643:
	s_andn2_b64 vcc, exec, s[0:1]
	s_cbranch_vccnz .LBB25_1645
; %bb.1644:
	global_load_dword v18, v[7:8], off
	s_waitcnt vmcnt(0)
	v_cvt_f16_f32_e32 v18, v18
.LBB25_1645:
	s_mov_b64 s[0:1], 0
.LBB25_1646:
	s_andn2_b64 vcc, exec, s[0:1]
	s_cbranch_vccnz .LBB25_1648
; %bb.1647:
	global_load_dword v18, v[7:8], off
.LBB25_1648:
	s_mov_b64 s[0:1], 0
.LBB25_1649:
	s_andn2_b64 vcc, exec, s[0:1]
	s_cbranch_vccnz .LBB25_1660
; %bb.1650:
	s_cmp_lt_i32 s2, 6
	s_cbranch_scc1 .LBB25_1653
; %bb.1651:
	s_cmp_gt_i32 s2, 6
	s_cbranch_scc0 .LBB25_1654
; %bb.1652:
	global_load_dwordx2 v[18:19], v[7:8], off
	s_movk_i32 s0, 0x1ff
	s_movk_i32 s1, 0xffe
	v_mov_b32_e32 v20, 0x7c00
	v_mov_b32_e32 v21, 0x7e00
	s_movk_i32 s3, 0x40f
	s_mov_b32 s4, 0x8000
	s_waitcnt vmcnt(0)
	v_and_or_b32 v18, v19, s0, v18
	v_cmp_ne_u32_e32 vcc, 0, v18
	v_lshrrev_b32_e32 v22, 8, v19
	v_bfe_u32 v23, v19, 20, 11
	v_cndmask_b32_e64 v18, 0, 1, vcc
	v_sub_u32_e32 v24, 0x3f1, v23
	v_and_or_b32 v18, v22, s1, v18
	v_add_u32_e32 v23, 0xfffffc10, v23
	v_med3_i32 v22, v24, 0, 13
	v_or_b32_e32 v24, 0x1000, v18
	v_cmp_ne_u32_e32 vcc, 0, v18
	v_lshl_or_b32 v25, v23, 12, v18
	v_cndmask_b32_e32 v18, v20, v21, vcc
	v_lshrrev_b32_e32 v21, v22, v24
	v_lshlrev_b32_e32 v22, v22, v21
	v_cmp_ne_u32_e32 vcc, v22, v24
	v_cndmask_b32_e64 v22, 0, 1, vcc
	v_or_b32_e32 v21, v21, v22
	v_cmp_gt_i32_e32 vcc, 1, v23
	v_cndmask_b32_e32 v21, v25, v21, vcc
	v_and_b32_e32 v22, 7, v21
	v_cmp_lt_i32_e32 vcc, 5, v22
	v_cndmask_b32_e64 v24, 0, 1, vcc
	v_cmp_eq_u32_e32 vcc, 3, v22
	v_cndmask_b32_e64 v22, 0, 1, vcc
	v_lshrrev_b32_e32 v21, 2, v21
	v_or_b32_e32 v22, v22, v24
	v_add_u32_e32 v21, v21, v22
	v_cmp_gt_i32_e32 vcc, 31, v23
	v_cndmask_b32_e32 v20, v20, v21, vcc
	v_cmp_eq_u32_e32 vcc, s3, v23
	v_lshrrev_b32_e32 v19, 16, v19
	v_cndmask_b32_e32 v18, v20, v18, vcc
	v_and_or_b32 v18, v19, s4, v18
	s_mov_b64 s[0:1], 0
	s_branch .LBB25_1655
.LBB25_1653:
	s_mov_b64 s[0:1], -1
                                        ; implicit-def: $vgpr18
	s_branch .LBB25_1658
.LBB25_1654:
	s_mov_b64 s[0:1], -1
                                        ; implicit-def: $vgpr18
.LBB25_1655:
	s_andn2_b64 vcc, exec, s[0:1]
	s_cbranch_vccnz .LBB25_1657
; %bb.1656:
	global_load_dword v18, v[7:8], off
	s_waitcnt vmcnt(0)
	v_cvt_f16_f32_e32 v18, v18
.LBB25_1657:
	s_mov_b64 s[0:1], 0
.LBB25_1658:
	s_andn2_b64 vcc, exec, s[0:1]
	s_cbranch_vccnz .LBB25_1660
; %bb.1659:
	global_load_ushort v18, v[7:8], off
.LBB25_1660:
	s_mov_b64 s[0:1], 0
.LBB25_1661:
	s_andn2_b64 vcc, exec, s[0:1]
	s_cbranch_vccnz .LBB25_1681
; %bb.1662:
	s_cmp_lt_i32 s2, 2
	s_cbranch_scc1 .LBB25_1666
; %bb.1663:
	s_cmp_lt_i32 s2, 3
	s_cbranch_scc1 .LBB25_1667
; %bb.1664:
	s_cmp_gt_i32 s2, 3
	s_cbranch_scc0 .LBB25_1668
; %bb.1665:
	global_load_dwordx2 v[18:19], v[7:8], off
	s_mov_b64 s[0:1], 0
	s_waitcnt vmcnt(0)
	v_xor_b32_e32 v21, v18, v19
	v_ffbh_i32_e32 v20, v19
	v_ashrrev_i32_e32 v21, 31, v21
	v_add_u32_e32 v20, -1, v20
	v_add_u32_e32 v21, 32, v21
	v_min_u32_e32 v20, v20, v21
	v_lshlrev_b64 v[18:19], v20, v[18:19]
	v_min_u32_e32 v18, 1, v18
	v_or_b32_e32 v18, v19, v18
	v_cvt_f32_i32_e32 v18, v18
	v_sub_u32_e32 v19, 32, v20
	v_ldexp_f32 v18, v18, v19
	v_cvt_f16_f32_e32 v18, v18
	s_branch .LBB25_1669
.LBB25_1666:
	s_mov_b64 s[0:1], -1
                                        ; implicit-def: $vgpr18
	s_branch .LBB25_1675
.LBB25_1667:
	s_mov_b64 s[0:1], -1
                                        ; implicit-def: $vgpr18
	s_branch .LBB25_1672
.LBB25_1668:
	s_mov_b64 s[0:1], -1
                                        ; implicit-def: $vgpr18
.LBB25_1669:
	s_andn2_b64 vcc, exec, s[0:1]
	s_cbranch_vccnz .LBB25_1671
; %bb.1670:
	global_load_dword v18, v[7:8], off
	s_waitcnt vmcnt(0)
	v_cvt_f32_i32_e32 v18, v18
	v_cvt_f16_f32_e32 v18, v18
.LBB25_1671:
	s_mov_b64 s[0:1], 0
.LBB25_1672:
	s_andn2_b64 vcc, exec, s[0:1]
	s_cbranch_vccnz .LBB25_1674
; %bb.1673:
	global_load_ushort v18, v[7:8], off
	s_waitcnt vmcnt(0)
	v_cvt_f16_i16_e32 v18, v18
.LBB25_1674:
	s_mov_b64 s[0:1], 0
.LBB25_1675:
	s_andn2_b64 vcc, exec, s[0:1]
	s_cbranch_vccnz .LBB25_1681
; %bb.1676:
	s_cmp_gt_i32 s2, 0
	s_cbranch_scc0 .LBB25_1678
; %bb.1677:
	global_load_sbyte v18, v[7:8], off
	s_mov_b64 s[0:1], 0
	s_waitcnt vmcnt(0)
	v_cvt_f16_i16_e32 v18, v18
	s_branch .LBB25_1679
.LBB25_1678:
	s_mov_b64 s[0:1], -1
                                        ; implicit-def: $vgpr18
.LBB25_1679:
	s_andn2_b64 vcc, exec, s[0:1]
	s_cbranch_vccnz .LBB25_1681
; %bb.1680:
	global_load_ubyte v7, v[7:8], off
	s_waitcnt vmcnt(0)
	v_cvt_f16_u16_e32 v18, v7
.LBB25_1681:
	s_mov_b64 s[4:5], -1
.LBB25_1682:
	s_andn2_b64 vcc, exec, s[4:5]
	s_cbranch_vccnz .LBB25_2120
; %bb.1683:
	s_waitcnt vmcnt(0)
	v_cvt_f32_f16_e32 v7, v18
	s_brev_b32 s0, 18
                                        ; implicit-def: $vgpr18
                                        ; implicit-def: $vgpr19
	v_and_b32_e32 v8, 0x7fffffff, v7
	v_cmp_nlt_f32_e64 s[0:1], |v7|, s0
	s_and_saveexec_b64 s[2:3], s[0:1]
	s_xor_b64 s[10:11], exec, s[2:3]
	s_cbranch_execz .LBB25_1685
; %bb.1684:
	v_and_b32_e32 v18, 0x7fffff, v8
	v_or_b32_e32 v27, 0x800000, v18
	s_mov_b32 s0, 0xfe5163ab
	v_mad_u64_u32 v[18:19], s[0:1], v27, s0, 0
	v_mov_b32_e32 v20, 0
	s_mov_b32 s0, 0x3c439041
	v_mad_u64_u32 v[21:22], s[0:1], v27, s0, v[19:20]
	s_mov_b32 s0, 0xdb629599
	v_not_b32_e32 v26, 63
	v_mov_b32_e32 v19, v22
	v_mad_u64_u32 v[22:23], s[0:1], v27, s0, v[19:20]
	s_mov_b32 s0, 0xf534ddc0
	v_not_b32_e32 v29, 31
	v_mov_b32_e32 v19, v23
	v_mad_u64_u32 v[23:24], s[0:1], v27, s0, v[19:20]
	v_lshrrev_b32_e32 v19, 23, v8
	v_add_u32_e32 v28, 0xffffff88, v19
	v_mov_b32_e32 v19, v24
	s_mov_b32 s0, 0xfc2757d1
	v_mad_u64_u32 v[24:25], s[0:1], v27, s0, v[19:20]
	v_cmp_lt_u32_e32 vcc, 63, v28
	v_cndmask_b32_e32 v19, 0, v26, vcc
	v_add_u32_e32 v28, v19, v28
	v_mov_b32_e32 v19, v25
	s_mov_b32 s0, 0x4e441529
	v_mad_u64_u32 v[25:26], s[0:1], v27, s0, v[19:20]
	v_cmp_lt_u32_e64 s[0:1], 31, v28
	v_cndmask_b32_e64 v19, 0, v29, s[0:1]
	v_add_u32_e32 v28, v19, v28
	v_mov_b32_e32 v19, v26
	s_mov_b32 s2, 0xa2f9836e
	v_mad_u64_u32 v[19:20], s[2:3], v27, s2, v[19:20]
	v_cmp_lt_u32_e64 s[2:3], 31, v28
	v_cndmask_b32_e64 v26, 0, v29, s[2:3]
	v_cndmask_b32_e32 v27, v25, v23, vcc
	v_cndmask_b32_e32 v19, v19, v24, vcc
	v_cndmask_b32_e32 v20, v20, v25, vcc
	v_add_u32_e32 v26, v26, v28
	v_cndmask_b32_e64 v28, v19, v27, s[0:1]
	v_cndmask_b32_e64 v19, v20, v19, s[0:1]
	v_cndmask_b32_e32 v20, v24, v22, vcc
	v_cndmask_b32_e64 v24, v27, v20, s[0:1]
	v_cndmask_b32_e64 v19, v19, v28, s[2:3]
	;; [unrolled: 1-line block ×3, first 2 shown]
	v_sub_u32_e32 v27, 32, v26
	v_alignbit_b32 v28, v19, v25, v27
	v_cmp_eq_u32_e64 s[4:5], 0, v26
	v_cndmask_b32_e64 v26, v28, v19, s[4:5]
	v_cndmask_b32_e32 v19, v23, v21, vcc
	v_cndmask_b32_e64 v20, v20, v19, s[0:1]
	v_cndmask_b32_e64 v21, v24, v20, s[2:3]
	v_alignbit_b32 v23, v25, v21, v27
	v_cndmask_b32_e32 v18, v22, v18, vcc
	v_cndmask_b32_e64 v23, v23, v25, s[4:5]
	v_bfe_u32 v28, v26, 29, 1
	v_cndmask_b32_e64 v18, v19, v18, s[0:1]
	v_alignbit_b32 v24, v26, v23, 30
	v_sub_u32_e32 v29, 0, v28
	v_cndmask_b32_e64 v18, v20, v18, s[2:3]
	v_xor_b32_e32 v24, v24, v29
	v_alignbit_b32 v19, v21, v18, v27
	v_cndmask_b32_e64 v19, v19, v21, s[4:5]
	v_ffbh_u32_e32 v21, v24
	v_alignbit_b32 v20, v23, v19, 30
	v_min_u32_e32 v21, 32, v21
	v_alignbit_b32 v18, v19, v18, 30
	v_xor_b32_e32 v20, v20, v29
	v_sub_u32_e32 v22, 31, v21
	v_xor_b32_e32 v18, v18, v29
	v_alignbit_b32 v23, v24, v20, v22
	v_alignbit_b32 v18, v20, v18, v22
	;; [unrolled: 1-line block ×3, first 2 shown]
	v_ffbh_u32_e32 v20, v19
	v_min_u32_e32 v20, 32, v20
	v_lshrrev_b32_e32 v25, 29, v26
	v_not_b32_e32 v22, v20
	v_alignbit_b32 v18, v19, v18, v22
	v_lshlrev_b32_e32 v19, 31, v25
	v_or_b32_e32 v22, 0x33000000, v19
	v_add_lshl_u32 v20, v20, v21, 23
	v_lshrrev_b32_e32 v18, 9, v18
	v_sub_u32_e32 v20, v22, v20
	v_or_b32_e32 v19, 0.5, v19
	v_lshlrev_b32_e32 v21, 23, v21
	v_or_b32_e32 v18, v20, v18
	v_lshrrev_b32_e32 v20, 9, v23
	v_sub_u32_e32 v19, v19, v21
	v_or_b32_e32 v19, v20, v19
	s_mov_b32 s0, 0x3fc90fda
	v_mul_f32_e32 v20, 0x3fc90fda, v19
	v_fma_f32 v21, v19, s0, -v20
	v_fmac_f32_e32 v21, 0x33a22168, v19
	v_fmac_f32_e32 v21, 0x3fc90fda, v18
	v_lshrrev_b32_e32 v18, 30, v26
	v_add_f32_e32 v19, v20, v21
	v_add_u32_e32 v18, v28, v18
.LBB25_1685:
	s_andn2_saveexec_b64 s[0:1], s[10:11]
	s_cbranch_execz .LBB25_1687
; %bb.1686:
	s_mov_b32 s2, 0x3f22f983
	v_mul_f32_e64 v18, |v7|, s2
	v_rndne_f32_e32 v20, v18
	s_mov_b32 s2, 0xbfc90fda
	v_cvt_i32_f32_e32 v18, v20
	v_fma_f32 v19, v20, s2, |v7|
	v_fmac_f32_e32 v19, 0xb3a22168, v20
	v_fmac_f32_e32 v19, 0xa7c234c4, v20
.LBB25_1687:
	s_or_b64 exec, exec, s[0:1]
	v_mul_f32_e32 v20, v12, v12
	v_mov_b32_e32 v21, 0x3c0881c4
	v_fmac_f32_e32 v21, 0xb94c1982, v20
	v_mov_b32_e32 v22, 0xbe2aaa9d
	v_fmac_f32_e32 v22, v20, v21
	v_mul_f32_e32 v21, v20, v22
	v_fmac_f32_e32 v12, v12, v21
	v_mov_b32_e32 v21, 0xbab64f3b
	v_fmac_f32_e32 v21, 0x37d75334, v20
	v_mov_b32_e32 v22, 0x3d2aabf7
	;; [unrolled: 2-line block ×3, first 2 shown]
	v_fmac_f32_e32 v21, v20, v22
	v_fma_f32 v20, v20, v21, 1.0
	v_and_b32_e32 v21, 1, v5
	v_lshlrev_b32_e32 v5, 30, v5
	v_cmp_eq_u32_e32 vcc, 0, v21
	v_and_b32_e32 v5, 0x80000000, v5
	v_xor_b32_e32 v3, v3, v1
	v_cndmask_b32_e32 v12, v20, v12, vcc
	v_xor_b32_e32 v3, v3, v5
	s_movk_i32 s0, 0x1f8
	v_xor_b32_e32 v3, v3, v12
	v_mov_b32_e32 v5, 0x7fc00000
	v_cmp_class_f32_e64 vcc, v1, s0
	v_cndmask_b32_e32 v1, v5, v3, vcc
	v_cvt_f16_f32_e32 v1, v1
	s_bfe_u32 s16, s18, 0x80008
	v_mov_b32_e32 v3, s9
	v_add_co_u32_e32 v5, vcc, s8, v6
	s_cmp_lt_i32 s16, 11
	v_addc_co_u32_e32 v6, vcc, 0, v3, vcc
	s_cbranch_scc1 .LBB25_1765
; %bb.1688:
	s_and_b32 s17, 0xffff, s16
	s_mov_b64 s[10:11], -1
	s_mov_b64 s[2:3], 0
	s_cmp_gt_i32 s17, 25
	s_mov_b64 s[4:5], 0
	s_mov_b64 s[0:1], 0
	s_cbranch_scc0 .LBB25_1721
; %bb.1689:
	s_cmp_gt_i32 s17, 28
	s_cbranch_scc0 .LBB25_1704
; %bb.1690:
	s_cmp_gt_i32 s17, 43
	;; [unrolled: 3-line block ×3, first 2 shown]
	s_cbranch_scc0 .LBB25_1694
; %bb.1692:
	s_mov_b64 s[0:1], -1
	s_mov_b64 s[10:11], 0
	s_cmp_eq_u32 s17, 46
	s_cbranch_scc0 .LBB25_1694
; %bb.1693:
	v_cvt_f32_f16_e32 v3, v1
	s_movk_i32 s0, 0x7fff
	v_cmp_o_f16_e32 vcc, v1, v1
	v_mov_b32_e32 v12, 0x7fc0
	v_bfe_u32 v20, v3, 16, 1
	v_add3_u32 v3, v3, v20, s0
	v_cndmask_b32_sdwa v3, v12, v3, vcc dst_sel:DWORD dst_unused:UNUSED_PAD src0_sel:DWORD src1_sel:WORD_1
	global_store_dword v[5:6], v3, off
	s_mov_b64 s[0:1], 0
	s_mov_b64 s[4:5], -1
.LBB25_1694:
	s_and_b64 vcc, exec, s[10:11]
	s_cbranch_vccz .LBB25_1699
; %bb.1695:
	s_cmp_eq_u32 s17, 44
	s_mov_b64 s[0:1], -1
	s_cbranch_scc0 .LBB25_1699
; %bb.1696:
	v_cvt_f32_f16_e32 v3, v1
	s_movk_i32 s0, 0xff
	v_mov_b32_e32 v20, 0xff
	v_bfe_u32 v12, v3, 23, 8
	v_cmp_ne_u32_e32 vcc, s0, v12
	s_and_saveexec_b64 s[4:5], vcc
; %bb.1697:
	s_mov_b32 s0, 0x3fffff
	v_lshrrev_b32_e32 v20, 23, v3
	v_and_b32_e32 v21, 0x400000, v3
	v_and_or_b32 v3, v3, s0, v12
	v_cmp_ne_u32_e32 vcc, 0, v21
	v_cmp_ne_u32_e64 s[0:1], 0, v3
	s_and_b64 s[0:1], vcc, s[0:1]
	v_cndmask_b32_e64 v3, 0, 1, s[0:1]
	v_add_u32_e32 v20, v20, v3
; %bb.1698:
	s_or_b64 exec, exec, s[4:5]
	s_mov_b64 s[0:1], 0
	s_mov_b64 s[4:5], -1
	global_store_byte v[5:6], v20, off
.LBB25_1699:
	s_mov_b64 s[10:11], 0
.LBB25_1700:
	s_and_b64 vcc, exec, s[10:11]
	s_cbranch_vccz .LBB25_1703
; %bb.1701:
	s_cmp_eq_u32 s17, 29
	s_mov_b64 s[0:1], -1
	s_cbranch_scc0 .LBB25_1703
; %bb.1702:
	v_cvt_f32_f16_e32 v3, v1
	v_mov_b32_e32 v21, 0
	s_mov_b64 s[0:1], 0
	s_mov_b64 s[4:5], -1
	v_cvt_u32_f32_e32 v20, v3
	global_store_dwordx2 v[5:6], v[20:21], off
.LBB25_1703:
	s_mov_b64 s[10:11], 0
.LBB25_1704:
	s_and_b64 vcc, exec, s[10:11]
	s_cbranch_vccz .LBB25_1720
; %bb.1705:
	s_cmp_lt_i32 s17, 27
	s_mov_b64 s[4:5], -1
	s_cbranch_scc1 .LBB25_1711
; %bb.1706:
	s_cmp_gt_i32 s17, 27
	s_cbranch_scc0 .LBB25_1708
; %bb.1707:
	v_cvt_f32_f16_e32 v3, v1
	s_mov_b64 s[4:5], 0
	v_cvt_u32_f32_e32 v3, v3
	global_store_dword v[5:6], v3, off
.LBB25_1708:
	s_andn2_b64 vcc, exec, s[4:5]
	s_cbranch_vccnz .LBB25_1710
; %bb.1709:
	v_cvt_u16_f16_e32 v3, v1
	global_store_short v[5:6], v3, off
.LBB25_1710:
	s_mov_b64 s[4:5], 0
.LBB25_1711:
	s_andn2_b64 vcc, exec, s[4:5]
	s_cbranch_vccnz .LBB25_1719
; %bb.1712:
	v_cvt_f32_f16_e32 v3, v1
	s_mov_b32 s4, 0x43800000
	v_mov_b32_e32 v20, 0x80
	v_and_b32_e32 v12, 0x7fffffff, v3
	v_cmp_gt_u32_e32 vcc, s4, v12
	s_and_saveexec_b64 s[4:5], vcc
	s_cbranch_execz .LBB25_1718
; %bb.1713:
	s_mov_b32 s10, 0x3bffffff
	v_cmp_lt_u32_e32 vcc, s10, v12
	s_mov_b64 s[10:11], 0
                                        ; implicit-def: $vgpr12
	s_and_saveexec_b64 s[14:15], vcc
	s_xor_b64 s[14:15], exec, s[14:15]
	s_cbranch_execz .LBB25_2167
; %bb.1714:
	v_bfe_u32 v12, v3, 20, 1
	s_mov_b32 s19, 0x487ffff
	v_add3_u32 v12, v3, v12, s19
	s_mov_b64 s[10:11], exec
	v_lshrrev_b32_e32 v12, 20, v12
	s_andn2_saveexec_b64 s[14:15], s[14:15]
	s_cbranch_execnz .LBB25_2168
.LBB25_1715:
	s_or_b64 exec, exec, s[14:15]
	v_mov_b32_e32 v20, 0
	s_and_saveexec_b64 s[14:15], s[10:11]
.LBB25_1716:
	v_lshrrev_b32_e32 v3, 24, v3
	s_movk_i32 s10, 0x80
	v_and_or_b32 v20, v3, s10, v12
.LBB25_1717:
	s_or_b64 exec, exec, s[14:15]
.LBB25_1718:
	s_or_b64 exec, exec, s[4:5]
	global_store_byte v[5:6], v20, off
.LBB25_1719:
	s_mov_b64 s[4:5], -1
.LBB25_1720:
	s_mov_b64 s[10:11], 0
.LBB25_1721:
	s_and_b64 vcc, exec, s[10:11]
	s_cbranch_vccz .LBB25_1761
; %bb.1722:
	s_cmp_gt_i32 s17, 22
	s_mov_b64 s[2:3], -1
	s_cbranch_scc0 .LBB25_1754
; %bb.1723:
	s_cmp_lt_i32 s17, 24
	s_cbranch_scc1 .LBB25_1743
; %bb.1724:
	s_cmp_gt_i32 s17, 24
	s_cbranch_scc0 .LBB25_1732
; %bb.1725:
	v_cvt_f32_f16_e32 v3, v1
	s_mov_b32 s2, 0x47800000
	v_mov_b32_e32 v20, 0x80
	v_and_b32_e32 v12, 0x7fffffff, v3
	v_cmp_gt_u32_e32 vcc, s2, v12
	s_and_saveexec_b64 s[2:3], vcc
	s_cbranch_execz .LBB25_1731
; %bb.1726:
	s_mov_b32 s4, 0x37ffffff
	v_cmp_lt_u32_e32 vcc, s4, v12
	s_mov_b64 s[4:5], 0
                                        ; implicit-def: $vgpr12
	s_and_saveexec_b64 s[10:11], vcc
	s_xor_b64 s[10:11], exec, s[10:11]
	s_cbranch_execz .LBB25_2170
; %bb.1727:
	v_bfe_u32 v12, v3, 21, 1
	s_mov_b32 s14, 0x88fffff
	v_add3_u32 v12, v3, v12, s14
	s_mov_b64 s[4:5], exec
	v_lshrrev_b32_e32 v12, 21, v12
	s_andn2_saveexec_b64 s[10:11], s[10:11]
	s_cbranch_execnz .LBB25_2171
.LBB25_1728:
	s_or_b64 exec, exec, s[10:11]
	v_mov_b32_e32 v20, 0
	s_and_saveexec_b64 s[10:11], s[4:5]
.LBB25_1729:
	v_lshrrev_b32_e32 v3, 24, v3
	s_movk_i32 s4, 0x80
	v_and_or_b32 v20, v3, s4, v12
.LBB25_1730:
	s_or_b64 exec, exec, s[10:11]
.LBB25_1731:
	s_or_b64 exec, exec, s[2:3]
	s_mov_b64 s[2:3], 0
	global_store_byte v[5:6], v20, off
.LBB25_1732:
	s_and_b64 vcc, exec, s[2:3]
	s_cbranch_vccz .LBB25_1742
; %bb.1733:
	v_cvt_f32_f16_e32 v3, v1
	s_mov_b32 s2, 0x43f00000
                                        ; implicit-def: $vgpr12
	v_and_b32_e32 v20, 0x7fffffff, v3
	v_cmp_gt_u32_e32 vcc, s2, v20
	s_and_saveexec_b64 s[2:3], vcc
	s_xor_b64 s[2:3], exec, s[2:3]
	s_cbranch_execz .LBB25_1739
; %bb.1734:
	s_mov_b32 s4, 0x3c7fffff
	v_cmp_lt_u32_e32 vcc, s4, v20
                                        ; implicit-def: $vgpr12
	s_and_saveexec_b64 s[4:5], vcc
	s_xor_b64 s[4:5], exec, s[4:5]
; %bb.1735:
	v_bfe_u32 v12, v3, 20, 1
	s_mov_b32 s10, 0x407ffff
	v_add3_u32 v12, v3, v12, s10
	v_lshrrev_b32_e32 v20, 20, v12
	v_and_b32_e32 v12, 0xff00000, v12
	s_mov_b32 s10, 0x7f00000
	v_mov_b32_e32 v21, 0x7e
	v_cmp_ne_u32_e32 vcc, s10, v12
	v_cndmask_b32_e32 v12, v21, v20, vcc
; %bb.1736:
	s_andn2_saveexec_b64 s[4:5], s[4:5]
; %bb.1737:
	s_mov_b32 s10, 0x46800000
	v_add_f32_e64 v12, |v3|, s10
; %bb.1738:
	s_or_b64 exec, exec, s[4:5]
                                        ; implicit-def: $vgpr20
.LBB25_1739:
	s_andn2_saveexec_b64 s[2:3], s[2:3]
; %bb.1740:
	s_mov_b32 s4, 0x7f800000
	v_mov_b32_e32 v12, 0x7e
	v_mov_b32_e32 v21, 0x7f
	v_cmp_lt_u32_e32 vcc, s4, v20
	v_cndmask_b32_e32 v12, v12, v21, vcc
; %bb.1741:
	s_or_b64 exec, exec, s[2:3]
	v_lshrrev_b32_e32 v3, 24, v3
	s_movk_i32 s2, 0x80
	v_and_or_b32 v3, v3, s2, v12
	global_store_byte v[5:6], v3, off
.LBB25_1742:
	s_mov_b64 s[2:3], 0
.LBB25_1743:
	s_andn2_b64 vcc, exec, s[2:3]
	s_cbranch_vccnz .LBB25_1753
; %bb.1744:
	v_cvt_f32_f16_e32 v3, v1
	s_mov_b32 s2, 0x47800000
                                        ; implicit-def: $vgpr12
	v_and_b32_e32 v20, 0x7fffffff, v3
	v_cmp_gt_u32_e32 vcc, s2, v20
	s_and_saveexec_b64 s[2:3], vcc
	s_xor_b64 s[2:3], exec, s[2:3]
	s_cbranch_execz .LBB25_1750
; %bb.1745:
	s_mov_b32 s4, 0x387fffff
	v_cmp_lt_u32_e32 vcc, s4, v20
                                        ; implicit-def: $vgpr12
	s_and_saveexec_b64 s[4:5], vcc
	s_xor_b64 s[4:5], exec, s[4:5]
; %bb.1746:
	v_bfe_u32 v12, v3, 21, 1
	s_mov_b32 s10, 0x80fffff
	v_add3_u32 v12, v3, v12, s10
	v_lshrrev_b32_e32 v12, 21, v12
; %bb.1747:
	s_andn2_saveexec_b64 s[4:5], s[4:5]
; %bb.1748:
	s_mov_b32 s10, 0x43000000
	v_add_f32_e64 v12, |v3|, s10
; %bb.1749:
	s_or_b64 exec, exec, s[4:5]
                                        ; implicit-def: $vgpr20
.LBB25_1750:
	s_andn2_saveexec_b64 s[2:3], s[2:3]
; %bb.1751:
	s_mov_b32 s4, 0x7f800000
	v_mov_b32_e32 v12, 0x7c
	v_mov_b32_e32 v21, 0x7f
	v_cmp_lt_u32_e32 vcc, s4, v20
	v_cndmask_b32_e32 v12, v12, v21, vcc
; %bb.1752:
	s_or_b64 exec, exec, s[2:3]
	v_lshrrev_b32_e32 v3, 24, v3
	s_movk_i32 s2, 0x80
	v_and_or_b32 v3, v3, s2, v12
	global_store_byte v[5:6], v3, off
.LBB25_1753:
	s_mov_b64 s[2:3], 0
	s_mov_b64 s[4:5], -1
.LBB25_1754:
	s_andn2_b64 vcc, exec, s[2:3]
	s_mov_b64 s[2:3], 0
	s_cbranch_vccnz .LBB25_1761
; %bb.1755:
	s_cmp_gt_i32 s17, 14
	s_mov_b64 s[10:11], -1
	s_cbranch_scc0 .LBB25_1759
; %bb.1756:
	s_cmp_eq_u32 s17, 15
	s_mov_b64 s[0:1], -1
	s_cbranch_scc0 .LBB25_1758
; %bb.1757:
	v_cvt_f32_f16_e32 v3, v1
	s_movk_i32 s0, 0x7fff
	v_cmp_o_f16_e32 vcc, v1, v1
	v_mov_b32_e32 v12, 0x7fc0
	v_bfe_u32 v20, v3, 16, 1
	v_add3_u32 v3, v3, v20, s0
	v_cndmask_b32_sdwa v3, v12, v3, vcc dst_sel:DWORD dst_unused:UNUSED_PAD src0_sel:DWORD src1_sel:WORD_1
	global_store_short v[5:6], v3, off
	s_mov_b64 s[0:1], 0
	s_mov_b64 s[4:5], -1
.LBB25_1758:
	s_mov_b64 s[10:11], 0
.LBB25_1759:
	s_and_b64 vcc, exec, s[10:11]
	s_cbranch_vccz .LBB25_1761
; %bb.1760:
	s_cmp_lg_u32 s17, 11
	s_mov_b64 s[2:3], -1
	s_cselect_b64 s[0:1], -1, 0
.LBB25_1761:
	s_and_b64 vcc, exec, s[0:1]
	s_cbranch_vccnz .LBB25_2169
; %bb.1762:
	s_andn2_b64 vcc, exec, s[2:3]
	s_cbranch_vccnz .LBB25_1764
.LBB25_1763:
	v_cmp_neq_f16_e32 vcc, 0, v1
	v_cndmask_b32_e64 v3, 0, 1, vcc
	s_mov_b64 s[4:5], -1
	global_store_byte v[5:6], v3, off
.LBB25_1764:
	s_mov_b64 s[0:1], 0
	s_branch .LBB25_1766
.LBB25_1765:
	s_mov_b64 s[0:1], -1
	s_mov_b64 s[4:5], 0
.LBB25_1766:
	s_and_b64 vcc, exec, s[0:1]
	s_cbranch_vccz .LBB25_1805
; %bb.1767:
	s_and_b32 s2, 0xffff, s16
	s_cmp_lt_i32 s2, 5
	s_mov_b64 s[0:1], -1
	s_cbranch_scc1 .LBB25_1788
; %bb.1768:
	s_cmp_lt_i32 s2, 8
	s_cbranch_scc1 .LBB25_1778
; %bb.1769:
	s_cmp_lt_i32 s2, 9
	s_cbranch_scc1 .LBB25_1775
; %bb.1770:
	s_cmp_gt_i32 s2, 9
	s_cbranch_scc0 .LBB25_1772
; %bb.1771:
	v_cvt_f32_f16_e32 v3, v1
	v_mov_b32_e32 v22, 0
	v_mov_b32_e32 v23, v22
	s_mov_b64 s[0:1], 0
	v_cvt_f64_f32_e32 v[20:21], v3
	global_store_dwordx4 v[5:6], v[20:23], off
.LBB25_1772:
	s_andn2_b64 vcc, exec, s[0:1]
	s_cbranch_vccnz .LBB25_1774
; %bb.1773:
	v_cvt_f32_f16_e32 v20, v1
	v_mov_b32_e32 v21, 0
	global_store_dwordx2 v[5:6], v[20:21], off
.LBB25_1774:
	s_mov_b64 s[0:1], 0
.LBB25_1775:
	s_andn2_b64 vcc, exec, s[0:1]
	s_cbranch_vccnz .LBB25_1777
; %bb.1776:
	global_store_dword v[5:6], v1, off
.LBB25_1777:
	s_mov_b64 s[0:1], 0
.LBB25_1778:
	s_andn2_b64 vcc, exec, s[0:1]
	s_cbranch_vccnz .LBB25_1787
; %bb.1779:
	s_cmp_lt_i32 s2, 6
	s_mov_b64 s[0:1], -1
	s_cbranch_scc1 .LBB25_1785
; %bb.1780:
	s_cmp_gt_i32 s2, 6
	s_cbranch_scc0 .LBB25_1782
; %bb.1781:
	v_cvt_f32_f16_e32 v3, v1
	s_mov_b64 s[0:1], 0
	v_cvt_f64_f32_e32 v[20:21], v3
	global_store_dwordx2 v[5:6], v[20:21], off
.LBB25_1782:
	s_andn2_b64 vcc, exec, s[0:1]
	s_cbranch_vccnz .LBB25_1784
; %bb.1783:
	v_cvt_f32_f16_e32 v3, v1
	global_store_dword v[5:6], v3, off
.LBB25_1784:
	s_mov_b64 s[0:1], 0
.LBB25_1785:
	s_andn2_b64 vcc, exec, s[0:1]
	s_cbranch_vccnz .LBB25_1787
; %bb.1786:
	global_store_short v[5:6], v1, off
.LBB25_1787:
	s_mov_b64 s[0:1], 0
.LBB25_1788:
	s_andn2_b64 vcc, exec, s[0:1]
	s_cbranch_vccnz .LBB25_1804
; %bb.1789:
	s_cmp_lt_i32 s2, 2
	s_mov_b64 s[0:1], -1
	s_cbranch_scc1 .LBB25_1799
; %bb.1790:
	s_cmp_lt_i32 s2, 3
	s_cbranch_scc1 .LBB25_1796
; %bb.1791:
	s_cmp_gt_i32 s2, 3
	s_cbranch_scc0 .LBB25_1793
; %bb.1792:
	v_cvt_f32_f16_e32 v3, v1
	s_mov_b64 s[0:1], 0
	v_cvt_i32_f32_e32 v20, v3
	v_ashrrev_i32_e32 v21, 31, v20
	global_store_dwordx2 v[5:6], v[20:21], off
.LBB25_1793:
	s_andn2_b64 vcc, exec, s[0:1]
	s_cbranch_vccnz .LBB25_1795
; %bb.1794:
	v_cvt_f32_f16_e32 v3, v1
	v_cvt_i32_f32_e32 v3, v3
	global_store_dword v[5:6], v3, off
.LBB25_1795:
	s_mov_b64 s[0:1], 0
.LBB25_1796:
	s_andn2_b64 vcc, exec, s[0:1]
	s_cbranch_vccnz .LBB25_1798
; %bb.1797:
	v_cvt_i16_f16_e32 v3, v1
	global_store_short v[5:6], v3, off
.LBB25_1798:
	s_mov_b64 s[0:1], 0
.LBB25_1799:
	s_andn2_b64 vcc, exec, s[0:1]
	s_cbranch_vccnz .LBB25_1804
; %bb.1800:
	s_cmp_gt_i32 s2, 0
	s_mov_b64 s[0:1], -1
	s_cbranch_scc0 .LBB25_1802
; %bb.1801:
	v_cvt_i16_f16_e32 v3, v1
	global_store_byte v[5:6], v3, off
	s_mov_b64 s[0:1], 0
.LBB25_1802:
	s_andn2_b64 vcc, exec, s[0:1]
	s_cbranch_vccnz .LBB25_1804
; %bb.1803:
	v_cvt_f32_f16_e32 v1, v1
	v_cvt_i32_f32_e32 v1, v1
	global_store_byte v[5:6], v1, off
.LBB25_1804:
	s_mov_b64 s[4:5], -1
.LBB25_1805:
	s_andn2_b64 vcc, exec, s[4:5]
	s_cbranch_vccnz .LBB25_2120
; %bb.1806:
	v_mul_f32_e32 v1, v14, v14
	v_mov_b32_e32 v3, 0x3c0881c4
	v_fmac_f32_e32 v3, 0xb94c1982, v1
	v_mov_b32_e32 v5, 0xbe2aaa9d
	v_fmac_f32_e32 v5, v1, v3
	v_mul_f32_e32 v3, v1, v5
	v_fmac_f32_e32 v14, v14, v3
	v_mov_b32_e32 v3, 0xbab64f3b
	v_fmac_f32_e32 v3, 0x37d75334, v1
	v_mov_b32_e32 v5, 0x3d2aabf7
	;; [unrolled: 2-line block ×3, first 2 shown]
	v_fmac_f32_e32 v3, v1, v5
	v_fma_f32 v1, v1, v3, 1.0
	v_and_b32_e32 v3, 1, v13
	v_cmp_eq_u32_e32 vcc, 0, v3
	v_lshlrev_b32_e32 v3, 30, v13
	s_lshr_b32 s0, s18, 8
	v_and_b32_e32 v3, 0x80000000, v3
	v_xor_b32_e32 v5, v11, v10
	s_and_b32 s16, s0, 0xff
	v_cndmask_b32_e32 v1, v1, v14, vcc
	v_xor_b32_e32 v3, v5, v3
	s_movk_i32 s0, 0x1f8
	v_xor_b32_e32 v1, v3, v1
	v_mov_b32_e32 v3, 0x7fc00000
	v_cmp_class_f32_e64 vcc, v10, s0
	v_cndmask_b32_e32 v1, v3, v1, vcc
	v_cvt_f16_f32_e32 v1, v1
	v_mov_b32_e32 v5, s9
	v_add_co_u32_e32 v3, vcc, s8, v4
	s_cmp_lt_i32 s16, 11
	v_addc_co_u32_e32 v4, vcc, 0, v5, vcc
	s_cbranch_scc1 .LBB25_1884
; %bb.1807:
	s_and_b32 s17, 0xffff, s16
	s_mov_b64 s[10:11], -1
	s_mov_b64 s[2:3], 0
	s_cmp_gt_i32 s17, 25
	s_mov_b64 s[4:5], 0
	s_mov_b64 s[0:1], 0
	s_cbranch_scc0 .LBB25_1840
; %bb.1808:
	s_cmp_gt_i32 s17, 28
	s_cbranch_scc0 .LBB25_1823
; %bb.1809:
	s_cmp_gt_i32 s17, 43
	s_cbranch_scc0 .LBB25_1819
; %bb.1810:
	s_cmp_gt_i32 s17, 45
	s_cbranch_scc0 .LBB25_1813
; %bb.1811:
	s_mov_b64 s[0:1], -1
	s_mov_b64 s[10:11], 0
	s_cmp_eq_u32 s17, 46
	s_cbranch_scc0 .LBB25_1813
; %bb.1812:
	v_cvt_f32_f16_e32 v5, v1
	s_movk_i32 s0, 0x7fff
	v_cmp_o_f16_e32 vcc, v1, v1
	v_mov_b32_e32 v6, 0x7fc0
	v_bfe_u32 v10, v5, 16, 1
	v_add3_u32 v5, v5, v10, s0
	v_cndmask_b32_sdwa v5, v6, v5, vcc dst_sel:DWORD dst_unused:UNUSED_PAD src0_sel:DWORD src1_sel:WORD_1
	global_store_dword v[3:4], v5, off
	s_mov_b64 s[0:1], 0
	s_mov_b64 s[4:5], -1
.LBB25_1813:
	s_and_b64 vcc, exec, s[10:11]
	s_cbranch_vccz .LBB25_1818
; %bb.1814:
	s_cmp_eq_u32 s17, 44
	s_mov_b64 s[0:1], -1
	s_cbranch_scc0 .LBB25_1818
; %bb.1815:
	v_cvt_f32_f16_e32 v5, v1
	s_movk_i32 s0, 0xff
	v_mov_b32_e32 v10, 0xff
	v_bfe_u32 v6, v5, 23, 8
	v_cmp_ne_u32_e32 vcc, s0, v6
	s_and_saveexec_b64 s[4:5], vcc
; %bb.1816:
	s_mov_b32 s0, 0x3fffff
	v_lshrrev_b32_e32 v10, 23, v5
	v_and_b32_e32 v11, 0x400000, v5
	v_and_or_b32 v5, v5, s0, v6
	v_cmp_ne_u32_e32 vcc, 0, v11
	v_cmp_ne_u32_e64 s[0:1], 0, v5
	s_and_b64 s[0:1], vcc, s[0:1]
	v_cndmask_b32_e64 v5, 0, 1, s[0:1]
	v_add_u32_e32 v10, v10, v5
; %bb.1817:
	s_or_b64 exec, exec, s[4:5]
	s_mov_b64 s[0:1], 0
	s_mov_b64 s[4:5], -1
	global_store_byte v[3:4], v10, off
.LBB25_1818:
	s_mov_b64 s[10:11], 0
.LBB25_1819:
	s_and_b64 vcc, exec, s[10:11]
	s_cbranch_vccz .LBB25_1822
; %bb.1820:
	s_cmp_eq_u32 s17, 29
	s_mov_b64 s[0:1], -1
	s_cbranch_scc0 .LBB25_1822
; %bb.1821:
	v_cvt_f32_f16_e32 v5, v1
	v_mov_b32_e32 v6, 0
	s_mov_b64 s[0:1], 0
	s_mov_b64 s[4:5], -1
	v_cvt_u32_f32_e32 v5, v5
	global_store_dwordx2 v[3:4], v[5:6], off
.LBB25_1822:
	s_mov_b64 s[10:11], 0
.LBB25_1823:
	s_and_b64 vcc, exec, s[10:11]
	s_cbranch_vccz .LBB25_1839
; %bb.1824:
	s_cmp_lt_i32 s17, 27
	s_mov_b64 s[4:5], -1
	s_cbranch_scc1 .LBB25_1830
; %bb.1825:
	s_cmp_gt_i32 s17, 27
	s_cbranch_scc0 .LBB25_1827
; %bb.1826:
	v_cvt_f32_f16_e32 v5, v1
	s_mov_b64 s[4:5], 0
	v_cvt_u32_f32_e32 v5, v5
	global_store_dword v[3:4], v5, off
.LBB25_1827:
	s_andn2_b64 vcc, exec, s[4:5]
	s_cbranch_vccnz .LBB25_1829
; %bb.1828:
	v_cvt_u16_f16_e32 v5, v1
	global_store_short v[3:4], v5, off
.LBB25_1829:
	s_mov_b64 s[4:5], 0
.LBB25_1830:
	s_andn2_b64 vcc, exec, s[4:5]
	s_cbranch_vccnz .LBB25_1838
; %bb.1831:
	v_cvt_f32_f16_e32 v5, v1
	s_mov_b32 s4, 0x43800000
	v_mov_b32_e32 v10, 0x80
	v_and_b32_e32 v6, 0x7fffffff, v5
	v_cmp_gt_u32_e32 vcc, s4, v6
	s_and_saveexec_b64 s[4:5], vcc
	s_cbranch_execz .LBB25_1837
; %bb.1832:
	s_mov_b32 s10, 0x3bffffff
	v_cmp_lt_u32_e32 vcc, s10, v6
	s_mov_b64 s[10:11], 0
                                        ; implicit-def: $vgpr6
	s_and_saveexec_b64 s[14:15], vcc
	s_xor_b64 s[14:15], exec, s[14:15]
	s_cbranch_execz .LBB25_2172
; %bb.1833:
	v_bfe_u32 v6, v5, 20, 1
	s_mov_b32 s18, 0x487ffff
	v_add3_u32 v6, v5, v6, s18
	s_mov_b64 s[10:11], exec
	v_lshrrev_b32_e32 v6, 20, v6
	s_andn2_saveexec_b64 s[14:15], s[14:15]
	s_cbranch_execnz .LBB25_2173
.LBB25_1834:
	s_or_b64 exec, exec, s[14:15]
	v_mov_b32_e32 v10, 0
	s_and_saveexec_b64 s[14:15], s[10:11]
.LBB25_1835:
	v_lshrrev_b32_e32 v5, 24, v5
	s_movk_i32 s10, 0x80
	v_and_or_b32 v10, v5, s10, v6
.LBB25_1836:
	s_or_b64 exec, exec, s[14:15]
.LBB25_1837:
	s_or_b64 exec, exec, s[4:5]
	global_store_byte v[3:4], v10, off
.LBB25_1838:
	s_mov_b64 s[4:5], -1
.LBB25_1839:
	s_mov_b64 s[10:11], 0
.LBB25_1840:
	s_and_b64 vcc, exec, s[10:11]
	s_cbranch_vccz .LBB25_1880
; %bb.1841:
	s_cmp_gt_i32 s17, 22
	s_mov_b64 s[2:3], -1
	s_cbranch_scc0 .LBB25_1873
; %bb.1842:
	s_cmp_lt_i32 s17, 24
	s_cbranch_scc1 .LBB25_1862
; %bb.1843:
	s_cmp_gt_i32 s17, 24
	s_cbranch_scc0 .LBB25_1851
; %bb.1844:
	v_cvt_f32_f16_e32 v5, v1
	s_mov_b32 s2, 0x47800000
	v_mov_b32_e32 v10, 0x80
	v_and_b32_e32 v6, 0x7fffffff, v5
	v_cmp_gt_u32_e32 vcc, s2, v6
	s_and_saveexec_b64 s[2:3], vcc
	s_cbranch_execz .LBB25_1850
; %bb.1845:
	s_mov_b32 s4, 0x37ffffff
	v_cmp_lt_u32_e32 vcc, s4, v6
	s_mov_b64 s[4:5], 0
                                        ; implicit-def: $vgpr6
	s_and_saveexec_b64 s[10:11], vcc
	s_xor_b64 s[10:11], exec, s[10:11]
	s_cbranch_execz .LBB25_2175
; %bb.1846:
	v_bfe_u32 v6, v5, 21, 1
	s_mov_b32 s14, 0x88fffff
	v_add3_u32 v6, v5, v6, s14
	s_mov_b64 s[4:5], exec
	v_lshrrev_b32_e32 v6, 21, v6
	s_andn2_saveexec_b64 s[10:11], s[10:11]
	s_cbranch_execnz .LBB25_2176
.LBB25_1847:
	s_or_b64 exec, exec, s[10:11]
	v_mov_b32_e32 v10, 0
	s_and_saveexec_b64 s[10:11], s[4:5]
.LBB25_1848:
	v_lshrrev_b32_e32 v5, 24, v5
	s_movk_i32 s4, 0x80
	v_and_or_b32 v10, v5, s4, v6
.LBB25_1849:
	s_or_b64 exec, exec, s[10:11]
.LBB25_1850:
	s_or_b64 exec, exec, s[2:3]
	s_mov_b64 s[2:3], 0
	global_store_byte v[3:4], v10, off
.LBB25_1851:
	s_and_b64 vcc, exec, s[2:3]
	s_cbranch_vccz .LBB25_1861
; %bb.1852:
	v_cvt_f32_f16_e32 v5, v1
	s_mov_b32 s2, 0x43f00000
                                        ; implicit-def: $vgpr6
	v_and_b32_e32 v10, 0x7fffffff, v5
	v_cmp_gt_u32_e32 vcc, s2, v10
	s_and_saveexec_b64 s[2:3], vcc
	s_xor_b64 s[2:3], exec, s[2:3]
	s_cbranch_execz .LBB25_1858
; %bb.1853:
	s_mov_b32 s4, 0x3c7fffff
	v_cmp_lt_u32_e32 vcc, s4, v10
                                        ; implicit-def: $vgpr6
	s_and_saveexec_b64 s[4:5], vcc
	s_xor_b64 s[4:5], exec, s[4:5]
; %bb.1854:
	v_bfe_u32 v6, v5, 20, 1
	s_mov_b32 s10, 0x407ffff
	v_add3_u32 v6, v5, v6, s10
	v_lshrrev_b32_e32 v10, 20, v6
	v_and_b32_e32 v6, 0xff00000, v6
	s_mov_b32 s10, 0x7f00000
	v_mov_b32_e32 v11, 0x7e
	v_cmp_ne_u32_e32 vcc, s10, v6
	v_cndmask_b32_e32 v6, v11, v10, vcc
; %bb.1855:
	s_andn2_saveexec_b64 s[4:5], s[4:5]
; %bb.1856:
	s_mov_b32 s10, 0x46800000
	v_add_f32_e64 v6, |v5|, s10
; %bb.1857:
	s_or_b64 exec, exec, s[4:5]
                                        ; implicit-def: $vgpr10
.LBB25_1858:
	s_andn2_saveexec_b64 s[2:3], s[2:3]
; %bb.1859:
	s_mov_b32 s4, 0x7f800000
	v_mov_b32_e32 v6, 0x7e
	v_mov_b32_e32 v11, 0x7f
	v_cmp_lt_u32_e32 vcc, s4, v10
	v_cndmask_b32_e32 v6, v6, v11, vcc
; %bb.1860:
	s_or_b64 exec, exec, s[2:3]
	v_lshrrev_b32_e32 v5, 24, v5
	s_movk_i32 s2, 0x80
	v_and_or_b32 v5, v5, s2, v6
	global_store_byte v[3:4], v5, off
.LBB25_1861:
	s_mov_b64 s[2:3], 0
.LBB25_1862:
	s_andn2_b64 vcc, exec, s[2:3]
	s_cbranch_vccnz .LBB25_1872
; %bb.1863:
	v_cvt_f32_f16_e32 v5, v1
	s_mov_b32 s2, 0x47800000
                                        ; implicit-def: $vgpr6
	v_and_b32_e32 v10, 0x7fffffff, v5
	v_cmp_gt_u32_e32 vcc, s2, v10
	s_and_saveexec_b64 s[2:3], vcc
	s_xor_b64 s[2:3], exec, s[2:3]
	s_cbranch_execz .LBB25_1869
; %bb.1864:
	s_mov_b32 s4, 0x387fffff
	v_cmp_lt_u32_e32 vcc, s4, v10
                                        ; implicit-def: $vgpr6
	s_and_saveexec_b64 s[4:5], vcc
	s_xor_b64 s[4:5], exec, s[4:5]
; %bb.1865:
	v_bfe_u32 v6, v5, 21, 1
	s_mov_b32 s10, 0x80fffff
	v_add3_u32 v6, v5, v6, s10
	v_lshrrev_b32_e32 v6, 21, v6
; %bb.1866:
	s_andn2_saveexec_b64 s[4:5], s[4:5]
; %bb.1867:
	s_mov_b32 s10, 0x43000000
	v_add_f32_e64 v6, |v5|, s10
; %bb.1868:
	s_or_b64 exec, exec, s[4:5]
                                        ; implicit-def: $vgpr10
.LBB25_1869:
	s_andn2_saveexec_b64 s[2:3], s[2:3]
; %bb.1870:
	s_mov_b32 s4, 0x7f800000
	v_mov_b32_e32 v6, 0x7c
	v_mov_b32_e32 v11, 0x7f
	v_cmp_lt_u32_e32 vcc, s4, v10
	v_cndmask_b32_e32 v6, v6, v11, vcc
; %bb.1871:
	s_or_b64 exec, exec, s[2:3]
	v_lshrrev_b32_e32 v5, 24, v5
	s_movk_i32 s2, 0x80
	v_and_or_b32 v5, v5, s2, v6
	global_store_byte v[3:4], v5, off
.LBB25_1872:
	s_mov_b64 s[2:3], 0
	s_mov_b64 s[4:5], -1
.LBB25_1873:
	s_andn2_b64 vcc, exec, s[2:3]
	s_mov_b64 s[2:3], 0
	s_cbranch_vccnz .LBB25_1880
; %bb.1874:
	s_cmp_gt_i32 s17, 14
	s_mov_b64 s[10:11], -1
	s_cbranch_scc0 .LBB25_1878
; %bb.1875:
	s_cmp_eq_u32 s17, 15
	s_mov_b64 s[0:1], -1
	s_cbranch_scc0 .LBB25_1877
; %bb.1876:
	v_cvt_f32_f16_e32 v5, v1
	s_movk_i32 s0, 0x7fff
	v_cmp_o_f16_e32 vcc, v1, v1
	v_mov_b32_e32 v6, 0x7fc0
	v_bfe_u32 v10, v5, 16, 1
	v_add3_u32 v5, v5, v10, s0
	v_cndmask_b32_sdwa v5, v6, v5, vcc dst_sel:DWORD dst_unused:UNUSED_PAD src0_sel:DWORD src1_sel:WORD_1
	global_store_short v[3:4], v5, off
	s_mov_b64 s[0:1], 0
	s_mov_b64 s[4:5], -1
.LBB25_1877:
	s_mov_b64 s[10:11], 0
.LBB25_1878:
	s_and_b64 vcc, exec, s[10:11]
	s_cbranch_vccz .LBB25_1880
; %bb.1879:
	s_cmp_lg_u32 s17, 11
	s_mov_b64 s[2:3], -1
	s_cselect_b64 s[0:1], -1, 0
.LBB25_1880:
	s_and_b64 vcc, exec, s[0:1]
	s_cbranch_vccnz .LBB25_2174
; %bb.1881:
	s_andn2_b64 vcc, exec, s[2:3]
	s_cbranch_vccnz .LBB25_1883
.LBB25_1882:
	v_cmp_neq_f16_e32 vcc, 0, v1
	v_cndmask_b32_e64 v5, 0, 1, vcc
	s_mov_b64 s[4:5], -1
	global_store_byte v[3:4], v5, off
.LBB25_1883:
	s_mov_b64 s[0:1], 0
	s_branch .LBB25_1885
.LBB25_1884:
	s_mov_b64 s[0:1], -1
	s_mov_b64 s[4:5], 0
.LBB25_1885:
	s_and_b64 vcc, exec, s[0:1]
	s_cbranch_vccz .LBB25_1924
; %bb.1886:
	s_and_b32 s2, 0xffff, s16
	s_cmp_lt_i32 s2, 5
	s_mov_b64 s[0:1], -1
	s_cbranch_scc1 .LBB25_1907
; %bb.1887:
	s_cmp_lt_i32 s2, 8
	s_cbranch_scc1 .LBB25_1897
; %bb.1888:
	s_cmp_lt_i32 s2, 9
	s_cbranch_scc1 .LBB25_1894
; %bb.1889:
	s_cmp_gt_i32 s2, 9
	s_cbranch_scc0 .LBB25_1891
; %bb.1890:
	v_cvt_f32_f16_e32 v5, v1
	v_mov_b32_e32 v12, 0
	v_mov_b32_e32 v13, v12
	s_mov_b64 s[0:1], 0
	v_cvt_f64_f32_e32 v[10:11], v5
	global_store_dwordx4 v[3:4], v[10:13], off
.LBB25_1891:
	s_andn2_b64 vcc, exec, s[0:1]
	s_cbranch_vccnz .LBB25_1893
; %bb.1892:
	v_cvt_f32_f16_e32 v5, v1
	v_mov_b32_e32 v6, 0
	global_store_dwordx2 v[3:4], v[5:6], off
.LBB25_1893:
	s_mov_b64 s[0:1], 0
.LBB25_1894:
	s_andn2_b64 vcc, exec, s[0:1]
	s_cbranch_vccnz .LBB25_1896
; %bb.1895:
	global_store_dword v[3:4], v1, off
.LBB25_1896:
	s_mov_b64 s[0:1], 0
.LBB25_1897:
	s_andn2_b64 vcc, exec, s[0:1]
	s_cbranch_vccnz .LBB25_1906
; %bb.1898:
	s_cmp_lt_i32 s2, 6
	s_mov_b64 s[0:1], -1
	s_cbranch_scc1 .LBB25_1904
; %bb.1899:
	s_cmp_gt_i32 s2, 6
	s_cbranch_scc0 .LBB25_1901
; %bb.1900:
	v_cvt_f32_f16_e32 v5, v1
	s_mov_b64 s[0:1], 0
	v_cvt_f64_f32_e32 v[5:6], v5
	global_store_dwordx2 v[3:4], v[5:6], off
.LBB25_1901:
	s_andn2_b64 vcc, exec, s[0:1]
	s_cbranch_vccnz .LBB25_1903
; %bb.1902:
	v_cvt_f32_f16_e32 v5, v1
	global_store_dword v[3:4], v5, off
.LBB25_1903:
	s_mov_b64 s[0:1], 0
.LBB25_1904:
	s_andn2_b64 vcc, exec, s[0:1]
	s_cbranch_vccnz .LBB25_1906
; %bb.1905:
	global_store_short v[3:4], v1, off
.LBB25_1906:
	s_mov_b64 s[0:1], 0
.LBB25_1907:
	s_andn2_b64 vcc, exec, s[0:1]
	s_cbranch_vccnz .LBB25_1923
; %bb.1908:
	s_cmp_lt_i32 s2, 2
	s_mov_b64 s[0:1], -1
	s_cbranch_scc1 .LBB25_1918
; %bb.1909:
	s_cmp_lt_i32 s2, 3
	s_cbranch_scc1 .LBB25_1915
; %bb.1910:
	s_cmp_gt_i32 s2, 3
	s_cbranch_scc0 .LBB25_1912
; %bb.1911:
	v_cvt_f32_f16_e32 v5, v1
	s_mov_b64 s[0:1], 0
	v_cvt_i32_f32_e32 v5, v5
	v_ashrrev_i32_e32 v6, 31, v5
	global_store_dwordx2 v[3:4], v[5:6], off
.LBB25_1912:
	s_andn2_b64 vcc, exec, s[0:1]
	s_cbranch_vccnz .LBB25_1914
; %bb.1913:
	v_cvt_f32_f16_e32 v5, v1
	v_cvt_i32_f32_e32 v5, v5
	global_store_dword v[3:4], v5, off
.LBB25_1914:
	s_mov_b64 s[0:1], 0
.LBB25_1915:
	s_andn2_b64 vcc, exec, s[0:1]
	s_cbranch_vccnz .LBB25_1917
; %bb.1916:
	v_cvt_i16_f16_e32 v5, v1
	global_store_short v[3:4], v5, off
.LBB25_1917:
	s_mov_b64 s[0:1], 0
.LBB25_1918:
	s_andn2_b64 vcc, exec, s[0:1]
	s_cbranch_vccnz .LBB25_1923
; %bb.1919:
	s_cmp_gt_i32 s2, 0
	s_mov_b64 s[0:1], -1
	s_cbranch_scc0 .LBB25_1921
; %bb.1920:
	v_cvt_i16_f16_e32 v5, v1
	global_store_byte v[3:4], v5, off
	s_mov_b64 s[0:1], 0
.LBB25_1921:
	s_andn2_b64 vcc, exec, s[0:1]
	s_cbranch_vccnz .LBB25_1923
; %bb.1922:
	v_cvt_f32_f16_e32 v1, v1
	v_cvt_i32_f32_e32 v1, v1
	global_store_byte v[3:4], v1, off
.LBB25_1923:
	s_mov_b64 s[4:5], -1
.LBB25_1924:
	s_andn2_b64 vcc, exec, s[4:5]
	s_cbranch_vccnz .LBB25_2120
; %bb.1925:
	v_mul_f32_e32 v1, v17, v17
	v_mov_b32_e32 v3, 0x3c0881c4
	v_fmac_f32_e32 v3, 0xb94c1982, v1
	v_mov_b32_e32 v4, 0xbe2aaa9d
	v_fmac_f32_e32 v4, v1, v3
	v_mul_f32_e32 v3, v1, v4
	v_fmac_f32_e32 v17, v17, v3
	v_mov_b32_e32 v3, 0xbab64f3b
	v_fmac_f32_e32 v3, 0x37d75334, v1
	v_mov_b32_e32 v4, 0x3d2aabf7
	;; [unrolled: 2-line block ×3, first 2 shown]
	v_fmac_f32_e32 v3, v1, v4
	v_fma_f32 v1, v1, v3, 1.0
	v_and_b32_e32 v3, 1, v16
	v_cmp_eq_u32_e32 vcc, 0, v3
	v_lshlrev_b32_e32 v3, 30, v16
	v_and_b32_e32 v3, 0x80000000, v3
	v_xor_b32_e32 v4, v15, v9
	v_cndmask_b32_e32 v1, v1, v17, vcc
	v_xor_b32_e32 v3, v4, v3
	s_movk_i32 s0, 0x1f8
	v_xor_b32_e32 v1, v3, v1
	v_mov_b32_e32 v3, 0x7fc00000
	v_cmp_class_f32_e64 vcc, v9, s0
	v_cndmask_b32_e32 v1, v3, v1, vcc
	v_cvt_f16_f32_e32 v3, v1
	v_mov_b32_e32 v4, s9
	v_add_co_u32_e32 v1, vcc, s8, v2
	s_cmp_lt_i32 s16, 11
	v_addc_co_u32_e32 v2, vcc, 0, v4, vcc
	s_cbranch_scc1 .LBB25_2003
; %bb.1926:
	s_and_b32 s17, 0xffff, s16
	s_mov_b64 s[10:11], -1
	s_mov_b64 s[2:3], 0
	s_cmp_gt_i32 s17, 25
	s_mov_b64 s[4:5], 0
	s_mov_b64 s[0:1], 0
	s_cbranch_scc0 .LBB25_1959
; %bb.1927:
	s_cmp_gt_i32 s17, 28
	s_cbranch_scc0 .LBB25_1942
; %bb.1928:
	s_cmp_gt_i32 s17, 43
	;; [unrolled: 3-line block ×3, first 2 shown]
	s_cbranch_scc0 .LBB25_1932
; %bb.1930:
	s_mov_b64 s[0:1], -1
	s_mov_b64 s[10:11], 0
	s_cmp_eq_u32 s17, 46
	s_cbranch_scc0 .LBB25_1932
; %bb.1931:
	v_cvt_f32_f16_e32 v4, v3
	s_movk_i32 s0, 0x7fff
	v_cmp_o_f16_e32 vcc, v3, v3
	v_mov_b32_e32 v5, 0x7fc0
	v_bfe_u32 v6, v4, 16, 1
	v_add3_u32 v4, v4, v6, s0
	v_cndmask_b32_sdwa v4, v5, v4, vcc dst_sel:DWORD dst_unused:UNUSED_PAD src0_sel:DWORD src1_sel:WORD_1
	global_store_dword v[1:2], v4, off
	s_mov_b64 s[0:1], 0
	s_mov_b64 s[4:5], -1
.LBB25_1932:
	s_and_b64 vcc, exec, s[10:11]
	s_cbranch_vccz .LBB25_1937
; %bb.1933:
	s_cmp_eq_u32 s17, 44
	s_mov_b64 s[0:1], -1
	s_cbranch_scc0 .LBB25_1937
; %bb.1934:
	v_cvt_f32_f16_e32 v4, v3
	s_movk_i32 s0, 0xff
	v_mov_b32_e32 v6, 0xff
	v_bfe_u32 v5, v4, 23, 8
	v_cmp_ne_u32_e32 vcc, s0, v5
	s_and_saveexec_b64 s[4:5], vcc
; %bb.1935:
	s_mov_b32 s0, 0x3fffff
	v_lshrrev_b32_e32 v6, 23, v4
	v_and_b32_e32 v9, 0x400000, v4
	v_and_or_b32 v4, v4, s0, v5
	v_cmp_ne_u32_e32 vcc, 0, v9
	v_cmp_ne_u32_e64 s[0:1], 0, v4
	s_and_b64 s[0:1], vcc, s[0:1]
	v_cndmask_b32_e64 v4, 0, 1, s[0:1]
	v_add_u32_e32 v6, v6, v4
; %bb.1936:
	s_or_b64 exec, exec, s[4:5]
	s_mov_b64 s[0:1], 0
	s_mov_b64 s[4:5], -1
	global_store_byte v[1:2], v6, off
.LBB25_1937:
	s_mov_b64 s[10:11], 0
.LBB25_1938:
	s_and_b64 vcc, exec, s[10:11]
	s_cbranch_vccz .LBB25_1941
; %bb.1939:
	s_cmp_eq_u32 s17, 29
	s_mov_b64 s[0:1], -1
	s_cbranch_scc0 .LBB25_1941
; %bb.1940:
	v_cvt_f32_f16_e32 v4, v3
	v_mov_b32_e32 v5, 0
	s_mov_b64 s[0:1], 0
	s_mov_b64 s[4:5], -1
	v_cvt_u32_f32_e32 v4, v4
	global_store_dwordx2 v[1:2], v[4:5], off
.LBB25_1941:
	s_mov_b64 s[10:11], 0
.LBB25_1942:
	s_and_b64 vcc, exec, s[10:11]
	s_cbranch_vccz .LBB25_1958
; %bb.1943:
	s_cmp_lt_i32 s17, 27
	s_mov_b64 s[4:5], -1
	s_cbranch_scc1 .LBB25_1949
; %bb.1944:
	s_cmp_gt_i32 s17, 27
	s_cbranch_scc0 .LBB25_1946
; %bb.1945:
	v_cvt_f32_f16_e32 v4, v3
	s_mov_b64 s[4:5], 0
	v_cvt_u32_f32_e32 v4, v4
	global_store_dword v[1:2], v4, off
.LBB25_1946:
	s_andn2_b64 vcc, exec, s[4:5]
	s_cbranch_vccnz .LBB25_1948
; %bb.1947:
	v_cvt_u16_f16_e32 v4, v3
	global_store_short v[1:2], v4, off
.LBB25_1948:
	s_mov_b64 s[4:5], 0
.LBB25_1949:
	s_andn2_b64 vcc, exec, s[4:5]
	s_cbranch_vccnz .LBB25_1957
; %bb.1950:
	v_cvt_f32_f16_e32 v4, v3
	s_mov_b32 s4, 0x43800000
	v_mov_b32_e32 v6, 0x80
	v_and_b32_e32 v5, 0x7fffffff, v4
	v_cmp_gt_u32_e32 vcc, s4, v5
	s_and_saveexec_b64 s[4:5], vcc
	s_cbranch_execz .LBB25_1956
; %bb.1951:
	s_mov_b32 s10, 0x3bffffff
	v_cmp_lt_u32_e32 vcc, s10, v5
	s_mov_b64 s[10:11], 0
                                        ; implicit-def: $vgpr5
	s_and_saveexec_b64 s[14:15], vcc
	s_xor_b64 s[14:15], exec, s[14:15]
	s_cbranch_execz .LBB25_2177
; %bb.1952:
	v_bfe_u32 v5, v4, 20, 1
	s_mov_b32 s18, 0x487ffff
	v_add3_u32 v5, v4, v5, s18
	s_mov_b64 s[10:11], exec
	v_lshrrev_b32_e32 v5, 20, v5
	s_andn2_saveexec_b64 s[14:15], s[14:15]
	s_cbranch_execnz .LBB25_2178
.LBB25_1953:
	s_or_b64 exec, exec, s[14:15]
	v_mov_b32_e32 v6, 0
	s_and_saveexec_b64 s[14:15], s[10:11]
.LBB25_1954:
	v_lshrrev_b32_e32 v4, 24, v4
	s_movk_i32 s10, 0x80
	v_and_or_b32 v6, v4, s10, v5
.LBB25_1955:
	s_or_b64 exec, exec, s[14:15]
.LBB25_1956:
	s_or_b64 exec, exec, s[4:5]
	global_store_byte v[1:2], v6, off
.LBB25_1957:
	s_mov_b64 s[4:5], -1
.LBB25_1958:
	s_mov_b64 s[10:11], 0
.LBB25_1959:
	s_and_b64 vcc, exec, s[10:11]
	s_cbranch_vccz .LBB25_1999
; %bb.1960:
	s_cmp_gt_i32 s17, 22
	s_mov_b64 s[2:3], -1
	s_cbranch_scc0 .LBB25_1992
; %bb.1961:
	s_cmp_lt_i32 s17, 24
	s_cbranch_scc1 .LBB25_1981
; %bb.1962:
	s_cmp_gt_i32 s17, 24
	s_cbranch_scc0 .LBB25_1970
; %bb.1963:
	v_cvt_f32_f16_e32 v4, v3
	s_mov_b32 s2, 0x47800000
	v_mov_b32_e32 v6, 0x80
	v_and_b32_e32 v5, 0x7fffffff, v4
	v_cmp_gt_u32_e32 vcc, s2, v5
	s_and_saveexec_b64 s[2:3], vcc
	s_cbranch_execz .LBB25_1969
; %bb.1964:
	s_mov_b32 s4, 0x37ffffff
	v_cmp_lt_u32_e32 vcc, s4, v5
	s_mov_b64 s[4:5], 0
                                        ; implicit-def: $vgpr5
	s_and_saveexec_b64 s[10:11], vcc
	s_xor_b64 s[10:11], exec, s[10:11]
	s_cbranch_execz .LBB25_2180
; %bb.1965:
	v_bfe_u32 v5, v4, 21, 1
	s_mov_b32 s14, 0x88fffff
	v_add3_u32 v5, v4, v5, s14
	s_mov_b64 s[4:5], exec
	v_lshrrev_b32_e32 v5, 21, v5
	s_andn2_saveexec_b64 s[10:11], s[10:11]
	s_cbranch_execnz .LBB25_2181
.LBB25_1966:
	s_or_b64 exec, exec, s[10:11]
	v_mov_b32_e32 v6, 0
	s_and_saveexec_b64 s[10:11], s[4:5]
.LBB25_1967:
	v_lshrrev_b32_e32 v4, 24, v4
	s_movk_i32 s4, 0x80
	v_and_or_b32 v6, v4, s4, v5
.LBB25_1968:
	s_or_b64 exec, exec, s[10:11]
.LBB25_1969:
	s_or_b64 exec, exec, s[2:3]
	s_mov_b64 s[2:3], 0
	global_store_byte v[1:2], v6, off
.LBB25_1970:
	s_and_b64 vcc, exec, s[2:3]
	s_cbranch_vccz .LBB25_1980
; %bb.1971:
	v_cvt_f32_f16_e32 v4, v3
	s_mov_b32 s2, 0x43f00000
                                        ; implicit-def: $vgpr5
	v_and_b32_e32 v6, 0x7fffffff, v4
	v_cmp_gt_u32_e32 vcc, s2, v6
	s_and_saveexec_b64 s[2:3], vcc
	s_xor_b64 s[2:3], exec, s[2:3]
	s_cbranch_execz .LBB25_1977
; %bb.1972:
	s_mov_b32 s4, 0x3c7fffff
	v_cmp_lt_u32_e32 vcc, s4, v6
                                        ; implicit-def: $vgpr5
	s_and_saveexec_b64 s[4:5], vcc
	s_xor_b64 s[4:5], exec, s[4:5]
; %bb.1973:
	v_bfe_u32 v5, v4, 20, 1
	s_mov_b32 s10, 0x407ffff
	v_add3_u32 v5, v4, v5, s10
	v_lshrrev_b32_e32 v6, 20, v5
	v_and_b32_e32 v5, 0xff00000, v5
	s_mov_b32 s10, 0x7f00000
	v_mov_b32_e32 v9, 0x7e
	v_cmp_ne_u32_e32 vcc, s10, v5
	v_cndmask_b32_e32 v5, v9, v6, vcc
; %bb.1974:
	s_andn2_saveexec_b64 s[4:5], s[4:5]
; %bb.1975:
	s_mov_b32 s10, 0x46800000
	v_add_f32_e64 v5, |v4|, s10
; %bb.1976:
	s_or_b64 exec, exec, s[4:5]
                                        ; implicit-def: $vgpr6
.LBB25_1977:
	s_andn2_saveexec_b64 s[2:3], s[2:3]
; %bb.1978:
	s_mov_b32 s4, 0x7f800000
	v_mov_b32_e32 v5, 0x7e
	v_mov_b32_e32 v9, 0x7f
	v_cmp_lt_u32_e32 vcc, s4, v6
	v_cndmask_b32_e32 v5, v5, v9, vcc
; %bb.1979:
	s_or_b64 exec, exec, s[2:3]
	v_lshrrev_b32_e32 v4, 24, v4
	s_movk_i32 s2, 0x80
	v_and_or_b32 v4, v4, s2, v5
	global_store_byte v[1:2], v4, off
.LBB25_1980:
	s_mov_b64 s[2:3], 0
.LBB25_1981:
	s_andn2_b64 vcc, exec, s[2:3]
	s_cbranch_vccnz .LBB25_1991
; %bb.1982:
	v_cvt_f32_f16_e32 v4, v3
	s_mov_b32 s2, 0x47800000
                                        ; implicit-def: $vgpr5
	v_and_b32_e32 v6, 0x7fffffff, v4
	v_cmp_gt_u32_e32 vcc, s2, v6
	s_and_saveexec_b64 s[2:3], vcc
	s_xor_b64 s[2:3], exec, s[2:3]
	s_cbranch_execz .LBB25_1988
; %bb.1983:
	s_mov_b32 s4, 0x387fffff
	v_cmp_lt_u32_e32 vcc, s4, v6
                                        ; implicit-def: $vgpr5
	s_and_saveexec_b64 s[4:5], vcc
	s_xor_b64 s[4:5], exec, s[4:5]
; %bb.1984:
	v_bfe_u32 v5, v4, 21, 1
	s_mov_b32 s10, 0x80fffff
	v_add3_u32 v5, v4, v5, s10
	v_lshrrev_b32_e32 v5, 21, v5
; %bb.1985:
	s_andn2_saveexec_b64 s[4:5], s[4:5]
; %bb.1986:
	s_mov_b32 s10, 0x43000000
	v_add_f32_e64 v5, |v4|, s10
; %bb.1987:
	s_or_b64 exec, exec, s[4:5]
                                        ; implicit-def: $vgpr6
.LBB25_1988:
	s_andn2_saveexec_b64 s[2:3], s[2:3]
; %bb.1989:
	s_mov_b32 s4, 0x7f800000
	v_mov_b32_e32 v5, 0x7c
	v_mov_b32_e32 v9, 0x7f
	v_cmp_lt_u32_e32 vcc, s4, v6
	v_cndmask_b32_e32 v5, v5, v9, vcc
; %bb.1990:
	s_or_b64 exec, exec, s[2:3]
	v_lshrrev_b32_e32 v4, 24, v4
	s_movk_i32 s2, 0x80
	v_and_or_b32 v4, v4, s2, v5
	global_store_byte v[1:2], v4, off
.LBB25_1991:
	s_mov_b64 s[2:3], 0
	s_mov_b64 s[4:5], -1
.LBB25_1992:
	s_andn2_b64 vcc, exec, s[2:3]
	s_mov_b64 s[2:3], 0
	s_cbranch_vccnz .LBB25_1999
; %bb.1993:
	s_cmp_gt_i32 s17, 14
	s_mov_b64 s[10:11], -1
	s_cbranch_scc0 .LBB25_1997
; %bb.1994:
	s_cmp_eq_u32 s17, 15
	s_mov_b64 s[0:1], -1
	s_cbranch_scc0 .LBB25_1996
; %bb.1995:
	v_cvt_f32_f16_e32 v4, v3
	s_movk_i32 s0, 0x7fff
	v_cmp_o_f16_e32 vcc, v3, v3
	v_mov_b32_e32 v5, 0x7fc0
	v_bfe_u32 v6, v4, 16, 1
	v_add3_u32 v4, v4, v6, s0
	v_cndmask_b32_sdwa v4, v5, v4, vcc dst_sel:DWORD dst_unused:UNUSED_PAD src0_sel:DWORD src1_sel:WORD_1
	global_store_short v[1:2], v4, off
	s_mov_b64 s[0:1], 0
	s_mov_b64 s[4:5], -1
.LBB25_1996:
	s_mov_b64 s[10:11], 0
.LBB25_1997:
	s_and_b64 vcc, exec, s[10:11]
	s_cbranch_vccz .LBB25_1999
; %bb.1998:
	s_cmp_lg_u32 s17, 11
	s_mov_b64 s[2:3], -1
	s_cselect_b64 s[0:1], -1, 0
.LBB25_1999:
	s_and_b64 vcc, exec, s[0:1]
	s_cbranch_vccnz .LBB25_2179
; %bb.2000:
	s_andn2_b64 vcc, exec, s[2:3]
	s_cbranch_vccnz .LBB25_2002
.LBB25_2001:
	v_cmp_neq_f16_e32 vcc, 0, v3
	v_cndmask_b32_e64 v4, 0, 1, vcc
	s_mov_b64 s[4:5], -1
	global_store_byte v[1:2], v4, off
.LBB25_2002:
	s_mov_b64 s[0:1], 0
	s_branch .LBB25_2004
.LBB25_2003:
	s_mov_b64 s[0:1], -1
	s_mov_b64 s[4:5], 0
.LBB25_2004:
	s_and_b64 vcc, exec, s[0:1]
	s_cbranch_vccz .LBB25_2043
; %bb.2005:
	s_and_b32 s2, 0xffff, s16
	s_cmp_lt_i32 s2, 5
	s_mov_b64 s[0:1], -1
	s_cbranch_scc1 .LBB25_2026
; %bb.2006:
	s_cmp_lt_i32 s2, 8
	s_cbranch_scc1 .LBB25_2016
; %bb.2007:
	s_cmp_lt_i32 s2, 9
	s_cbranch_scc1 .LBB25_2013
; %bb.2008:
	s_cmp_gt_i32 s2, 9
	s_cbranch_scc0 .LBB25_2010
; %bb.2009:
	v_cvt_f32_f16_e32 v4, v3
	v_mov_b32_e32 v11, 0
	v_mov_b32_e32 v12, v11
	s_mov_b64 s[0:1], 0
	v_cvt_f64_f32_e32 v[9:10], v4
	global_store_dwordx4 v[1:2], v[9:12], off
.LBB25_2010:
	s_andn2_b64 vcc, exec, s[0:1]
	s_cbranch_vccnz .LBB25_2012
; %bb.2011:
	v_cvt_f32_f16_e32 v4, v3
	v_mov_b32_e32 v5, 0
	global_store_dwordx2 v[1:2], v[4:5], off
.LBB25_2012:
	s_mov_b64 s[0:1], 0
.LBB25_2013:
	s_andn2_b64 vcc, exec, s[0:1]
	s_cbranch_vccnz .LBB25_2015
; %bb.2014:
	global_store_dword v[1:2], v3, off
.LBB25_2015:
	s_mov_b64 s[0:1], 0
.LBB25_2016:
	s_andn2_b64 vcc, exec, s[0:1]
	s_cbranch_vccnz .LBB25_2025
; %bb.2017:
	s_cmp_lt_i32 s2, 6
	s_mov_b64 s[0:1], -1
	s_cbranch_scc1 .LBB25_2023
; %bb.2018:
	s_cmp_gt_i32 s2, 6
	s_cbranch_scc0 .LBB25_2020
; %bb.2019:
	v_cvt_f32_f16_e32 v4, v3
	s_mov_b64 s[0:1], 0
	v_cvt_f64_f32_e32 v[4:5], v4
	global_store_dwordx2 v[1:2], v[4:5], off
.LBB25_2020:
	s_andn2_b64 vcc, exec, s[0:1]
	s_cbranch_vccnz .LBB25_2022
; %bb.2021:
	v_cvt_f32_f16_e32 v4, v3
	global_store_dword v[1:2], v4, off
.LBB25_2022:
	s_mov_b64 s[0:1], 0
.LBB25_2023:
	s_andn2_b64 vcc, exec, s[0:1]
	s_cbranch_vccnz .LBB25_2025
; %bb.2024:
	global_store_short v[1:2], v3, off
.LBB25_2025:
	s_mov_b64 s[0:1], 0
.LBB25_2026:
	s_andn2_b64 vcc, exec, s[0:1]
	s_cbranch_vccnz .LBB25_2042
; %bb.2027:
	s_cmp_lt_i32 s2, 2
	s_mov_b64 s[0:1], -1
	s_cbranch_scc1 .LBB25_2037
; %bb.2028:
	s_cmp_lt_i32 s2, 3
	s_cbranch_scc1 .LBB25_2034
; %bb.2029:
	s_cmp_gt_i32 s2, 3
	s_cbranch_scc0 .LBB25_2031
; %bb.2030:
	v_cvt_f32_f16_e32 v4, v3
	s_mov_b64 s[0:1], 0
	v_cvt_i32_f32_e32 v4, v4
	v_ashrrev_i32_e32 v5, 31, v4
	global_store_dwordx2 v[1:2], v[4:5], off
.LBB25_2031:
	s_andn2_b64 vcc, exec, s[0:1]
	s_cbranch_vccnz .LBB25_2033
; %bb.2032:
	v_cvt_f32_f16_e32 v4, v3
	v_cvt_i32_f32_e32 v4, v4
	global_store_dword v[1:2], v4, off
.LBB25_2033:
	s_mov_b64 s[0:1], 0
.LBB25_2034:
	s_andn2_b64 vcc, exec, s[0:1]
	s_cbranch_vccnz .LBB25_2036
; %bb.2035:
	v_cvt_i16_f16_e32 v4, v3
	global_store_short v[1:2], v4, off
.LBB25_2036:
	s_mov_b64 s[0:1], 0
.LBB25_2037:
	s_andn2_b64 vcc, exec, s[0:1]
	s_cbranch_vccnz .LBB25_2042
; %bb.2038:
	s_cmp_gt_i32 s2, 0
	s_mov_b64 s[0:1], -1
	s_cbranch_scc0 .LBB25_2040
; %bb.2039:
	v_cvt_i16_f16_e32 v4, v3
	global_store_byte v[1:2], v4, off
	s_mov_b64 s[0:1], 0
.LBB25_2040:
	s_andn2_b64 vcc, exec, s[0:1]
	s_cbranch_vccnz .LBB25_2042
; %bb.2041:
	v_cvt_f32_f16_e32 v3, v3
	v_cvt_i32_f32_e32 v3, v3
	global_store_byte v[1:2], v3, off
.LBB25_2042:
	s_mov_b64 s[4:5], -1
.LBB25_2043:
	s_andn2_b64 vcc, exec, s[4:5]
	s_cbranch_vccnz .LBB25_2120
; %bb.2044:
	v_mul_f32_e32 v1, v19, v19
	v_mov_b32_e32 v2, 0x3c0881c4
	v_fmac_f32_e32 v2, 0xb94c1982, v1
	v_mov_b32_e32 v3, 0xbe2aaa9d
	v_fmac_f32_e32 v3, v1, v2
	v_mul_f32_e32 v2, v1, v3
	v_fmac_f32_e32 v19, v19, v2
	v_mov_b32_e32 v2, 0xbab64f3b
	v_fmac_f32_e32 v2, 0x37d75334, v1
	v_mov_b32_e32 v3, 0x3d2aabf7
	;; [unrolled: 2-line block ×3, first 2 shown]
	v_fmac_f32_e32 v2, v1, v3
	v_fma_f32 v1, v1, v2, 1.0
	v_and_b32_e32 v2, 1, v18
	v_cmp_eq_u32_e32 vcc, 0, v2
	v_lshlrev_b32_e32 v2, 30, v18
	v_and_b32_e32 v2, 0x80000000, v2
	v_xor_b32_e32 v3, v8, v7
	v_cndmask_b32_e32 v1, v1, v19, vcc
	v_xor_b32_e32 v2, v3, v2
	s_movk_i32 s0, 0x1f8
	v_xor_b32_e32 v1, v2, v1
	v_mov_b32_e32 v2, 0x7fc00000
	v_cmp_class_f32_e64 vcc, v7, s0
	v_cndmask_b32_e32 v1, v2, v1, vcc
	v_cvt_f16_f32_e32 v2, v1
	v_mov_b32_e32 v1, s9
	v_add_co_u32_e32 v0, vcc, s8, v0
	s_cmp_lt_i32 s16, 11
	v_addc_co_u32_e32 v1, vcc, 0, v1, vcc
	s_cbranch_scc1 .LBB25_2165
; %bb.2045:
	s_and_b32 s14, 0xffff, s16
	s_mov_b64 s[4:5], -1
	s_mov_b64 s[2:3], 0
	s_cmp_gt_i32 s14, 25
	s_mov_b64 s[0:1], 0
	s_cbranch_scc0 .LBB25_2078
; %bb.2046:
	s_cmp_gt_i32 s14, 28
	s_cbranch_scc0 .LBB25_2062
; %bb.2047:
	s_cmp_gt_i32 s14, 43
	;; [unrolled: 3-line block ×3, first 2 shown]
	s_cbranch_scc0 .LBB25_2052
; %bb.2049:
	s_cmp_eq_u32 s14, 46
	s_mov_b64 s[0:1], -1
	s_cbranch_scc0 .LBB25_2051
; %bb.2050:
	v_cvt_f32_f16_e32 v3, v2
	s_movk_i32 s0, 0x7fff
	v_cmp_o_f16_e32 vcc, v2, v2
	v_mov_b32_e32 v4, 0x7fc0
	v_bfe_u32 v5, v3, 16, 1
	v_add3_u32 v3, v3, v5, s0
	v_cndmask_b32_sdwa v3, v4, v3, vcc dst_sel:DWORD dst_unused:UNUSED_PAD src0_sel:DWORD src1_sel:WORD_1
	global_store_dword v[0:1], v3, off
	s_mov_b64 s[0:1], 0
.LBB25_2051:
	s_mov_b64 s[4:5], 0
.LBB25_2052:
	s_and_b64 vcc, exec, s[4:5]
	s_cbranch_vccz .LBB25_2057
; %bb.2053:
	s_cmp_eq_u32 s14, 44
	s_mov_b64 s[0:1], -1
	s_cbranch_scc0 .LBB25_2057
; %bb.2054:
	v_cvt_f32_f16_e32 v3, v2
	s_movk_i32 s0, 0xff
	v_mov_b32_e32 v5, 0xff
	v_bfe_u32 v4, v3, 23, 8
	v_cmp_ne_u32_e32 vcc, s0, v4
	s_and_saveexec_b64 s[4:5], vcc
; %bb.2055:
	s_mov_b32 s0, 0x3fffff
	v_lshrrev_b32_e32 v5, 23, v3
	v_and_b32_e32 v6, 0x400000, v3
	v_and_or_b32 v3, v3, s0, v4
	v_cmp_ne_u32_e32 vcc, 0, v6
	v_cmp_ne_u32_e64 s[0:1], 0, v3
	s_and_b64 s[0:1], vcc, s[0:1]
	v_cndmask_b32_e64 v3, 0, 1, s[0:1]
	v_add_u32_e32 v5, v5, v3
; %bb.2056:
	s_or_b64 exec, exec, s[4:5]
	s_mov_b64 s[0:1], 0
	global_store_byte v[0:1], v5, off
.LBB25_2057:
	s_mov_b64 s[4:5], 0
.LBB25_2058:
	s_and_b64 vcc, exec, s[4:5]
	s_cbranch_vccz .LBB25_2061
; %bb.2059:
	s_cmp_eq_u32 s14, 29
	s_mov_b64 s[0:1], -1
	s_cbranch_scc0 .LBB25_2061
; %bb.2060:
	v_cvt_f32_f16_e32 v3, v2
	v_mov_b32_e32 v4, 0
	s_mov_b64 s[0:1], 0
	v_cvt_u32_f32_e32 v3, v3
	global_store_dwordx2 v[0:1], v[3:4], off
.LBB25_2061:
	s_mov_b64 s[4:5], 0
.LBB25_2062:
	s_and_b64 vcc, exec, s[4:5]
	s_cbranch_vccz .LBB25_2077
; %bb.2063:
	s_cmp_lt_i32 s14, 27
	s_mov_b64 s[4:5], -1
	s_cbranch_scc1 .LBB25_2069
; %bb.2064:
	s_cmp_gt_i32 s14, 27
	s_cbranch_scc0 .LBB25_2066
; %bb.2065:
	v_cvt_f32_f16_e32 v3, v2
	s_mov_b64 s[4:5], 0
	v_cvt_u32_f32_e32 v3, v3
	global_store_dword v[0:1], v3, off
.LBB25_2066:
	s_andn2_b64 vcc, exec, s[4:5]
	s_cbranch_vccnz .LBB25_2068
; %bb.2067:
	v_cvt_u16_f16_e32 v3, v2
	global_store_short v[0:1], v3, off
.LBB25_2068:
	s_mov_b64 s[4:5], 0
.LBB25_2069:
	s_andn2_b64 vcc, exec, s[4:5]
	s_cbranch_vccnz .LBB25_2077
; %bb.2070:
	v_cvt_f32_f16_e32 v3, v2
	s_mov_b32 s4, 0x43800000
	v_mov_b32_e32 v5, 0x80
	v_and_b32_e32 v4, 0x7fffffff, v3
	v_cmp_gt_u32_e32 vcc, s4, v4
	s_and_saveexec_b64 s[4:5], vcc
	s_cbranch_execz .LBB25_2076
; %bb.2071:
	s_mov_b32 s8, 0x3bffffff
	v_cmp_lt_u32_e32 vcc, s8, v4
	s_mov_b64 s[8:9], 0
                                        ; implicit-def: $vgpr4
	s_and_saveexec_b64 s[10:11], vcc
	s_xor_b64 s[10:11], exec, s[10:11]
	s_cbranch_execz .LBB25_2182
; %bb.2072:
	v_bfe_u32 v4, v3, 20, 1
	s_mov_b32 s15, 0x487ffff
	v_add3_u32 v4, v3, v4, s15
	s_mov_b64 s[8:9], exec
	v_lshrrev_b32_e32 v4, 20, v4
	s_andn2_saveexec_b64 s[10:11], s[10:11]
	s_cbranch_execnz .LBB25_2183
.LBB25_2073:
	s_or_b64 exec, exec, s[10:11]
	v_mov_b32_e32 v5, 0
	s_and_saveexec_b64 s[10:11], s[8:9]
.LBB25_2074:
	v_lshrrev_b32_e32 v3, 24, v3
	s_movk_i32 s8, 0x80
	v_and_or_b32 v5, v3, s8, v4
.LBB25_2075:
	s_or_b64 exec, exec, s[10:11]
.LBB25_2076:
	s_or_b64 exec, exec, s[4:5]
	global_store_byte v[0:1], v5, off
.LBB25_2077:
	s_mov_b64 s[4:5], 0
.LBB25_2078:
	s_and_b64 vcc, exec, s[4:5]
	s_cbranch_vccz .LBB25_2118
; %bb.2079:
	s_cmp_gt_i32 s14, 22
	s_mov_b64 s[2:3], -1
	s_cbranch_scc0 .LBB25_2111
; %bb.2080:
	s_cmp_lt_i32 s14, 24
	s_cbranch_scc1 .LBB25_2100
; %bb.2081:
	s_cmp_gt_i32 s14, 24
	s_cbranch_scc0 .LBB25_2089
; %bb.2082:
	v_cvt_f32_f16_e32 v3, v2
	s_mov_b32 s2, 0x47800000
	v_mov_b32_e32 v5, 0x80
	v_and_b32_e32 v4, 0x7fffffff, v3
	v_cmp_gt_u32_e32 vcc, s2, v4
	s_and_saveexec_b64 s[2:3], vcc
	s_cbranch_execz .LBB25_2088
; %bb.2083:
	s_mov_b32 s4, 0x37ffffff
	v_cmp_lt_u32_e32 vcc, s4, v4
	s_mov_b64 s[4:5], 0
                                        ; implicit-def: $vgpr4
	s_and_saveexec_b64 s[8:9], vcc
	s_xor_b64 s[8:9], exec, s[8:9]
	s_cbranch_execz .LBB25_2185
; %bb.2084:
	v_bfe_u32 v4, v3, 21, 1
	s_mov_b32 s10, 0x88fffff
	v_add3_u32 v4, v3, v4, s10
	s_mov_b64 s[4:5], exec
	v_lshrrev_b32_e32 v4, 21, v4
	s_andn2_saveexec_b64 s[8:9], s[8:9]
	s_cbranch_execnz .LBB25_2186
.LBB25_2085:
	s_or_b64 exec, exec, s[8:9]
	v_mov_b32_e32 v5, 0
	s_and_saveexec_b64 s[8:9], s[4:5]
.LBB25_2086:
	v_lshrrev_b32_e32 v3, 24, v3
	s_movk_i32 s4, 0x80
	v_and_or_b32 v5, v3, s4, v4
.LBB25_2087:
	s_or_b64 exec, exec, s[8:9]
.LBB25_2088:
	s_or_b64 exec, exec, s[2:3]
	s_mov_b64 s[2:3], 0
	global_store_byte v[0:1], v5, off
.LBB25_2089:
	s_and_b64 vcc, exec, s[2:3]
	s_cbranch_vccz .LBB25_2099
; %bb.2090:
	v_cvt_f32_f16_e32 v3, v2
	s_mov_b32 s2, 0x43f00000
                                        ; implicit-def: $vgpr4
	v_and_b32_e32 v5, 0x7fffffff, v3
	v_cmp_gt_u32_e32 vcc, s2, v5
	s_and_saveexec_b64 s[2:3], vcc
	s_xor_b64 s[2:3], exec, s[2:3]
	s_cbranch_execz .LBB25_2096
; %bb.2091:
	s_mov_b32 s4, 0x3c7fffff
	v_cmp_lt_u32_e32 vcc, s4, v5
                                        ; implicit-def: $vgpr4
	s_and_saveexec_b64 s[4:5], vcc
	s_xor_b64 s[4:5], exec, s[4:5]
; %bb.2092:
	v_bfe_u32 v4, v3, 20, 1
	s_mov_b32 s8, 0x407ffff
	v_add3_u32 v4, v3, v4, s8
	v_lshrrev_b32_e32 v5, 20, v4
	v_and_b32_e32 v4, 0xff00000, v4
	s_mov_b32 s8, 0x7f00000
	v_mov_b32_e32 v6, 0x7e
	v_cmp_ne_u32_e32 vcc, s8, v4
	v_cndmask_b32_e32 v4, v6, v5, vcc
; %bb.2093:
	s_andn2_saveexec_b64 s[4:5], s[4:5]
; %bb.2094:
	s_mov_b32 s8, 0x46800000
	v_add_f32_e64 v4, |v3|, s8
; %bb.2095:
	s_or_b64 exec, exec, s[4:5]
                                        ; implicit-def: $vgpr5
.LBB25_2096:
	s_andn2_saveexec_b64 s[2:3], s[2:3]
; %bb.2097:
	s_mov_b32 s4, 0x7f800000
	v_mov_b32_e32 v4, 0x7e
	v_mov_b32_e32 v6, 0x7f
	v_cmp_lt_u32_e32 vcc, s4, v5
	v_cndmask_b32_e32 v4, v4, v6, vcc
; %bb.2098:
	s_or_b64 exec, exec, s[2:3]
	v_lshrrev_b32_e32 v3, 24, v3
	s_movk_i32 s2, 0x80
	v_and_or_b32 v3, v3, s2, v4
	global_store_byte v[0:1], v3, off
.LBB25_2099:
	s_mov_b64 s[2:3], 0
.LBB25_2100:
	s_andn2_b64 vcc, exec, s[2:3]
	s_cbranch_vccnz .LBB25_2110
; %bb.2101:
	v_cvt_f32_f16_e32 v3, v2
	s_mov_b32 s2, 0x47800000
                                        ; implicit-def: $vgpr4
	v_and_b32_e32 v5, 0x7fffffff, v3
	v_cmp_gt_u32_e32 vcc, s2, v5
	s_and_saveexec_b64 s[2:3], vcc
	s_xor_b64 s[2:3], exec, s[2:3]
	s_cbranch_execz .LBB25_2107
; %bb.2102:
	s_mov_b32 s4, 0x387fffff
	v_cmp_lt_u32_e32 vcc, s4, v5
                                        ; implicit-def: $vgpr4
	s_and_saveexec_b64 s[4:5], vcc
	s_xor_b64 s[4:5], exec, s[4:5]
; %bb.2103:
	v_bfe_u32 v4, v3, 21, 1
	s_mov_b32 s8, 0x80fffff
	v_add3_u32 v4, v3, v4, s8
	v_lshrrev_b32_e32 v4, 21, v4
; %bb.2104:
	s_andn2_saveexec_b64 s[4:5], s[4:5]
; %bb.2105:
	s_mov_b32 s8, 0x43000000
	v_add_f32_e64 v4, |v3|, s8
; %bb.2106:
	s_or_b64 exec, exec, s[4:5]
                                        ; implicit-def: $vgpr5
.LBB25_2107:
	s_andn2_saveexec_b64 s[2:3], s[2:3]
; %bb.2108:
	s_mov_b32 s4, 0x7f800000
	v_mov_b32_e32 v4, 0x7c
	v_mov_b32_e32 v6, 0x7f
	v_cmp_lt_u32_e32 vcc, s4, v5
	v_cndmask_b32_e32 v4, v4, v6, vcc
; %bb.2109:
	s_or_b64 exec, exec, s[2:3]
	v_lshrrev_b32_e32 v3, 24, v3
	s_movk_i32 s2, 0x80
	v_and_or_b32 v3, v3, s2, v4
	global_store_byte v[0:1], v3, off
.LBB25_2110:
	s_mov_b64 s[2:3], 0
.LBB25_2111:
	s_andn2_b64 vcc, exec, s[2:3]
	s_mov_b64 s[2:3], 0
	s_cbranch_vccnz .LBB25_2118
; %bb.2112:
	s_cmp_gt_i32 s14, 14
	s_mov_b64 s[4:5], -1
	s_cbranch_scc0 .LBB25_2116
; %bb.2113:
	s_cmp_eq_u32 s14, 15
	s_mov_b64 s[0:1], -1
	s_cbranch_scc0 .LBB25_2115
; %bb.2114:
	v_cvt_f32_f16_e32 v3, v2
	s_movk_i32 s0, 0x7fff
	v_cmp_o_f16_e32 vcc, v2, v2
	v_mov_b32_e32 v4, 0x7fc0
	v_bfe_u32 v5, v3, 16, 1
	v_add3_u32 v3, v3, v5, s0
	v_cndmask_b32_sdwa v3, v4, v3, vcc dst_sel:DWORD dst_unused:UNUSED_PAD src0_sel:DWORD src1_sel:WORD_1
	global_store_short v[0:1], v3, off
	s_mov_b64 s[0:1], 0
.LBB25_2115:
	s_mov_b64 s[4:5], 0
.LBB25_2116:
	s_and_b64 vcc, exec, s[4:5]
	s_cbranch_vccz .LBB25_2118
; %bb.2117:
	s_cmp_lg_u32 s14, 11
	s_mov_b64 s[2:3], -1
	s_cselect_b64 s[0:1], -1, 0
.LBB25_2118:
	s_and_b64 vcc, exec, s[0:1]
	s_cbranch_vccnz .LBB25_2184
.LBB25_2119:
	s_mov_b64 s[0:1], 0
	s_branch .LBB25_2121
.LBB25_2120:
	s_mov_b64 s[0:1], 0
	s_mov_b64 s[2:3], 0
                                        ; implicit-def: $vgpr0_vgpr1
                                        ; implicit-def: $sgpr16
                                        ; implicit-def: $vgpr2
.LBB25_2121:
	s_and_b64 s[40:41], s[2:3], exec
	s_andn2_b64 s[2:3], s[6:7], exec
	s_and_b64 s[4:5], s[12:13], exec
	s_and_b64 s[0:1], s[0:1], exec
	s_or_b64 s[6:7], s[2:3], s[4:5]
.LBB25_2122:
	s_or_b64 exec, exec, s[28:29]
	s_and_saveexec_b64 s[2:3], s[6:7]
	s_cbranch_execz .LBB25_2125
; %bb.2123:
	; divergent unreachable
	s_or_b64 exec, exec, s[2:3]
	s_and_saveexec_b64 s[2:3], s[40:41]
	s_xor_b64 s[2:3], exec, s[2:3]
	s_cbranch_execnz .LBB25_2126
.LBB25_2124:
	s_or_b64 exec, exec, s[2:3]
	s_and_saveexec_b64 s[2:3], s[0:1]
	s_cbranch_execnz .LBB25_2127
	s_branch .LBB25_2164
.LBB25_2125:
	s_or_b64 exec, exec, s[2:3]
	s_and_saveexec_b64 s[2:3], s[40:41]
	s_xor_b64 s[2:3], exec, s[2:3]
	s_cbranch_execz .LBB25_2124
.LBB25_2126:
	v_cmp_neq_f16_e32 vcc, 0, v2
	s_waitcnt vmcnt(0)
	v_cndmask_b32_e64 v3, 0, 1, vcc
	global_store_byte v[0:1], v3, off
	s_or_b64 exec, exec, s[2:3]
	s_and_saveexec_b64 s[2:3], s[0:1]
	s_cbranch_execz .LBB25_2164
.LBB25_2127:
	s_sext_i32_i16 s2, s16
	s_cmp_lt_i32 s2, 5
	s_mov_b64 s[0:1], -1
	s_cbranch_scc1 .LBB25_2148
; %bb.2128:
	s_cmp_lt_i32 s2, 8
	s_cbranch_scc1 .LBB25_2138
; %bb.2129:
	s_cmp_lt_i32 s2, 9
	s_cbranch_scc1 .LBB25_2135
; %bb.2130:
	s_cmp_gt_i32 s2, 9
	s_cbranch_scc0 .LBB25_2132
; %bb.2131:
	s_waitcnt vmcnt(0)
	v_cvt_f32_f16_e32 v3, v2
	v_mov_b32_e32 v5, 0
	v_mov_b32_e32 v6, v5
	s_mov_b64 s[0:1], 0
	v_cvt_f64_f32_e32 v[3:4], v3
	global_store_dwordx4 v[0:1], v[3:6], off
.LBB25_2132:
	s_andn2_b64 vcc, exec, s[0:1]
	s_cbranch_vccnz .LBB25_2134
; %bb.2133:
	s_waitcnt vmcnt(0)
	v_cvt_f32_f16_e32 v3, v2
	v_mov_b32_e32 v4, 0
	global_store_dwordx2 v[0:1], v[3:4], off
.LBB25_2134:
	s_mov_b64 s[0:1], 0
.LBB25_2135:
	s_andn2_b64 vcc, exec, s[0:1]
	s_cbranch_vccnz .LBB25_2137
; %bb.2136:
	s_waitcnt vmcnt(0)
	v_and_b32_e32 v3, 0xffff, v2
	global_store_dword v[0:1], v3, off
.LBB25_2137:
	s_mov_b64 s[0:1], 0
.LBB25_2138:
	s_andn2_b64 vcc, exec, s[0:1]
	s_cbranch_vccnz .LBB25_2147
; %bb.2139:
	s_sext_i32_i16 s2, s16
	s_cmp_lt_i32 s2, 6
	s_mov_b64 s[0:1], -1
	s_cbranch_scc1 .LBB25_2145
; %bb.2140:
	s_cmp_gt_i32 s2, 6
	s_cbranch_scc0 .LBB25_2142
; %bb.2141:
	s_waitcnt vmcnt(0)
	v_cvt_f32_f16_e32 v3, v2
	s_mov_b64 s[0:1], 0
	v_cvt_f64_f32_e32 v[3:4], v3
	global_store_dwordx2 v[0:1], v[3:4], off
.LBB25_2142:
	s_andn2_b64 vcc, exec, s[0:1]
	s_cbranch_vccnz .LBB25_2144
; %bb.2143:
	s_waitcnt vmcnt(0)
	v_cvt_f32_f16_e32 v3, v2
	global_store_dword v[0:1], v3, off
.LBB25_2144:
	s_mov_b64 s[0:1], 0
.LBB25_2145:
	s_andn2_b64 vcc, exec, s[0:1]
	s_cbranch_vccnz .LBB25_2147
; %bb.2146:
	s_waitcnt vmcnt(0)
	global_store_short v[0:1], v2, off
.LBB25_2147:
	s_mov_b64 s[0:1], 0
.LBB25_2148:
	s_andn2_b64 vcc, exec, s[0:1]
	s_cbranch_vccnz .LBB25_2164
; %bb.2149:
	s_sext_i32_i16 s2, s16
	s_cmp_lt_i32 s2, 2
	s_mov_b64 s[0:1], -1
	s_cbranch_scc1 .LBB25_2159
; %bb.2150:
	s_cmp_lt_i32 s2, 3
	s_cbranch_scc1 .LBB25_2156
; %bb.2151:
	s_cmp_gt_i32 s2, 3
	s_cbranch_scc0 .LBB25_2153
; %bb.2152:
	s_waitcnt vmcnt(0)
	v_cvt_f32_f16_e32 v3, v2
	s_mov_b64 s[0:1], 0
	v_cvt_i32_f32_e32 v3, v3
	v_ashrrev_i32_e32 v4, 31, v3
	global_store_dwordx2 v[0:1], v[3:4], off
.LBB25_2153:
	s_andn2_b64 vcc, exec, s[0:1]
	s_cbranch_vccnz .LBB25_2155
; %bb.2154:
	s_waitcnt vmcnt(0)
	v_cvt_f32_f16_e32 v3, v2
	v_cvt_i32_f32_e32 v3, v3
	global_store_dword v[0:1], v3, off
.LBB25_2155:
	s_mov_b64 s[0:1], 0
.LBB25_2156:
	s_andn2_b64 vcc, exec, s[0:1]
	s_cbranch_vccnz .LBB25_2158
; %bb.2157:
	s_waitcnt vmcnt(0)
	v_cvt_i16_f16_e32 v3, v2
	global_store_short v[0:1], v3, off
.LBB25_2158:
	s_mov_b64 s[0:1], 0
.LBB25_2159:
	s_andn2_b64 vcc, exec, s[0:1]
	s_cbranch_vccnz .LBB25_2164
; %bb.2160:
	s_sext_i32_i16 s0, s16
	s_cmp_gt_i32 s0, 0
	s_mov_b64 s[0:1], -1
	s_cbranch_scc0 .LBB25_2162
; %bb.2161:
	s_waitcnt vmcnt(0)
	v_cvt_i16_f16_e32 v3, v2
	global_store_byte v[0:1], v3, off
	s_mov_b64 s[0:1], 0
.LBB25_2162:
	s_andn2_b64 vcc, exec, s[0:1]
	s_cbranch_vccnz .LBB25_2164
; %bb.2163:
	v_cvt_f32_f16_e32 v2, v2
	v_cvt_i32_f32_e32 v2, v2
	s_waitcnt vmcnt(0)
	global_store_byte v[0:1], v2, off
	s_endpgm
.LBB25_2164:
	s_endpgm
.LBB25_2165:
	s_mov_b64 s[2:3], 0
	s_mov_b64 s[0:1], -1
	s_branch .LBB25_2121
.LBB25_2166:
	s_trap 2
	s_or_b64 s[12:13], s[12:13], exec
	s_cbranch_execz .LBB25_1631
	s_branch .LBB25_1632
.LBB25_2167:
	s_andn2_saveexec_b64 s[14:15], s[14:15]
	s_cbranch_execz .LBB25_1715
.LBB25_2168:
	s_mov_b32 s19, 0x46000000
	v_add_f32_e64 v12, |v3|, s19
	v_and_b32_e32 v12, 0xff, v12
	v_cmp_ne_u32_e32 vcc, 0, v12
	s_andn2_b64 s[10:11], s[10:11], exec
	s_and_b64 s[20:21], vcc, exec
	s_or_b64 s[10:11], s[10:11], s[20:21]
	s_or_b64 exec, exec, s[14:15]
	v_mov_b32_e32 v20, 0
	s_and_saveexec_b64 s[14:15], s[10:11]
	s_cbranch_execnz .LBB25_1716
	s_branch .LBB25_1717
.LBB25_2169:
	s_trap 2
	s_or_b64 s[12:13], s[12:13], exec
	s_cbranch_execz .LBB25_1763
	s_branch .LBB25_1764
.LBB25_2170:
	s_andn2_saveexec_b64 s[10:11], s[10:11]
	s_cbranch_execz .LBB25_1728
.LBB25_2171:
	s_mov_b32 s14, 0x42800000
	v_add_f32_e64 v12, |v3|, s14
	v_and_b32_e32 v12, 0xff, v12
	v_cmp_ne_u32_e32 vcc, 0, v12
	s_andn2_b64 s[4:5], s[4:5], exec
	s_and_b64 s[14:15], vcc, exec
	s_or_b64 s[4:5], s[4:5], s[14:15]
	s_or_b64 exec, exec, s[10:11]
	v_mov_b32_e32 v20, 0
	s_and_saveexec_b64 s[10:11], s[4:5]
	s_cbranch_execnz .LBB25_1729
	s_branch .LBB25_1730
.LBB25_2172:
	s_andn2_saveexec_b64 s[14:15], s[14:15]
	s_cbranch_execz .LBB25_1834
.LBB25_2173:
	s_mov_b32 s18, 0x46000000
	v_add_f32_e64 v6, |v5|, s18
	v_and_b32_e32 v6, 0xff, v6
	v_cmp_ne_u32_e32 vcc, 0, v6
	s_andn2_b64 s[10:11], s[10:11], exec
	s_and_b64 s[18:19], vcc, exec
	s_or_b64 s[10:11], s[10:11], s[18:19]
	s_or_b64 exec, exec, s[14:15]
	v_mov_b32_e32 v10, 0
	s_and_saveexec_b64 s[14:15], s[10:11]
	s_cbranch_execnz .LBB25_1835
	s_branch .LBB25_1836
.LBB25_2174:
	s_trap 2
	s_or_b64 s[12:13], s[12:13], exec
	s_cbranch_execz .LBB25_1882
	s_branch .LBB25_1883
.LBB25_2175:
	s_andn2_saveexec_b64 s[10:11], s[10:11]
	s_cbranch_execz .LBB25_1847
.LBB25_2176:
	s_mov_b32 s14, 0x42800000
	v_add_f32_e64 v6, |v5|, s14
	v_and_b32_e32 v6, 0xff, v6
	v_cmp_ne_u32_e32 vcc, 0, v6
	s_andn2_b64 s[4:5], s[4:5], exec
	s_and_b64 s[14:15], vcc, exec
	s_or_b64 s[4:5], s[4:5], s[14:15]
	s_or_b64 exec, exec, s[10:11]
	v_mov_b32_e32 v10, 0
	s_and_saveexec_b64 s[10:11], s[4:5]
	s_cbranch_execnz .LBB25_1848
	s_branch .LBB25_1849
.LBB25_2177:
	s_andn2_saveexec_b64 s[14:15], s[14:15]
	s_cbranch_execz .LBB25_1953
.LBB25_2178:
	s_mov_b32 s18, 0x46000000
	v_add_f32_e64 v5, |v4|, s18
	v_and_b32_e32 v5, 0xff, v5
	v_cmp_ne_u32_e32 vcc, 0, v5
	s_andn2_b64 s[10:11], s[10:11], exec
	s_and_b64 s[18:19], vcc, exec
	s_or_b64 s[10:11], s[10:11], s[18:19]
	s_or_b64 exec, exec, s[14:15]
	v_mov_b32_e32 v6, 0
	s_and_saveexec_b64 s[14:15], s[10:11]
	s_cbranch_execnz .LBB25_1954
	s_branch .LBB25_1955
.LBB25_2179:
	s_trap 2
	s_or_b64 s[12:13], s[12:13], exec
	s_cbranch_execz .LBB25_2001
	s_branch .LBB25_2002
.LBB25_2180:
	s_andn2_saveexec_b64 s[10:11], s[10:11]
	s_cbranch_execz .LBB25_1966
.LBB25_2181:
	s_mov_b32 s14, 0x42800000
	v_add_f32_e64 v5, |v4|, s14
	v_and_b32_e32 v5, 0xff, v5
	v_cmp_ne_u32_e32 vcc, 0, v5
	s_andn2_b64 s[4:5], s[4:5], exec
	s_and_b64 s[14:15], vcc, exec
	s_or_b64 s[4:5], s[4:5], s[14:15]
	s_or_b64 exec, exec, s[10:11]
	v_mov_b32_e32 v6, 0
	s_and_saveexec_b64 s[10:11], s[4:5]
	s_cbranch_execnz .LBB25_1967
	s_branch .LBB25_1968
.LBB25_2182:
	s_andn2_saveexec_b64 s[10:11], s[10:11]
	s_cbranch_execz .LBB25_2073
.LBB25_2183:
	s_mov_b32 s15, 0x46000000
	v_add_f32_e64 v4, |v3|, s15
	v_and_b32_e32 v4, 0xff, v4
	v_cmp_ne_u32_e32 vcc, 0, v4
	s_andn2_b64 s[8:9], s[8:9], exec
	s_and_b64 s[18:19], vcc, exec
	s_or_b64 s[8:9], s[8:9], s[18:19]
	s_or_b64 exec, exec, s[10:11]
	v_mov_b32_e32 v5, 0
	s_and_saveexec_b64 s[10:11], s[8:9]
	s_cbranch_execnz .LBB25_2074
	s_branch .LBB25_2075
.LBB25_2184:
	s_mov_b64 s[2:3], 0
	s_or_b64 s[12:13], s[12:13], exec
	s_trap 2
	s_branch .LBB25_2119
.LBB25_2185:
	s_andn2_saveexec_b64 s[8:9], s[8:9]
	s_cbranch_execz .LBB25_2085
.LBB25_2186:
	s_mov_b32 s10, 0x42800000
	v_add_f32_e64 v4, |v3|, s10
	v_and_b32_e32 v4, 0xff, v4
	v_cmp_ne_u32_e32 vcc, 0, v4
	s_andn2_b64 s[4:5], s[4:5], exec
	s_and_b64 s[10:11], vcc, exec
	s_or_b64 s[4:5], s[4:5], s[10:11]
	s_or_b64 exec, exec, s[8:9]
	v_mov_b32_e32 v5, 0
	s_and_saveexec_b64 s[8:9], s[4:5]
	s_cbranch_execnz .LBB25_2086
	s_branch .LBB25_2087
	.section	.rodata,"a",@progbits
	.p2align	6, 0x0
	.amdhsa_kernel _ZN2at6native32elementwise_kernel_manual_unrollILi128ELi4EZNS0_15gpu_kernel_implIZZZNS0_15sin_kernel_cudaERNS_18TensorIteratorBaseEENKUlvE0_clEvENKUlvE1_clEvEUlN3c104HalfEE_EEvS4_RKT_EUlibE0_EEviT1_
		.amdhsa_group_segment_fixed_size 0
		.amdhsa_private_segment_fixed_size 0
		.amdhsa_kernarg_size 360
		.amdhsa_user_sgpr_count 6
		.amdhsa_user_sgpr_private_segment_buffer 1
		.amdhsa_user_sgpr_dispatch_ptr 0
		.amdhsa_user_sgpr_queue_ptr 0
		.amdhsa_user_sgpr_kernarg_segment_ptr 1
		.amdhsa_user_sgpr_dispatch_id 0
		.amdhsa_user_sgpr_flat_scratch_init 0
		.amdhsa_user_sgpr_private_segment_size 0
		.amdhsa_uses_dynamic_stack 0
		.amdhsa_system_sgpr_private_segment_wavefront_offset 0
		.amdhsa_system_sgpr_workgroup_id_x 1
		.amdhsa_system_sgpr_workgroup_id_y 0
		.amdhsa_system_sgpr_workgroup_id_z 0
		.amdhsa_system_sgpr_workgroup_info 0
		.amdhsa_system_vgpr_workitem_id 0
		.amdhsa_next_free_vgpr 30
		.amdhsa_next_free_sgpr 78
		.amdhsa_reserve_vcc 1
		.amdhsa_reserve_flat_scratch 0
		.amdhsa_float_round_mode_32 0
		.amdhsa_float_round_mode_16_64 0
		.amdhsa_float_denorm_mode_32 3
		.amdhsa_float_denorm_mode_16_64 3
		.amdhsa_dx10_clamp 1
		.amdhsa_ieee_mode 1
		.amdhsa_fp16_overflow 0
		.amdhsa_exception_fp_ieee_invalid_op 0
		.amdhsa_exception_fp_denorm_src 0
		.amdhsa_exception_fp_ieee_div_zero 0
		.amdhsa_exception_fp_ieee_overflow 0
		.amdhsa_exception_fp_ieee_underflow 0
		.amdhsa_exception_fp_ieee_inexact 0
		.amdhsa_exception_int_div_zero 0
	.end_amdhsa_kernel
	.section	.text._ZN2at6native32elementwise_kernel_manual_unrollILi128ELi4EZNS0_15gpu_kernel_implIZZZNS0_15sin_kernel_cudaERNS_18TensorIteratorBaseEENKUlvE0_clEvENKUlvE1_clEvEUlN3c104HalfEE_EEvS4_RKT_EUlibE0_EEviT1_,"axG",@progbits,_ZN2at6native32elementwise_kernel_manual_unrollILi128ELi4EZNS0_15gpu_kernel_implIZZZNS0_15sin_kernel_cudaERNS_18TensorIteratorBaseEENKUlvE0_clEvENKUlvE1_clEvEUlN3c104HalfEE_EEvS4_RKT_EUlibE0_EEviT1_,comdat
.Lfunc_end25:
	.size	_ZN2at6native32elementwise_kernel_manual_unrollILi128ELi4EZNS0_15gpu_kernel_implIZZZNS0_15sin_kernel_cudaERNS_18TensorIteratorBaseEENKUlvE0_clEvENKUlvE1_clEvEUlN3c104HalfEE_EEvS4_RKT_EUlibE0_EEviT1_, .Lfunc_end25-_ZN2at6native32elementwise_kernel_manual_unrollILi128ELi4EZNS0_15gpu_kernel_implIZZZNS0_15sin_kernel_cudaERNS_18TensorIteratorBaseEENKUlvE0_clEvENKUlvE1_clEvEUlN3c104HalfEE_EEvS4_RKT_EUlibE0_EEviT1_
                                        ; -- End function
	.set _ZN2at6native32elementwise_kernel_manual_unrollILi128ELi4EZNS0_15gpu_kernel_implIZZZNS0_15sin_kernel_cudaERNS_18TensorIteratorBaseEENKUlvE0_clEvENKUlvE1_clEvEUlN3c104HalfEE_EEvS4_RKT_EUlibE0_EEviT1_.num_vgpr, 30
	.set _ZN2at6native32elementwise_kernel_manual_unrollILi128ELi4EZNS0_15gpu_kernel_implIZZZNS0_15sin_kernel_cudaERNS_18TensorIteratorBaseEENKUlvE0_clEvENKUlvE1_clEvEUlN3c104HalfEE_EEvS4_RKT_EUlibE0_EEviT1_.num_agpr, 0
	.set _ZN2at6native32elementwise_kernel_manual_unrollILi128ELi4EZNS0_15gpu_kernel_implIZZZNS0_15sin_kernel_cudaERNS_18TensorIteratorBaseEENKUlvE0_clEvENKUlvE1_clEvEUlN3c104HalfEE_EEvS4_RKT_EUlibE0_EEviT1_.numbered_sgpr, 78
	.set _ZN2at6native32elementwise_kernel_manual_unrollILi128ELi4EZNS0_15gpu_kernel_implIZZZNS0_15sin_kernel_cudaERNS_18TensorIteratorBaseEENKUlvE0_clEvENKUlvE1_clEvEUlN3c104HalfEE_EEvS4_RKT_EUlibE0_EEviT1_.num_named_barrier, 0
	.set _ZN2at6native32elementwise_kernel_manual_unrollILi128ELi4EZNS0_15gpu_kernel_implIZZZNS0_15sin_kernel_cudaERNS_18TensorIteratorBaseEENKUlvE0_clEvENKUlvE1_clEvEUlN3c104HalfEE_EEvS4_RKT_EUlibE0_EEviT1_.private_seg_size, 0
	.set _ZN2at6native32elementwise_kernel_manual_unrollILi128ELi4EZNS0_15gpu_kernel_implIZZZNS0_15sin_kernel_cudaERNS_18TensorIteratorBaseEENKUlvE0_clEvENKUlvE1_clEvEUlN3c104HalfEE_EEvS4_RKT_EUlibE0_EEviT1_.uses_vcc, 1
	.set _ZN2at6native32elementwise_kernel_manual_unrollILi128ELi4EZNS0_15gpu_kernel_implIZZZNS0_15sin_kernel_cudaERNS_18TensorIteratorBaseEENKUlvE0_clEvENKUlvE1_clEvEUlN3c104HalfEE_EEvS4_RKT_EUlibE0_EEviT1_.uses_flat_scratch, 0
	.set _ZN2at6native32elementwise_kernel_manual_unrollILi128ELi4EZNS0_15gpu_kernel_implIZZZNS0_15sin_kernel_cudaERNS_18TensorIteratorBaseEENKUlvE0_clEvENKUlvE1_clEvEUlN3c104HalfEE_EEvS4_RKT_EUlibE0_EEviT1_.has_dyn_sized_stack, 0
	.set _ZN2at6native32elementwise_kernel_manual_unrollILi128ELi4EZNS0_15gpu_kernel_implIZZZNS0_15sin_kernel_cudaERNS_18TensorIteratorBaseEENKUlvE0_clEvENKUlvE1_clEvEUlN3c104HalfEE_EEvS4_RKT_EUlibE0_EEviT1_.has_recursion, 0
	.set _ZN2at6native32elementwise_kernel_manual_unrollILi128ELi4EZNS0_15gpu_kernel_implIZZZNS0_15sin_kernel_cudaERNS_18TensorIteratorBaseEENKUlvE0_clEvENKUlvE1_clEvEUlN3c104HalfEE_EEvS4_RKT_EUlibE0_EEviT1_.has_indirect_call, 0
	.section	.AMDGPU.csdata,"",@progbits
; Kernel info:
; codeLenInByte = 47592
; TotalNumSgprs: 82
; NumVgprs: 30
; ScratchSize: 0
; MemoryBound: 0
; FloatMode: 240
; IeeeMode: 1
; LDSByteSize: 0 bytes/workgroup (compile time only)
; SGPRBlocks: 10
; VGPRBlocks: 7
; NumSGPRsForWavesPerEU: 82
; NumVGPRsForWavesPerEU: 30
; Occupancy: 8
; WaveLimiterHint : 1
; COMPUTE_PGM_RSRC2:SCRATCH_EN: 0
; COMPUTE_PGM_RSRC2:USER_SGPR: 6
; COMPUTE_PGM_RSRC2:TRAP_HANDLER: 0
; COMPUTE_PGM_RSRC2:TGID_X_EN: 1
; COMPUTE_PGM_RSRC2:TGID_Y_EN: 0
; COMPUTE_PGM_RSRC2:TGID_Z_EN: 0
; COMPUTE_PGM_RSRC2:TIDIG_COMP_CNT: 0
	.text
	.p2align	2                               ; -- Begin function _ZN2at6native25elementwise_kernel_helperILb0EZZZNS0_15sin_kernel_cudaERNS_18TensorIteratorBaseEENKUlvE0_clEvENKUlvE2_clEvEUlN3c108BFloat16EE_NS0_6memory8policies11unroll_baseILi256ESt5arrayIPcLm2EE23TrivialOffsetCalculatorILi1EjESG_NS9_15LoadWithoutCastENS9_16StoreWithoutCastELi8ELi1EEEEEvT0_T1_
	.type	_ZN2at6native25elementwise_kernel_helperILb0EZZZNS0_15sin_kernel_cudaERNS_18TensorIteratorBaseEENKUlvE0_clEvENKUlvE2_clEvEUlN3c108BFloat16EE_NS0_6memory8policies11unroll_baseILi256ESt5arrayIPcLm2EE23TrivialOffsetCalculatorILi1EjESG_NS9_15LoadWithoutCastENS9_16StoreWithoutCastELi8ELi1EEEEEvT0_T1_,@function
_ZN2at6native25elementwise_kernel_helperILb0EZZZNS0_15sin_kernel_cudaERNS_18TensorIteratorBaseEENKUlvE0_clEvENKUlvE2_clEvEUlN3c108BFloat16EE_NS0_6memory8policies11unroll_baseILi256ESt5arrayIPcLm2EE23TrivialOffsetCalculatorILi1EjESG_NS9_15LoadWithoutCastENS9_16StoreWithoutCastELi8ELi1EEEEEvT0_T1_: ; @_ZN2at6native25elementwise_kernel_helperILb0EZZZNS0_15sin_kernel_cudaERNS_18TensorIteratorBaseEENKUlvE0_clEvENKUlvE2_clEvEUlN3c108BFloat16EE_NS0_6memory8policies11unroll_baseILi256ESt5arrayIPcLm2EE23TrivialOffsetCalculatorILi1EjESG_NS9_15LoadWithoutCastENS9_16StoreWithoutCastELi8ELi1EEEEEvT0_T1_
; %bb.0:
	s_waitcnt vmcnt(0) expcnt(0) lgkmcnt(0)
	v_and_b32_e32 v7, 0x3ff, v31
	s_lshl_b32 s16, s12, 11
	v_cmp_lt_i32_e64 s[4:5], v7, v4
	v_mov_b32_e32 v12, 0
	v_or_b32_e32 v5, s16, v7
	v_mov_b32_e32 v10, 0
	v_mov_b32_e32 v15, v7
	s_and_saveexec_b64 s[6:7], s[4:5]
	s_cbranch_execz .LBB26_2
; %bb.1:
	v_mov_b32_e32 v6, 0
	v_lshlrev_b64 v[8:9], 1, v[5:6]
	v_add_u32_e32 v15, 0x100, v7
	v_add_co_u32_e32 v8, vcc, v2, v8
	v_addc_co_u32_e32 v9, vcc, v3, v9, vcc
	flat_load_ushort v6, v[8:9]
	s_waitcnt vmcnt(0) lgkmcnt(0)
	v_lshlrev_b32_e32 v10, 16, v6
.LBB26_2:
	s_or_b64 exec, exec, s[6:7]
	v_cmp_lt_i32_e32 vcc, v15, v4
	s_and_saveexec_b64 s[6:7], vcc
	s_cbranch_execz .LBB26_4
; %bb.3:
	v_add_u32_e32 v8, s16, v15
	v_mov_b32_e32 v9, 0
	v_lshlrev_b64 v[8:9], 1, v[8:9]
	v_add_u32_e32 v15, 0x100, v15
	v_add_co_u32_e32 v8, vcc, v2, v8
	v_addc_co_u32_e32 v9, vcc, v3, v9, vcc
	flat_load_ushort v6, v[8:9]
	s_waitcnt vmcnt(0) lgkmcnt(0)
	v_lshlrev_b32_e32 v12, 16, v6
.LBB26_4:
	s_or_b64 exec, exec, s[6:7]
	v_cmp_lt_i32_e32 vcc, v15, v4
	v_mov_b32_e32 v13, 0
	v_mov_b32_e32 v14, 0
	s_and_saveexec_b64 s[6:7], vcc
	s_cbranch_execz .LBB26_6
; %bb.5:
	v_add_u32_e32 v8, s16, v15
	v_mov_b32_e32 v9, 0
	v_lshlrev_b64 v[8:9], 1, v[8:9]
	v_add_u32_e32 v15, 0x100, v15
	v_add_co_u32_e32 v8, vcc, v2, v8
	v_addc_co_u32_e32 v9, vcc, v3, v9, vcc
	flat_load_ushort v6, v[8:9]
	s_waitcnt vmcnt(0) lgkmcnt(0)
	v_lshlrev_b32_e32 v14, 16, v6
.LBB26_6:
	s_or_b64 exec, exec, s[6:7]
	v_cmp_lt_i32_e32 vcc, v15, v4
	s_and_saveexec_b64 s[6:7], vcc
	s_cbranch_execz .LBB26_8
; %bb.7:
	v_add_u32_e32 v8, s16, v15
	v_mov_b32_e32 v9, 0
	v_lshlrev_b64 v[8:9], 1, v[8:9]
	v_add_u32_e32 v15, 0x100, v15
	v_add_co_u32_e32 v8, vcc, v2, v8
	v_addc_co_u32_e32 v9, vcc, v3, v9, vcc
	flat_load_ushort v6, v[8:9]
	s_waitcnt vmcnt(0) lgkmcnt(0)
	v_lshlrev_b32_e32 v13, 16, v6
.LBB26_8:
	s_or_b64 exec, exec, s[6:7]
	v_cmp_lt_i32_e32 vcc, v15, v4
	v_mov_b32_e32 v9, 0
	v_mov_b32_e32 v11, 0
	s_and_saveexec_b64 s[6:7], vcc
	s_cbranch_execz .LBB26_10
; %bb.9:
	v_add_u32_e32 v16, s16, v15
	v_mov_b32_e32 v17, 0
	v_lshlrev_b64 v[16:17], 1, v[16:17]
	v_add_u32_e32 v15, 0x100, v15
	v_add_co_u32_e32 v16, vcc, v2, v16
	v_addc_co_u32_e32 v17, vcc, v3, v17, vcc
	flat_load_ushort v6, v[16:17]
	s_waitcnt vmcnt(0) lgkmcnt(0)
	v_lshlrev_b32_e32 v11, 16, v6
.LBB26_10:
	s_or_b64 exec, exec, s[6:7]
	v_cmp_lt_i32_e32 vcc, v15, v4
	s_and_saveexec_b64 s[6:7], vcc
	s_cbranch_execz .LBB26_12
; %bb.11:
	v_add_u32_e32 v8, s16, v15
	v_mov_b32_e32 v9, 0
	v_lshlrev_b64 v[8:9], 1, v[8:9]
	v_add_u32_e32 v15, 0x100, v15
	v_add_co_u32_e32 v8, vcc, v2, v8
	v_addc_co_u32_e32 v9, vcc, v3, v9, vcc
	flat_load_ushort v6, v[8:9]
	s_waitcnt vmcnt(0) lgkmcnt(0)
	v_lshlrev_b32_e32 v9, 16, v6
.LBB26_12:
	s_or_b64 exec, exec, s[6:7]
	v_cmp_lt_i32_e32 vcc, v15, v4
	v_mov_b32_e32 v6, 0
	v_mov_b32_e32 v8, 0
	s_and_saveexec_b64 s[6:7], vcc
	s_cbranch_execnz .LBB26_15
; %bb.13:
	s_or_b64 exec, exec, s[6:7]
	v_cmp_lt_i32_e32 vcc, v15, v4
	s_and_saveexec_b64 s[6:7], vcc
	s_cbranch_execnz .LBB26_16
.LBB26_14:
	s_or_b64 exec, exec, s[6:7]
                                        ; implicit-def: $vgpr2
	s_and_saveexec_b64 s[12:13], s[4:5]
	s_cbranch_execnz .LBB26_17
	s_branch .LBB26_22
.LBB26_15:
	v_add_u32_e32 v16, s16, v15
	v_mov_b32_e32 v17, 0
	v_lshlrev_b64 v[16:17], 1, v[16:17]
	v_add_u32_e32 v15, 0x100, v15
	v_add_co_u32_e32 v16, vcc, v2, v16
	v_addc_co_u32_e32 v17, vcc, v3, v17, vcc
	flat_load_ushort v8, v[16:17]
	s_waitcnt vmcnt(0) lgkmcnt(0)
	v_lshlrev_b32_e32 v8, 16, v8
	s_or_b64 exec, exec, s[6:7]
	v_cmp_lt_i32_e32 vcc, v15, v4
	s_and_saveexec_b64 s[6:7], vcc
	s_cbranch_execz .LBB26_14
.LBB26_16:
	v_add_u32_e32 v15, s16, v15
	v_mov_b32_e32 v16, 0
	v_lshlrev_b64 v[15:16], 1, v[15:16]
	v_add_co_u32_e32 v2, vcc, v2, v15
	v_addc_co_u32_e32 v3, vcc, v3, v16, vcc
	flat_load_ushort v2, v[2:3]
	s_waitcnt vmcnt(0) lgkmcnt(0)
	v_lshlrev_b32_e32 v6, 16, v2
	s_or_b64 exec, exec, s[6:7]
                                        ; implicit-def: $vgpr2
	s_and_saveexec_b64 s[12:13], s[4:5]
	s_cbranch_execz .LBB26_22
.LBB26_17:
	s_brev_b32 s6, 18
	v_and_b32_e32 v2, 0x7fffffff, v10
	v_cmp_nlt_f32_e64 s[6:7], |v10|, s6
                                        ; implicit-def: $vgpr3
                                        ; implicit-def: $vgpr15
	s_and_saveexec_b64 s[8:9], s[6:7]
	s_xor_b64 s[14:15], exec, s[8:9]
	s_cbranch_execz .LBB26_19
; %bb.18:
	v_and_b32_e32 v3, 0x7fffff, v2
	v_or_b32_e32 v3, 0x800000, v3
	s_mov_b32 s6, 0xfe5163ab
	v_mad_u64_u32 v[15:16], s[6:7], v3, s6, 0
	v_mov_b32_e32 v17, 0
	s_mov_b32 s6, 0x3c439041
	v_mad_u64_u32 v[18:19], s[6:7], v3, s6, v[16:17]
	s_mov_b32 s6, 0xdb629599
	v_not_b32_e32 v23, 63
	v_mov_b32_e32 v16, v19
	v_mad_u64_u32 v[19:20], s[6:7], v3, s6, v[16:17]
	s_mov_b32 s6, 0xf534ddc0
	v_not_b32_e32 v25, 31
	v_mov_b32_e32 v16, v20
	v_mad_u64_u32 v[20:21], s[6:7], v3, s6, v[16:17]
	v_lshrrev_b32_e32 v16, 23, v2
	v_add_u32_e32 v24, 0xffffff88, v16
	v_mov_b32_e32 v16, v21
	s_mov_b32 s6, 0xfc2757d1
	v_mad_u64_u32 v[21:22], s[6:7], v3, s6, v[16:17]
	v_cmp_lt_u32_e32 vcc, 63, v24
	v_cndmask_b32_e32 v16, 0, v23, vcc
	v_add_u32_e32 v24, v16, v24
	v_mov_b32_e32 v16, v22
	s_mov_b32 s6, 0x4e441529
	v_mad_u64_u32 v[22:23], s[6:7], v3, s6, v[16:17]
	v_cmp_lt_u32_e64 s[6:7], 31, v24
	v_cndmask_b32_e64 v16, 0, v25, s[6:7]
	v_add_u32_e32 v24, v16, v24
	v_mov_b32_e32 v16, v23
	s_mov_b32 s8, 0xa2f9836e
	v_mad_u64_u32 v[16:17], s[8:9], v3, s8, v[16:17]
	v_cmp_lt_u32_e64 s[8:9], 31, v24
	v_cndmask_b32_e64 v3, 0, v25, s[8:9]
	v_cndmask_b32_e32 v23, v22, v20, vcc
	v_cndmask_b32_e32 v16, v16, v21, vcc
	v_cndmask_b32_e32 v17, v17, v22, vcc
	v_add_u32_e32 v3, v3, v24
	v_cndmask_b32_e64 v24, v16, v23, s[6:7]
	v_cndmask_b32_e64 v16, v17, v16, s[6:7]
	v_cndmask_b32_e32 v17, v21, v19, vcc
	v_cndmask_b32_e64 v21, v23, v17, s[6:7]
	v_cndmask_b32_e64 v16, v16, v24, s[8:9]
	v_cndmask_b32_e64 v22, v24, v21, s[8:9]
	v_sub_u32_e32 v23, 32, v3
	v_alignbit_b32 v24, v16, v22, v23
	v_cmp_eq_u32_e64 s[10:11], 0, v3
	v_cndmask_b32_e64 v3, v24, v16, s[10:11]
	v_cndmask_b32_e32 v16, v20, v18, vcc
	v_cndmask_b32_e64 v17, v17, v16, s[6:7]
	v_cndmask_b32_e64 v18, v21, v17, s[8:9]
	v_alignbit_b32 v20, v22, v18, v23
	v_cndmask_b32_e32 v15, v19, v15, vcc
	v_cndmask_b32_e64 v20, v20, v22, s[10:11]
	v_bfe_u32 v24, v3, 29, 1
	v_cndmask_b32_e64 v15, v16, v15, s[6:7]
	v_alignbit_b32 v21, v3, v20, 30
	v_sub_u32_e32 v25, 0, v24
	v_cndmask_b32_e64 v15, v17, v15, s[8:9]
	v_xor_b32_e32 v21, v21, v25
	v_alignbit_b32 v16, v18, v15, v23
	v_cndmask_b32_e64 v16, v16, v18, s[10:11]
	v_ffbh_u32_e32 v18, v21
	v_alignbit_b32 v17, v20, v16, 30
	v_min_u32_e32 v18, 32, v18
	v_alignbit_b32 v15, v16, v15, 30
	v_xor_b32_e32 v17, v17, v25
	v_sub_u32_e32 v19, 31, v18
	v_xor_b32_e32 v15, v15, v25
	v_alignbit_b32 v20, v21, v17, v19
	v_alignbit_b32 v15, v17, v15, v19
	;; [unrolled: 1-line block ×3, first 2 shown]
	v_ffbh_u32_e32 v17, v16
	v_min_u32_e32 v17, 32, v17
	v_lshrrev_b32_e32 v22, 29, v3
	v_not_b32_e32 v19, v17
	v_alignbit_b32 v15, v16, v15, v19
	v_lshlrev_b32_e32 v16, 31, v22
	v_or_b32_e32 v19, 0x33000000, v16
	v_add_lshl_u32 v17, v17, v18, 23
	v_lshrrev_b32_e32 v15, 9, v15
	v_sub_u32_e32 v17, v19, v17
	v_or_b32_e32 v16, 0.5, v16
	v_lshlrev_b32_e32 v18, 23, v18
	v_or_b32_e32 v15, v17, v15
	v_lshrrev_b32_e32 v17, 9, v20
	v_sub_u32_e32 v16, v16, v18
	v_or_b32_e32 v16, v17, v16
	s_mov_b32 s6, 0x3fc90fda
	v_mul_f32_e32 v17, 0x3fc90fda, v16
	v_fma_f32 v18, v16, s6, -v17
	v_fmac_f32_e32 v18, 0x33a22168, v16
	v_fmac_f32_e32 v18, 0x3fc90fda, v15
	v_lshrrev_b32_e32 v3, 30, v3
	v_add_f32_e32 v15, v17, v18
	v_add_u32_e32 v3, v24, v3
.LBB26_19:
	s_andn2_saveexec_b64 s[6:7], s[14:15]
	s_cbranch_execz .LBB26_21
; %bb.20:
	s_mov_b32 s8, 0x3f22f983
	v_mul_f32_e64 v3, |v10|, s8
	v_rndne_f32_e32 v16, v3
	s_mov_b32 s8, 0xbfc90fda
	v_cvt_i32_f32_e32 v3, v16
	v_fma_f32 v15, v16, s8, |v10|
	v_fmac_f32_e32 v15, 0xb3a22168, v16
	v_fmac_f32_e32 v15, 0xa7c234c4, v16
.LBB26_21:
	s_or_b64 exec, exec, s[6:7]
	v_mul_f32_e32 v16, v15, v15
	v_mov_b32_e32 v17, 0x3c0881c4
	v_fmac_f32_e32 v17, 0xb94c1982, v16
	v_mov_b32_e32 v18, 0xbe2aaa9d
	v_fmac_f32_e32 v18, v16, v17
	v_mul_f32_e32 v17, v16, v18
	v_fmac_f32_e32 v15, v15, v17
	v_mov_b32_e32 v17, 0xbab64f3b
	v_fmac_f32_e32 v17, 0x37d75334, v16
	v_mov_b32_e32 v18, 0x3d2aabf7
	;; [unrolled: 2-line block ×3, first 2 shown]
	v_fmac_f32_e32 v17, v16, v18
	v_fma_f32 v16, v16, v17, 1.0
	v_and_b32_e32 v17, 1, v3
	v_lshlrev_b32_e32 v3, 30, v3
	v_cmp_eq_u32_e32 vcc, 0, v17
	v_and_b32_e32 v3, 0x80000000, v3
	v_cndmask_b32_e32 v15, v16, v15, vcc
	v_xor_b32_e32 v2, v2, v3
	v_xor_b32_e32 v2, v2, v15
	s_movk_i32 s6, 0x1f8
	v_xor_b32_e32 v2, v2, v10
	v_mov_b32_e32 v3, 0x7fc00000
	v_cmp_class_f32_e64 vcc, v10, s6
	v_cndmask_b32_e32 v2, v3, v2, vcc
	v_bfe_u32 v3, v2, 16, 1
	s_movk_i32 s6, 0x7fff
	v_add3_u32 v3, v2, v3, s6
	v_cmp_o_f32_e32 vcc, v2, v2
	v_mov_b32_e32 v2, 0x7fc0
	v_cndmask_b32_sdwa v2, v2, v3, vcc dst_sel:DWORD dst_unused:UNUSED_PAD src0_sel:DWORD src1_sel:WORD_1
.LBB26_22:
	s_or_b64 exec, exec, s[12:13]
	v_add_u32_e32 v3, 0x100, v7
	v_cmp_lt_i32_e32 vcc, v3, v4
                                        ; implicit-def: $vgpr10
	s_and_saveexec_b64 s[12:13], vcc
	s_cbranch_execz .LBB26_28
; %bb.23:
	s_brev_b32 s6, 18
	v_and_b32_e32 v10, 0x7fffffff, v12
	v_cmp_nlt_f32_e64 s[6:7], |v12|, s6
                                        ; implicit-def: $vgpr15
                                        ; implicit-def: $vgpr16
	s_and_saveexec_b64 s[8:9], s[6:7]
	s_xor_b64 s[14:15], exec, s[8:9]
	s_cbranch_execz .LBB26_25
; %bb.24:
	v_and_b32_e32 v15, 0x7fffff, v10
	v_or_b32_e32 v24, 0x800000, v15
	s_mov_b32 s6, 0xfe5163ab
	v_mad_u64_u32 v[15:16], s[6:7], v24, s6, 0
	v_mov_b32_e32 v17, 0
	s_mov_b32 s6, 0x3c439041
	v_mad_u64_u32 v[18:19], s[6:7], v24, s6, v[16:17]
	s_mov_b32 s6, 0xdb629599
	v_not_b32_e32 v23, 63
	v_mov_b32_e32 v16, v19
	v_mad_u64_u32 v[19:20], s[6:7], v24, s6, v[16:17]
	s_mov_b32 s6, 0xf534ddc0
	v_not_b32_e32 v26, 31
	v_mov_b32_e32 v16, v20
	v_mad_u64_u32 v[20:21], s[6:7], v24, s6, v[16:17]
	v_lshrrev_b32_e32 v16, 23, v10
	v_add_u32_e32 v25, 0xffffff88, v16
	v_mov_b32_e32 v16, v21
	s_mov_b32 s6, 0xfc2757d1
	v_mad_u64_u32 v[21:22], s[6:7], v24, s6, v[16:17]
	v_cmp_lt_u32_e32 vcc, 63, v25
	v_cndmask_b32_e32 v16, 0, v23, vcc
	v_add_u32_e32 v25, v16, v25
	v_mov_b32_e32 v16, v22
	s_mov_b32 s6, 0x4e441529
	v_mad_u64_u32 v[22:23], s[6:7], v24, s6, v[16:17]
	v_cmp_lt_u32_e64 s[6:7], 31, v25
	v_cndmask_b32_e64 v16, 0, v26, s[6:7]
	v_add_u32_e32 v25, v16, v25
	v_mov_b32_e32 v16, v23
	s_mov_b32 s8, 0xa2f9836e
	v_mad_u64_u32 v[16:17], s[8:9], v24, s8, v[16:17]
	v_cmp_lt_u32_e64 s[8:9], 31, v25
	v_cndmask_b32_e64 v23, 0, v26, s[8:9]
	v_cndmask_b32_e32 v24, v22, v20, vcc
	v_cndmask_b32_e32 v16, v16, v21, vcc
	;; [unrolled: 1-line block ×3, first 2 shown]
	v_add_u32_e32 v23, v23, v25
	v_cndmask_b32_e64 v25, v16, v24, s[6:7]
	v_cndmask_b32_e64 v16, v17, v16, s[6:7]
	v_cndmask_b32_e32 v17, v21, v19, vcc
	v_cndmask_b32_e64 v21, v24, v17, s[6:7]
	v_cndmask_b32_e64 v16, v16, v25, s[8:9]
	;; [unrolled: 1-line block ×3, first 2 shown]
	v_sub_u32_e32 v24, 32, v23
	v_alignbit_b32 v25, v16, v22, v24
	v_cmp_eq_u32_e64 s[10:11], 0, v23
	v_cndmask_b32_e64 v23, v25, v16, s[10:11]
	v_cndmask_b32_e32 v16, v20, v18, vcc
	v_cndmask_b32_e64 v17, v17, v16, s[6:7]
	v_cndmask_b32_e64 v18, v21, v17, s[8:9]
	v_alignbit_b32 v20, v22, v18, v24
	v_cndmask_b32_e32 v15, v19, v15, vcc
	v_cndmask_b32_e64 v20, v20, v22, s[10:11]
	v_bfe_u32 v25, v23, 29, 1
	v_cndmask_b32_e64 v15, v16, v15, s[6:7]
	v_alignbit_b32 v21, v23, v20, 30
	v_sub_u32_e32 v26, 0, v25
	v_cndmask_b32_e64 v15, v17, v15, s[8:9]
	v_xor_b32_e32 v21, v21, v26
	v_alignbit_b32 v16, v18, v15, v24
	v_cndmask_b32_e64 v16, v16, v18, s[10:11]
	v_ffbh_u32_e32 v18, v21
	v_alignbit_b32 v17, v20, v16, 30
	v_min_u32_e32 v18, 32, v18
	v_alignbit_b32 v15, v16, v15, 30
	v_xor_b32_e32 v17, v17, v26
	v_sub_u32_e32 v19, 31, v18
	v_xor_b32_e32 v15, v15, v26
	v_alignbit_b32 v20, v21, v17, v19
	v_alignbit_b32 v15, v17, v15, v19
	;; [unrolled: 1-line block ×3, first 2 shown]
	v_ffbh_u32_e32 v17, v16
	v_min_u32_e32 v17, 32, v17
	v_lshrrev_b32_e32 v22, 29, v23
	v_not_b32_e32 v19, v17
	v_alignbit_b32 v15, v16, v15, v19
	v_lshlrev_b32_e32 v16, 31, v22
	v_or_b32_e32 v19, 0x33000000, v16
	v_add_lshl_u32 v17, v17, v18, 23
	v_lshrrev_b32_e32 v15, 9, v15
	v_sub_u32_e32 v17, v19, v17
	v_or_b32_e32 v16, 0.5, v16
	v_lshlrev_b32_e32 v18, 23, v18
	v_or_b32_e32 v15, v17, v15
	v_lshrrev_b32_e32 v17, 9, v20
	v_sub_u32_e32 v16, v16, v18
	v_or_b32_e32 v16, v17, v16
	s_mov_b32 s6, 0x3fc90fda
	v_mul_f32_e32 v17, 0x3fc90fda, v16
	v_fma_f32 v18, v16, s6, -v17
	v_fmac_f32_e32 v18, 0x33a22168, v16
	v_fmac_f32_e32 v18, 0x3fc90fda, v15
	v_lshrrev_b32_e32 v15, 30, v23
	v_add_f32_e32 v16, v17, v18
	v_add_u32_e32 v15, v25, v15
.LBB26_25:
	s_andn2_saveexec_b64 s[6:7], s[14:15]
	s_cbranch_execz .LBB26_27
; %bb.26:
	s_mov_b32 s8, 0x3f22f983
	v_mul_f32_e64 v15, |v12|, s8
	v_rndne_f32_e32 v17, v15
	s_mov_b32 s8, 0xbfc90fda
	v_cvt_i32_f32_e32 v15, v17
	v_fma_f32 v16, v17, s8, |v12|
	v_fmac_f32_e32 v16, 0xb3a22168, v17
	v_fmac_f32_e32 v16, 0xa7c234c4, v17
.LBB26_27:
	s_or_b64 exec, exec, s[6:7]
	v_mul_f32_e32 v17, v16, v16
	v_mov_b32_e32 v18, 0x3c0881c4
	v_fmac_f32_e32 v18, 0xb94c1982, v17
	v_mov_b32_e32 v19, 0xbe2aaa9d
	v_fmac_f32_e32 v19, v17, v18
	v_mul_f32_e32 v18, v17, v19
	v_fmac_f32_e32 v16, v16, v18
	v_mov_b32_e32 v18, 0xbab64f3b
	v_fmac_f32_e32 v18, 0x37d75334, v17
	v_mov_b32_e32 v19, 0x3d2aabf7
	;; [unrolled: 2-line block ×3, first 2 shown]
	v_fmac_f32_e32 v18, v17, v19
	v_fma_f32 v17, v17, v18, 1.0
	v_and_b32_e32 v18, 1, v15
	v_lshlrev_b32_e32 v15, 30, v15
	v_cmp_eq_u32_e32 vcc, 0, v18
	v_and_b32_e32 v15, 0x80000000, v15
	v_cndmask_b32_e32 v16, v17, v16, vcc
	v_xor_b32_e32 v10, v10, v15
	v_xor_b32_e32 v10, v10, v16
	s_movk_i32 s6, 0x1f8
	v_xor_b32_e32 v10, v10, v12
	v_mov_b32_e32 v15, 0x7fc00000
	v_cmp_class_f32_e64 vcc, v12, s6
	v_cndmask_b32_e32 v10, v15, v10, vcc
	v_bfe_u32 v12, v10, 16, 1
	s_movk_i32 s6, 0x7fff
	v_add3_u32 v12, v10, v12, s6
	v_cmp_o_f32_e32 vcc, v10, v10
	v_mov_b32_e32 v10, 0x7fc0
	v_cndmask_b32_sdwa v10, v10, v12, vcc dst_sel:DWORD dst_unused:UNUSED_PAD src0_sel:DWORD src1_sel:WORD_1
.LBB26_28:
	s_or_b64 exec, exec, s[12:13]
	v_add_u32_e32 v12, 0x200, v7
	v_cmp_lt_i32_e32 vcc, v12, v4
                                        ; implicit-def: $vgpr12
	s_and_saveexec_b64 s[12:13], vcc
	s_cbranch_execz .LBB26_34
; %bb.29:
	s_brev_b32 s6, 18
	v_and_b32_e32 v12, 0x7fffffff, v14
	v_cmp_nlt_f32_e64 s[6:7], |v14|, s6
                                        ; implicit-def: $vgpr15
                                        ; implicit-def: $vgpr16
	s_and_saveexec_b64 s[8:9], s[6:7]
	s_xor_b64 s[14:15], exec, s[8:9]
	s_cbranch_execz .LBB26_31
; %bb.30:
	v_and_b32_e32 v15, 0x7fffff, v12
	v_or_b32_e32 v24, 0x800000, v15
	s_mov_b32 s6, 0xfe5163ab
	v_mad_u64_u32 v[15:16], s[6:7], v24, s6, 0
	v_mov_b32_e32 v17, 0
	s_mov_b32 s6, 0x3c439041
	v_mad_u64_u32 v[18:19], s[6:7], v24, s6, v[16:17]
	s_mov_b32 s6, 0xdb629599
	v_not_b32_e32 v23, 63
	v_mov_b32_e32 v16, v19
	v_mad_u64_u32 v[19:20], s[6:7], v24, s6, v[16:17]
	s_mov_b32 s6, 0xf534ddc0
	v_not_b32_e32 v26, 31
	v_mov_b32_e32 v16, v20
	v_mad_u64_u32 v[20:21], s[6:7], v24, s6, v[16:17]
	v_lshrrev_b32_e32 v16, 23, v12
	v_add_u32_e32 v25, 0xffffff88, v16
	v_mov_b32_e32 v16, v21
	s_mov_b32 s6, 0xfc2757d1
	v_mad_u64_u32 v[21:22], s[6:7], v24, s6, v[16:17]
	v_cmp_lt_u32_e32 vcc, 63, v25
	v_cndmask_b32_e32 v16, 0, v23, vcc
	v_add_u32_e32 v25, v16, v25
	v_mov_b32_e32 v16, v22
	s_mov_b32 s6, 0x4e441529
	v_mad_u64_u32 v[22:23], s[6:7], v24, s6, v[16:17]
	v_cmp_lt_u32_e64 s[6:7], 31, v25
	v_cndmask_b32_e64 v16, 0, v26, s[6:7]
	v_add_u32_e32 v25, v16, v25
	v_mov_b32_e32 v16, v23
	s_mov_b32 s8, 0xa2f9836e
	v_mad_u64_u32 v[16:17], s[8:9], v24, s8, v[16:17]
	v_cmp_lt_u32_e64 s[8:9], 31, v25
	v_cndmask_b32_e64 v23, 0, v26, s[8:9]
	v_cndmask_b32_e32 v24, v22, v20, vcc
	v_cndmask_b32_e32 v16, v16, v21, vcc
	;; [unrolled: 1-line block ×3, first 2 shown]
	v_add_u32_e32 v23, v23, v25
	v_cndmask_b32_e64 v25, v16, v24, s[6:7]
	v_cndmask_b32_e64 v16, v17, v16, s[6:7]
	v_cndmask_b32_e32 v17, v21, v19, vcc
	v_cndmask_b32_e64 v21, v24, v17, s[6:7]
	v_cndmask_b32_e64 v16, v16, v25, s[8:9]
	;; [unrolled: 1-line block ×3, first 2 shown]
	v_sub_u32_e32 v24, 32, v23
	v_alignbit_b32 v25, v16, v22, v24
	v_cmp_eq_u32_e64 s[10:11], 0, v23
	v_cndmask_b32_e64 v23, v25, v16, s[10:11]
	v_cndmask_b32_e32 v16, v20, v18, vcc
	v_cndmask_b32_e64 v17, v17, v16, s[6:7]
	v_cndmask_b32_e64 v18, v21, v17, s[8:9]
	v_alignbit_b32 v20, v22, v18, v24
	v_cndmask_b32_e32 v15, v19, v15, vcc
	v_cndmask_b32_e64 v20, v20, v22, s[10:11]
	v_bfe_u32 v25, v23, 29, 1
	v_cndmask_b32_e64 v15, v16, v15, s[6:7]
	v_alignbit_b32 v21, v23, v20, 30
	v_sub_u32_e32 v26, 0, v25
	v_cndmask_b32_e64 v15, v17, v15, s[8:9]
	v_xor_b32_e32 v21, v21, v26
	v_alignbit_b32 v16, v18, v15, v24
	v_cndmask_b32_e64 v16, v16, v18, s[10:11]
	v_ffbh_u32_e32 v18, v21
	v_alignbit_b32 v17, v20, v16, 30
	v_min_u32_e32 v18, 32, v18
	v_alignbit_b32 v15, v16, v15, 30
	v_xor_b32_e32 v17, v17, v26
	v_sub_u32_e32 v19, 31, v18
	v_xor_b32_e32 v15, v15, v26
	v_alignbit_b32 v20, v21, v17, v19
	v_alignbit_b32 v15, v17, v15, v19
	;; [unrolled: 1-line block ×3, first 2 shown]
	v_ffbh_u32_e32 v17, v16
	v_min_u32_e32 v17, 32, v17
	v_lshrrev_b32_e32 v22, 29, v23
	v_not_b32_e32 v19, v17
	v_alignbit_b32 v15, v16, v15, v19
	v_lshlrev_b32_e32 v16, 31, v22
	v_or_b32_e32 v19, 0x33000000, v16
	v_add_lshl_u32 v17, v17, v18, 23
	v_lshrrev_b32_e32 v15, 9, v15
	v_sub_u32_e32 v17, v19, v17
	v_or_b32_e32 v16, 0.5, v16
	v_lshlrev_b32_e32 v18, 23, v18
	v_or_b32_e32 v15, v17, v15
	v_lshrrev_b32_e32 v17, 9, v20
	v_sub_u32_e32 v16, v16, v18
	v_or_b32_e32 v16, v17, v16
	s_mov_b32 s6, 0x3fc90fda
	v_mul_f32_e32 v17, 0x3fc90fda, v16
	v_fma_f32 v18, v16, s6, -v17
	v_fmac_f32_e32 v18, 0x33a22168, v16
	v_fmac_f32_e32 v18, 0x3fc90fda, v15
	v_lshrrev_b32_e32 v15, 30, v23
	v_add_f32_e32 v16, v17, v18
	v_add_u32_e32 v15, v25, v15
.LBB26_31:
	s_andn2_saveexec_b64 s[6:7], s[14:15]
	s_cbranch_execz .LBB26_33
; %bb.32:
	s_mov_b32 s8, 0x3f22f983
	v_mul_f32_e64 v15, |v14|, s8
	v_rndne_f32_e32 v17, v15
	s_mov_b32 s8, 0xbfc90fda
	v_cvt_i32_f32_e32 v15, v17
	v_fma_f32 v16, v17, s8, |v14|
	v_fmac_f32_e32 v16, 0xb3a22168, v17
	v_fmac_f32_e32 v16, 0xa7c234c4, v17
.LBB26_33:
	s_or_b64 exec, exec, s[6:7]
	v_mul_f32_e32 v17, v16, v16
	v_mov_b32_e32 v18, 0x3c0881c4
	v_fmac_f32_e32 v18, 0xb94c1982, v17
	v_mov_b32_e32 v19, 0xbe2aaa9d
	v_fmac_f32_e32 v19, v17, v18
	v_mul_f32_e32 v18, v17, v19
	v_fmac_f32_e32 v16, v16, v18
	v_mov_b32_e32 v18, 0xbab64f3b
	v_fmac_f32_e32 v18, 0x37d75334, v17
	v_mov_b32_e32 v19, 0x3d2aabf7
	;; [unrolled: 2-line block ×3, first 2 shown]
	v_fmac_f32_e32 v18, v17, v19
	v_fma_f32 v17, v17, v18, 1.0
	v_and_b32_e32 v18, 1, v15
	v_lshlrev_b32_e32 v15, 30, v15
	v_cmp_eq_u32_e32 vcc, 0, v18
	v_and_b32_e32 v15, 0x80000000, v15
	v_cndmask_b32_e32 v16, v17, v16, vcc
	v_xor_b32_e32 v12, v12, v15
	v_xor_b32_e32 v12, v12, v16
	s_movk_i32 s6, 0x1f8
	v_xor_b32_e32 v12, v12, v14
	v_mov_b32_e32 v15, 0x7fc00000
	v_cmp_class_f32_e64 vcc, v14, s6
	v_cndmask_b32_e32 v12, v15, v12, vcc
	v_bfe_u32 v14, v12, 16, 1
	s_movk_i32 s6, 0x7fff
	v_add3_u32 v14, v12, v14, s6
	v_cmp_o_f32_e32 vcc, v12, v12
	v_mov_b32_e32 v12, 0x7fc0
	v_cndmask_b32_sdwa v12, v12, v14, vcc dst_sel:DWORD dst_unused:UNUSED_PAD src0_sel:DWORD src1_sel:WORD_1
.LBB26_34:
	s_or_b64 exec, exec, s[12:13]
	v_add_u32_e32 v14, 0x300, v7
	v_cmp_lt_i32_e32 vcc, v14, v4
                                        ; implicit-def: $vgpr14
	s_and_saveexec_b64 s[12:13], vcc
	s_cbranch_execz .LBB26_40
; %bb.35:
	s_brev_b32 s6, 18
	v_and_b32_e32 v14, 0x7fffffff, v13
	v_cmp_nlt_f32_e64 s[6:7], |v13|, s6
                                        ; implicit-def: $vgpr15
                                        ; implicit-def: $vgpr16
	s_and_saveexec_b64 s[8:9], s[6:7]
	s_xor_b64 s[14:15], exec, s[8:9]
	s_cbranch_execz .LBB26_37
; %bb.36:
	v_and_b32_e32 v15, 0x7fffff, v14
	v_or_b32_e32 v24, 0x800000, v15
	s_mov_b32 s6, 0xfe5163ab
	v_mad_u64_u32 v[15:16], s[6:7], v24, s6, 0
	v_mov_b32_e32 v17, 0
	s_mov_b32 s6, 0x3c439041
	v_mad_u64_u32 v[18:19], s[6:7], v24, s6, v[16:17]
	s_mov_b32 s6, 0xdb629599
	v_not_b32_e32 v23, 63
	v_mov_b32_e32 v16, v19
	v_mad_u64_u32 v[19:20], s[6:7], v24, s6, v[16:17]
	s_mov_b32 s6, 0xf534ddc0
	v_not_b32_e32 v26, 31
	v_mov_b32_e32 v16, v20
	v_mad_u64_u32 v[20:21], s[6:7], v24, s6, v[16:17]
	v_lshrrev_b32_e32 v16, 23, v14
	v_add_u32_e32 v25, 0xffffff88, v16
	v_mov_b32_e32 v16, v21
	s_mov_b32 s6, 0xfc2757d1
	v_mad_u64_u32 v[21:22], s[6:7], v24, s6, v[16:17]
	v_cmp_lt_u32_e32 vcc, 63, v25
	v_cndmask_b32_e32 v16, 0, v23, vcc
	v_add_u32_e32 v25, v16, v25
	v_mov_b32_e32 v16, v22
	s_mov_b32 s6, 0x4e441529
	v_mad_u64_u32 v[22:23], s[6:7], v24, s6, v[16:17]
	v_cmp_lt_u32_e64 s[6:7], 31, v25
	v_cndmask_b32_e64 v16, 0, v26, s[6:7]
	v_add_u32_e32 v25, v16, v25
	v_mov_b32_e32 v16, v23
	s_mov_b32 s8, 0xa2f9836e
	v_mad_u64_u32 v[16:17], s[8:9], v24, s8, v[16:17]
	v_cmp_lt_u32_e64 s[8:9], 31, v25
	v_cndmask_b32_e64 v23, 0, v26, s[8:9]
	v_cndmask_b32_e32 v24, v22, v20, vcc
	v_cndmask_b32_e32 v16, v16, v21, vcc
	;; [unrolled: 1-line block ×3, first 2 shown]
	v_add_u32_e32 v23, v23, v25
	v_cndmask_b32_e64 v25, v16, v24, s[6:7]
	v_cndmask_b32_e64 v16, v17, v16, s[6:7]
	v_cndmask_b32_e32 v17, v21, v19, vcc
	v_cndmask_b32_e64 v21, v24, v17, s[6:7]
	v_cndmask_b32_e64 v16, v16, v25, s[8:9]
	;; [unrolled: 1-line block ×3, first 2 shown]
	v_sub_u32_e32 v24, 32, v23
	v_alignbit_b32 v25, v16, v22, v24
	v_cmp_eq_u32_e64 s[10:11], 0, v23
	v_cndmask_b32_e64 v23, v25, v16, s[10:11]
	v_cndmask_b32_e32 v16, v20, v18, vcc
	v_cndmask_b32_e64 v17, v17, v16, s[6:7]
	v_cndmask_b32_e64 v18, v21, v17, s[8:9]
	v_alignbit_b32 v20, v22, v18, v24
	v_cndmask_b32_e32 v15, v19, v15, vcc
	v_cndmask_b32_e64 v20, v20, v22, s[10:11]
	v_bfe_u32 v25, v23, 29, 1
	v_cndmask_b32_e64 v15, v16, v15, s[6:7]
	v_alignbit_b32 v21, v23, v20, 30
	v_sub_u32_e32 v26, 0, v25
	v_cndmask_b32_e64 v15, v17, v15, s[8:9]
	v_xor_b32_e32 v21, v21, v26
	v_alignbit_b32 v16, v18, v15, v24
	v_cndmask_b32_e64 v16, v16, v18, s[10:11]
	v_ffbh_u32_e32 v18, v21
	v_alignbit_b32 v17, v20, v16, 30
	v_min_u32_e32 v18, 32, v18
	v_alignbit_b32 v15, v16, v15, 30
	v_xor_b32_e32 v17, v17, v26
	v_sub_u32_e32 v19, 31, v18
	v_xor_b32_e32 v15, v15, v26
	v_alignbit_b32 v20, v21, v17, v19
	v_alignbit_b32 v15, v17, v15, v19
	;; [unrolled: 1-line block ×3, first 2 shown]
	v_ffbh_u32_e32 v17, v16
	v_min_u32_e32 v17, 32, v17
	v_lshrrev_b32_e32 v22, 29, v23
	v_not_b32_e32 v19, v17
	v_alignbit_b32 v15, v16, v15, v19
	v_lshlrev_b32_e32 v16, 31, v22
	v_or_b32_e32 v19, 0x33000000, v16
	v_add_lshl_u32 v17, v17, v18, 23
	v_lshrrev_b32_e32 v15, 9, v15
	v_sub_u32_e32 v17, v19, v17
	v_or_b32_e32 v16, 0.5, v16
	v_lshlrev_b32_e32 v18, 23, v18
	v_or_b32_e32 v15, v17, v15
	v_lshrrev_b32_e32 v17, 9, v20
	v_sub_u32_e32 v16, v16, v18
	v_or_b32_e32 v16, v17, v16
	s_mov_b32 s6, 0x3fc90fda
	v_mul_f32_e32 v17, 0x3fc90fda, v16
	v_fma_f32 v18, v16, s6, -v17
	v_fmac_f32_e32 v18, 0x33a22168, v16
	v_fmac_f32_e32 v18, 0x3fc90fda, v15
	v_lshrrev_b32_e32 v15, 30, v23
	v_add_f32_e32 v16, v17, v18
	v_add_u32_e32 v15, v25, v15
.LBB26_37:
	s_andn2_saveexec_b64 s[6:7], s[14:15]
	s_cbranch_execz .LBB26_39
; %bb.38:
	s_mov_b32 s8, 0x3f22f983
	v_mul_f32_e64 v15, |v13|, s8
	v_rndne_f32_e32 v17, v15
	s_mov_b32 s8, 0xbfc90fda
	v_cvt_i32_f32_e32 v15, v17
	v_fma_f32 v16, v17, s8, |v13|
	v_fmac_f32_e32 v16, 0xb3a22168, v17
	v_fmac_f32_e32 v16, 0xa7c234c4, v17
.LBB26_39:
	s_or_b64 exec, exec, s[6:7]
	v_mul_f32_e32 v17, v16, v16
	v_mov_b32_e32 v18, 0x3c0881c4
	v_fmac_f32_e32 v18, 0xb94c1982, v17
	v_mov_b32_e32 v19, 0xbe2aaa9d
	v_fmac_f32_e32 v19, v17, v18
	v_mul_f32_e32 v18, v17, v19
	v_fmac_f32_e32 v16, v16, v18
	v_mov_b32_e32 v18, 0xbab64f3b
	v_fmac_f32_e32 v18, 0x37d75334, v17
	v_mov_b32_e32 v19, 0x3d2aabf7
	v_fmac_f32_e32 v19, v17, v18
	v_mov_b32_e32 v18, 0xbf000004
	v_fmac_f32_e32 v18, v17, v19
	v_fma_f32 v17, v17, v18, 1.0
	v_and_b32_e32 v18, 1, v15
	v_lshlrev_b32_e32 v15, 30, v15
	v_cmp_eq_u32_e32 vcc, 0, v18
	v_and_b32_e32 v15, 0x80000000, v15
	v_cndmask_b32_e32 v16, v17, v16, vcc
	v_xor_b32_e32 v14, v14, v15
	v_xor_b32_e32 v14, v14, v16
	s_movk_i32 s6, 0x1f8
	v_xor_b32_e32 v14, v14, v13
	v_mov_b32_e32 v15, 0x7fc00000
	v_cmp_class_f32_e64 vcc, v13, s6
	v_cndmask_b32_e32 v13, v15, v14, vcc
	v_bfe_u32 v14, v13, 16, 1
	s_movk_i32 s6, 0x7fff
	v_add3_u32 v14, v13, v14, s6
	v_cmp_o_f32_e32 vcc, v13, v13
	v_mov_b32_e32 v13, 0x7fc0
	v_cndmask_b32_sdwa v14, v13, v14, vcc dst_sel:DWORD dst_unused:UNUSED_PAD src0_sel:DWORD src1_sel:WORD_1
.LBB26_40:
	s_or_b64 exec, exec, s[12:13]
	v_or_b32_e32 v13, 0x400, v7
	v_cmp_lt_i32_e32 vcc, v13, v4
                                        ; implicit-def: $vgpr13
	s_and_saveexec_b64 s[12:13], vcc
	s_cbranch_execz .LBB26_46
; %bb.41:
	s_brev_b32 s6, 18
	v_and_b32_e32 v13, 0x7fffffff, v11
	v_cmp_nlt_f32_e64 s[6:7], |v11|, s6
                                        ; implicit-def: $vgpr15
                                        ; implicit-def: $vgpr16
	s_and_saveexec_b64 s[8:9], s[6:7]
	s_xor_b64 s[14:15], exec, s[8:9]
	s_cbranch_execz .LBB26_43
; %bb.42:
	v_and_b32_e32 v15, 0x7fffff, v13
	v_or_b32_e32 v24, 0x800000, v15
	s_mov_b32 s6, 0xfe5163ab
	v_mad_u64_u32 v[15:16], s[6:7], v24, s6, 0
	v_mov_b32_e32 v17, 0
	s_mov_b32 s6, 0x3c439041
	v_mad_u64_u32 v[18:19], s[6:7], v24, s6, v[16:17]
	s_mov_b32 s6, 0xdb629599
	v_not_b32_e32 v23, 63
	v_mov_b32_e32 v16, v19
	v_mad_u64_u32 v[19:20], s[6:7], v24, s6, v[16:17]
	s_mov_b32 s6, 0xf534ddc0
	v_not_b32_e32 v26, 31
	v_mov_b32_e32 v16, v20
	v_mad_u64_u32 v[20:21], s[6:7], v24, s6, v[16:17]
	v_lshrrev_b32_e32 v16, 23, v13
	v_add_u32_e32 v25, 0xffffff88, v16
	v_mov_b32_e32 v16, v21
	s_mov_b32 s6, 0xfc2757d1
	v_mad_u64_u32 v[21:22], s[6:7], v24, s6, v[16:17]
	v_cmp_lt_u32_e32 vcc, 63, v25
	v_cndmask_b32_e32 v16, 0, v23, vcc
	v_add_u32_e32 v25, v16, v25
	v_mov_b32_e32 v16, v22
	s_mov_b32 s6, 0x4e441529
	v_mad_u64_u32 v[22:23], s[6:7], v24, s6, v[16:17]
	v_cmp_lt_u32_e64 s[6:7], 31, v25
	v_cndmask_b32_e64 v16, 0, v26, s[6:7]
	v_add_u32_e32 v25, v16, v25
	v_mov_b32_e32 v16, v23
	s_mov_b32 s8, 0xa2f9836e
	v_mad_u64_u32 v[16:17], s[8:9], v24, s8, v[16:17]
	v_cmp_lt_u32_e64 s[8:9], 31, v25
	v_cndmask_b32_e64 v23, 0, v26, s[8:9]
	v_cndmask_b32_e32 v24, v22, v20, vcc
	v_cndmask_b32_e32 v16, v16, v21, vcc
	v_cndmask_b32_e32 v17, v17, v22, vcc
	v_add_u32_e32 v23, v23, v25
	v_cndmask_b32_e64 v25, v16, v24, s[6:7]
	v_cndmask_b32_e64 v16, v17, v16, s[6:7]
	v_cndmask_b32_e32 v17, v21, v19, vcc
	v_cndmask_b32_e64 v21, v24, v17, s[6:7]
	v_cndmask_b32_e64 v16, v16, v25, s[8:9]
	;; [unrolled: 1-line block ×3, first 2 shown]
	v_sub_u32_e32 v24, 32, v23
	v_alignbit_b32 v25, v16, v22, v24
	v_cmp_eq_u32_e64 s[10:11], 0, v23
	v_cndmask_b32_e64 v23, v25, v16, s[10:11]
	v_cndmask_b32_e32 v16, v20, v18, vcc
	v_cndmask_b32_e64 v17, v17, v16, s[6:7]
	v_cndmask_b32_e64 v18, v21, v17, s[8:9]
	v_alignbit_b32 v20, v22, v18, v24
	v_cndmask_b32_e32 v15, v19, v15, vcc
	v_cndmask_b32_e64 v20, v20, v22, s[10:11]
	v_bfe_u32 v25, v23, 29, 1
	v_cndmask_b32_e64 v15, v16, v15, s[6:7]
	v_alignbit_b32 v21, v23, v20, 30
	v_sub_u32_e32 v26, 0, v25
	v_cndmask_b32_e64 v15, v17, v15, s[8:9]
	v_xor_b32_e32 v21, v21, v26
	v_alignbit_b32 v16, v18, v15, v24
	v_cndmask_b32_e64 v16, v16, v18, s[10:11]
	v_ffbh_u32_e32 v18, v21
	v_alignbit_b32 v17, v20, v16, 30
	v_min_u32_e32 v18, 32, v18
	v_alignbit_b32 v15, v16, v15, 30
	v_xor_b32_e32 v17, v17, v26
	v_sub_u32_e32 v19, 31, v18
	v_xor_b32_e32 v15, v15, v26
	v_alignbit_b32 v20, v21, v17, v19
	v_alignbit_b32 v15, v17, v15, v19
	;; [unrolled: 1-line block ×3, first 2 shown]
	v_ffbh_u32_e32 v17, v16
	v_min_u32_e32 v17, 32, v17
	v_lshrrev_b32_e32 v22, 29, v23
	v_not_b32_e32 v19, v17
	v_alignbit_b32 v15, v16, v15, v19
	v_lshlrev_b32_e32 v16, 31, v22
	v_or_b32_e32 v19, 0x33000000, v16
	v_add_lshl_u32 v17, v17, v18, 23
	v_lshrrev_b32_e32 v15, 9, v15
	v_sub_u32_e32 v17, v19, v17
	v_or_b32_e32 v16, 0.5, v16
	v_lshlrev_b32_e32 v18, 23, v18
	v_or_b32_e32 v15, v17, v15
	v_lshrrev_b32_e32 v17, 9, v20
	v_sub_u32_e32 v16, v16, v18
	v_or_b32_e32 v16, v17, v16
	s_mov_b32 s6, 0x3fc90fda
	v_mul_f32_e32 v17, 0x3fc90fda, v16
	v_fma_f32 v18, v16, s6, -v17
	v_fmac_f32_e32 v18, 0x33a22168, v16
	v_fmac_f32_e32 v18, 0x3fc90fda, v15
	v_lshrrev_b32_e32 v15, 30, v23
	v_add_f32_e32 v16, v17, v18
	v_add_u32_e32 v15, v25, v15
.LBB26_43:
	s_andn2_saveexec_b64 s[6:7], s[14:15]
	s_cbranch_execz .LBB26_45
; %bb.44:
	s_mov_b32 s8, 0x3f22f983
	v_mul_f32_e64 v15, |v11|, s8
	v_rndne_f32_e32 v17, v15
	s_mov_b32 s8, 0xbfc90fda
	v_cvt_i32_f32_e32 v15, v17
	v_fma_f32 v16, v17, s8, |v11|
	v_fmac_f32_e32 v16, 0xb3a22168, v17
	v_fmac_f32_e32 v16, 0xa7c234c4, v17
.LBB26_45:
	s_or_b64 exec, exec, s[6:7]
	v_mul_f32_e32 v17, v16, v16
	v_mov_b32_e32 v18, 0x3c0881c4
	v_fmac_f32_e32 v18, 0xb94c1982, v17
	v_mov_b32_e32 v19, 0xbe2aaa9d
	v_fmac_f32_e32 v19, v17, v18
	v_mul_f32_e32 v18, v17, v19
	v_fmac_f32_e32 v16, v16, v18
	v_mov_b32_e32 v18, 0xbab64f3b
	v_fmac_f32_e32 v18, 0x37d75334, v17
	v_mov_b32_e32 v19, 0x3d2aabf7
	;; [unrolled: 2-line block ×3, first 2 shown]
	v_fmac_f32_e32 v18, v17, v19
	v_fma_f32 v17, v17, v18, 1.0
	v_and_b32_e32 v18, 1, v15
	v_lshlrev_b32_e32 v15, 30, v15
	v_cmp_eq_u32_e32 vcc, 0, v18
	v_and_b32_e32 v15, 0x80000000, v15
	v_cndmask_b32_e32 v16, v17, v16, vcc
	v_xor_b32_e32 v13, v13, v15
	v_xor_b32_e32 v13, v13, v16
	s_movk_i32 s6, 0x1f8
	v_xor_b32_e32 v13, v13, v11
	v_mov_b32_e32 v15, 0x7fc00000
	v_cmp_class_f32_e64 vcc, v11, s6
	v_cndmask_b32_e32 v11, v15, v13, vcc
	v_bfe_u32 v13, v11, 16, 1
	s_movk_i32 s6, 0x7fff
	v_add3_u32 v13, v11, v13, s6
	v_cmp_o_f32_e32 vcc, v11, v11
	v_mov_b32_e32 v11, 0x7fc0
	v_cndmask_b32_sdwa v13, v11, v13, vcc dst_sel:DWORD dst_unused:UNUSED_PAD src0_sel:DWORD src1_sel:WORD_1
.LBB26_46:
	s_or_b64 exec, exec, s[12:13]
	v_add_u32_e32 v11, 0x500, v7
	v_cmp_lt_i32_e32 vcc, v11, v4
                                        ; implicit-def: $vgpr11
	s_and_saveexec_b64 s[12:13], vcc
	s_cbranch_execz .LBB26_52
; %bb.47:
	s_brev_b32 s6, 18
	v_and_b32_e32 v11, 0x7fffffff, v9
	v_cmp_nlt_f32_e64 s[6:7], |v9|, s6
                                        ; implicit-def: $vgpr15
                                        ; implicit-def: $vgpr16
	s_and_saveexec_b64 s[8:9], s[6:7]
	s_xor_b64 s[14:15], exec, s[8:9]
	s_cbranch_execz .LBB26_49
; %bb.48:
	v_and_b32_e32 v15, 0x7fffff, v11
	v_or_b32_e32 v24, 0x800000, v15
	s_mov_b32 s6, 0xfe5163ab
	v_mad_u64_u32 v[15:16], s[6:7], v24, s6, 0
	v_mov_b32_e32 v17, 0
	s_mov_b32 s6, 0x3c439041
	v_mad_u64_u32 v[18:19], s[6:7], v24, s6, v[16:17]
	s_mov_b32 s6, 0xdb629599
	v_not_b32_e32 v23, 63
	v_mov_b32_e32 v16, v19
	v_mad_u64_u32 v[19:20], s[6:7], v24, s6, v[16:17]
	s_mov_b32 s6, 0xf534ddc0
	v_not_b32_e32 v26, 31
	v_mov_b32_e32 v16, v20
	v_mad_u64_u32 v[20:21], s[6:7], v24, s6, v[16:17]
	v_lshrrev_b32_e32 v16, 23, v11
	v_add_u32_e32 v25, 0xffffff88, v16
	v_mov_b32_e32 v16, v21
	s_mov_b32 s6, 0xfc2757d1
	v_mad_u64_u32 v[21:22], s[6:7], v24, s6, v[16:17]
	v_cmp_lt_u32_e32 vcc, 63, v25
	v_cndmask_b32_e32 v16, 0, v23, vcc
	v_add_u32_e32 v25, v16, v25
	v_mov_b32_e32 v16, v22
	s_mov_b32 s6, 0x4e441529
	v_mad_u64_u32 v[22:23], s[6:7], v24, s6, v[16:17]
	v_cmp_lt_u32_e64 s[6:7], 31, v25
	v_cndmask_b32_e64 v16, 0, v26, s[6:7]
	v_add_u32_e32 v25, v16, v25
	v_mov_b32_e32 v16, v23
	s_mov_b32 s8, 0xa2f9836e
	v_mad_u64_u32 v[16:17], s[8:9], v24, s8, v[16:17]
	v_cmp_lt_u32_e64 s[8:9], 31, v25
	v_cndmask_b32_e64 v23, 0, v26, s[8:9]
	v_cndmask_b32_e32 v24, v22, v20, vcc
	v_cndmask_b32_e32 v16, v16, v21, vcc
	;; [unrolled: 1-line block ×3, first 2 shown]
	v_add_u32_e32 v23, v23, v25
	v_cndmask_b32_e64 v25, v16, v24, s[6:7]
	v_cndmask_b32_e64 v16, v17, v16, s[6:7]
	v_cndmask_b32_e32 v17, v21, v19, vcc
	v_cndmask_b32_e64 v21, v24, v17, s[6:7]
	v_cndmask_b32_e64 v16, v16, v25, s[8:9]
	;; [unrolled: 1-line block ×3, first 2 shown]
	v_sub_u32_e32 v24, 32, v23
	v_alignbit_b32 v25, v16, v22, v24
	v_cmp_eq_u32_e64 s[10:11], 0, v23
	v_cndmask_b32_e64 v23, v25, v16, s[10:11]
	v_cndmask_b32_e32 v16, v20, v18, vcc
	v_cndmask_b32_e64 v17, v17, v16, s[6:7]
	v_cndmask_b32_e64 v18, v21, v17, s[8:9]
	v_alignbit_b32 v20, v22, v18, v24
	v_cndmask_b32_e32 v15, v19, v15, vcc
	v_cndmask_b32_e64 v20, v20, v22, s[10:11]
	v_bfe_u32 v25, v23, 29, 1
	v_cndmask_b32_e64 v15, v16, v15, s[6:7]
	v_alignbit_b32 v21, v23, v20, 30
	v_sub_u32_e32 v26, 0, v25
	v_cndmask_b32_e64 v15, v17, v15, s[8:9]
	v_xor_b32_e32 v21, v21, v26
	v_alignbit_b32 v16, v18, v15, v24
	v_cndmask_b32_e64 v16, v16, v18, s[10:11]
	v_ffbh_u32_e32 v18, v21
	v_alignbit_b32 v17, v20, v16, 30
	v_min_u32_e32 v18, 32, v18
	v_alignbit_b32 v15, v16, v15, 30
	v_xor_b32_e32 v17, v17, v26
	v_sub_u32_e32 v19, 31, v18
	v_xor_b32_e32 v15, v15, v26
	v_alignbit_b32 v20, v21, v17, v19
	v_alignbit_b32 v15, v17, v15, v19
	v_alignbit_b32 v16, v20, v15, 9
	v_ffbh_u32_e32 v17, v16
	v_min_u32_e32 v17, 32, v17
	v_lshrrev_b32_e32 v22, 29, v23
	v_not_b32_e32 v19, v17
	v_alignbit_b32 v15, v16, v15, v19
	v_lshlrev_b32_e32 v16, 31, v22
	v_or_b32_e32 v19, 0x33000000, v16
	v_add_lshl_u32 v17, v17, v18, 23
	v_lshrrev_b32_e32 v15, 9, v15
	v_sub_u32_e32 v17, v19, v17
	v_or_b32_e32 v16, 0.5, v16
	v_lshlrev_b32_e32 v18, 23, v18
	v_or_b32_e32 v15, v17, v15
	v_lshrrev_b32_e32 v17, 9, v20
	v_sub_u32_e32 v16, v16, v18
	v_or_b32_e32 v16, v17, v16
	s_mov_b32 s6, 0x3fc90fda
	v_mul_f32_e32 v17, 0x3fc90fda, v16
	v_fma_f32 v18, v16, s6, -v17
	v_fmac_f32_e32 v18, 0x33a22168, v16
	v_fmac_f32_e32 v18, 0x3fc90fda, v15
	v_lshrrev_b32_e32 v15, 30, v23
	v_add_f32_e32 v16, v17, v18
	v_add_u32_e32 v15, v25, v15
.LBB26_49:
	s_andn2_saveexec_b64 s[6:7], s[14:15]
	s_cbranch_execz .LBB26_51
; %bb.50:
	s_mov_b32 s8, 0x3f22f983
	v_mul_f32_e64 v15, |v9|, s8
	v_rndne_f32_e32 v17, v15
	s_mov_b32 s8, 0xbfc90fda
	v_cvt_i32_f32_e32 v15, v17
	v_fma_f32 v16, v17, s8, |v9|
	v_fmac_f32_e32 v16, 0xb3a22168, v17
	v_fmac_f32_e32 v16, 0xa7c234c4, v17
.LBB26_51:
	s_or_b64 exec, exec, s[6:7]
	v_mul_f32_e32 v17, v16, v16
	v_mov_b32_e32 v18, 0x3c0881c4
	v_fmac_f32_e32 v18, 0xb94c1982, v17
	v_mov_b32_e32 v19, 0xbe2aaa9d
	v_fmac_f32_e32 v19, v17, v18
	v_mul_f32_e32 v18, v17, v19
	v_fmac_f32_e32 v16, v16, v18
	v_mov_b32_e32 v18, 0xbab64f3b
	v_fmac_f32_e32 v18, 0x37d75334, v17
	v_mov_b32_e32 v19, 0x3d2aabf7
	;; [unrolled: 2-line block ×3, first 2 shown]
	v_fmac_f32_e32 v18, v17, v19
	v_fma_f32 v17, v17, v18, 1.0
	v_and_b32_e32 v18, 1, v15
	v_lshlrev_b32_e32 v15, 30, v15
	v_cmp_eq_u32_e32 vcc, 0, v18
	v_and_b32_e32 v15, 0x80000000, v15
	v_cndmask_b32_e32 v16, v17, v16, vcc
	v_xor_b32_e32 v11, v11, v15
	v_xor_b32_e32 v11, v11, v16
	s_movk_i32 s6, 0x1f8
	v_xor_b32_e32 v11, v11, v9
	v_mov_b32_e32 v15, 0x7fc00000
	v_cmp_class_f32_e64 vcc, v9, s6
	v_cndmask_b32_e32 v9, v15, v11, vcc
	v_bfe_u32 v11, v9, 16, 1
	s_movk_i32 s6, 0x7fff
	v_add3_u32 v11, v9, v11, s6
	v_cmp_o_f32_e32 vcc, v9, v9
	v_mov_b32_e32 v9, 0x7fc0
	v_cndmask_b32_sdwa v11, v9, v11, vcc dst_sel:DWORD dst_unused:UNUSED_PAD src0_sel:DWORD src1_sel:WORD_1
.LBB26_52:
	s_or_b64 exec, exec, s[12:13]
	v_add_u32_e32 v9, 0x600, v7
	v_cmp_lt_i32_e32 vcc, v9, v4
                                        ; implicit-def: $vgpr9
	s_and_saveexec_b64 s[12:13], vcc
	s_cbranch_execz .LBB26_58
; %bb.53:
	s_brev_b32 s6, 18
	v_and_b32_e32 v9, 0x7fffffff, v8
	v_cmp_nlt_f32_e64 s[6:7], |v8|, s6
                                        ; implicit-def: $vgpr15
                                        ; implicit-def: $vgpr16
	s_and_saveexec_b64 s[8:9], s[6:7]
	s_xor_b64 s[14:15], exec, s[8:9]
	s_cbranch_execz .LBB26_55
; %bb.54:
	v_and_b32_e32 v15, 0x7fffff, v9
	v_or_b32_e32 v24, 0x800000, v15
	s_mov_b32 s6, 0xfe5163ab
	v_mad_u64_u32 v[15:16], s[6:7], v24, s6, 0
	v_mov_b32_e32 v17, 0
	s_mov_b32 s6, 0x3c439041
	v_mad_u64_u32 v[18:19], s[6:7], v24, s6, v[16:17]
	s_mov_b32 s6, 0xdb629599
	v_not_b32_e32 v23, 63
	v_mov_b32_e32 v16, v19
	v_mad_u64_u32 v[19:20], s[6:7], v24, s6, v[16:17]
	s_mov_b32 s6, 0xf534ddc0
	v_not_b32_e32 v26, 31
	v_mov_b32_e32 v16, v20
	v_mad_u64_u32 v[20:21], s[6:7], v24, s6, v[16:17]
	v_lshrrev_b32_e32 v16, 23, v9
	v_add_u32_e32 v25, 0xffffff88, v16
	v_mov_b32_e32 v16, v21
	s_mov_b32 s6, 0xfc2757d1
	v_mad_u64_u32 v[21:22], s[6:7], v24, s6, v[16:17]
	v_cmp_lt_u32_e32 vcc, 63, v25
	v_cndmask_b32_e32 v16, 0, v23, vcc
	v_add_u32_e32 v25, v16, v25
	v_mov_b32_e32 v16, v22
	s_mov_b32 s6, 0x4e441529
	v_mad_u64_u32 v[22:23], s[6:7], v24, s6, v[16:17]
	v_cmp_lt_u32_e64 s[6:7], 31, v25
	v_cndmask_b32_e64 v16, 0, v26, s[6:7]
	v_add_u32_e32 v25, v16, v25
	v_mov_b32_e32 v16, v23
	s_mov_b32 s8, 0xa2f9836e
	v_mad_u64_u32 v[16:17], s[8:9], v24, s8, v[16:17]
	v_cmp_lt_u32_e64 s[8:9], 31, v25
	v_cndmask_b32_e64 v23, 0, v26, s[8:9]
	v_cndmask_b32_e32 v24, v22, v20, vcc
	v_cndmask_b32_e32 v16, v16, v21, vcc
	;; [unrolled: 1-line block ×3, first 2 shown]
	v_add_u32_e32 v23, v23, v25
	v_cndmask_b32_e64 v25, v16, v24, s[6:7]
	v_cndmask_b32_e64 v16, v17, v16, s[6:7]
	v_cndmask_b32_e32 v17, v21, v19, vcc
	v_cndmask_b32_e64 v21, v24, v17, s[6:7]
	v_cndmask_b32_e64 v16, v16, v25, s[8:9]
	;; [unrolled: 1-line block ×3, first 2 shown]
	v_sub_u32_e32 v24, 32, v23
	v_alignbit_b32 v25, v16, v22, v24
	v_cmp_eq_u32_e64 s[10:11], 0, v23
	v_cndmask_b32_e64 v23, v25, v16, s[10:11]
	v_cndmask_b32_e32 v16, v20, v18, vcc
	v_cndmask_b32_e64 v17, v17, v16, s[6:7]
	v_cndmask_b32_e64 v18, v21, v17, s[8:9]
	v_alignbit_b32 v20, v22, v18, v24
	v_cndmask_b32_e32 v15, v19, v15, vcc
	v_cndmask_b32_e64 v20, v20, v22, s[10:11]
	v_bfe_u32 v25, v23, 29, 1
	v_cndmask_b32_e64 v15, v16, v15, s[6:7]
	v_alignbit_b32 v21, v23, v20, 30
	v_sub_u32_e32 v26, 0, v25
	v_cndmask_b32_e64 v15, v17, v15, s[8:9]
	v_xor_b32_e32 v21, v21, v26
	v_alignbit_b32 v16, v18, v15, v24
	v_cndmask_b32_e64 v16, v16, v18, s[10:11]
	v_ffbh_u32_e32 v18, v21
	v_alignbit_b32 v17, v20, v16, 30
	v_min_u32_e32 v18, 32, v18
	v_alignbit_b32 v15, v16, v15, 30
	v_xor_b32_e32 v17, v17, v26
	v_sub_u32_e32 v19, 31, v18
	v_xor_b32_e32 v15, v15, v26
	v_alignbit_b32 v20, v21, v17, v19
	v_alignbit_b32 v15, v17, v15, v19
	v_alignbit_b32 v16, v20, v15, 9
	v_ffbh_u32_e32 v17, v16
	v_min_u32_e32 v17, 32, v17
	v_lshrrev_b32_e32 v22, 29, v23
	v_not_b32_e32 v19, v17
	v_alignbit_b32 v15, v16, v15, v19
	v_lshlrev_b32_e32 v16, 31, v22
	v_or_b32_e32 v19, 0x33000000, v16
	v_add_lshl_u32 v17, v17, v18, 23
	v_lshrrev_b32_e32 v15, 9, v15
	v_sub_u32_e32 v17, v19, v17
	v_or_b32_e32 v16, 0.5, v16
	v_lshlrev_b32_e32 v18, 23, v18
	v_or_b32_e32 v15, v17, v15
	v_lshrrev_b32_e32 v17, 9, v20
	v_sub_u32_e32 v16, v16, v18
	v_or_b32_e32 v16, v17, v16
	s_mov_b32 s6, 0x3fc90fda
	v_mul_f32_e32 v17, 0x3fc90fda, v16
	v_fma_f32 v18, v16, s6, -v17
	v_fmac_f32_e32 v18, 0x33a22168, v16
	v_fmac_f32_e32 v18, 0x3fc90fda, v15
	v_lshrrev_b32_e32 v15, 30, v23
	v_add_f32_e32 v16, v17, v18
	v_add_u32_e32 v15, v25, v15
.LBB26_55:
	s_andn2_saveexec_b64 s[6:7], s[14:15]
	s_cbranch_execz .LBB26_57
; %bb.56:
	s_mov_b32 s8, 0x3f22f983
	v_mul_f32_e64 v15, |v8|, s8
	v_rndne_f32_e32 v17, v15
	s_mov_b32 s8, 0xbfc90fda
	v_cvt_i32_f32_e32 v15, v17
	v_fma_f32 v16, v17, s8, |v8|
	v_fmac_f32_e32 v16, 0xb3a22168, v17
	v_fmac_f32_e32 v16, 0xa7c234c4, v17
.LBB26_57:
	s_or_b64 exec, exec, s[6:7]
	v_mul_f32_e32 v17, v16, v16
	v_mov_b32_e32 v18, 0x3c0881c4
	v_fmac_f32_e32 v18, 0xb94c1982, v17
	v_mov_b32_e32 v19, 0xbe2aaa9d
	v_fmac_f32_e32 v19, v17, v18
	v_mul_f32_e32 v18, v17, v19
	v_fmac_f32_e32 v16, v16, v18
	v_mov_b32_e32 v18, 0xbab64f3b
	v_fmac_f32_e32 v18, 0x37d75334, v17
	v_mov_b32_e32 v19, 0x3d2aabf7
	;; [unrolled: 2-line block ×3, first 2 shown]
	v_fmac_f32_e32 v18, v17, v19
	v_fma_f32 v17, v17, v18, 1.0
	v_and_b32_e32 v18, 1, v15
	v_lshlrev_b32_e32 v15, 30, v15
	v_cmp_eq_u32_e32 vcc, 0, v18
	v_and_b32_e32 v15, 0x80000000, v15
	v_cndmask_b32_e32 v16, v17, v16, vcc
	v_xor_b32_e32 v9, v9, v15
	v_xor_b32_e32 v9, v9, v16
	s_movk_i32 s6, 0x1f8
	v_xor_b32_e32 v9, v9, v8
	v_mov_b32_e32 v15, 0x7fc00000
	v_cmp_class_f32_e64 vcc, v8, s6
	v_cndmask_b32_e32 v8, v15, v9, vcc
	v_bfe_u32 v9, v8, 16, 1
	s_movk_i32 s6, 0x7fff
	v_add3_u32 v9, v8, v9, s6
	v_cmp_o_f32_e32 vcc, v8, v8
	v_mov_b32_e32 v8, 0x7fc0
	v_cndmask_b32_sdwa v9, v8, v9, vcc dst_sel:DWORD dst_unused:UNUSED_PAD src0_sel:DWORD src1_sel:WORD_1
.LBB26_58:
	s_or_b64 exec, exec, s[12:13]
	v_add_u32_e32 v8, 0x700, v7
	v_cmp_lt_i32_e32 vcc, v8, v4
                                        ; implicit-def: $vgpr8
	s_and_saveexec_b64 s[12:13], vcc
	s_cbranch_execnz .LBB26_68
; %bb.59:
	s_or_b64 exec, exec, s[12:13]
	s_and_saveexec_b64 s[6:7], s[4:5]
	s_xor_b64 s[4:5], exec, s[6:7]
	s_cbranch_execnz .LBB26_73
.LBB26_60:
	s_or_b64 exec, exec, s[4:5]
	v_cmp_lt_i32_e32 vcc, v7, v4
	s_and_saveexec_b64 s[4:5], vcc
	s_cbranch_execnz .LBB26_74
.LBB26_61:
	s_or_b64 exec, exec, s[4:5]
	v_cmp_lt_i32_e32 vcc, v7, v4
	s_and_saveexec_b64 s[4:5], vcc
	s_cbranch_execnz .LBB26_75
.LBB26_62:
	s_or_b64 exec, exec, s[4:5]
	v_cmp_lt_i32_e32 vcc, v7, v4
	s_and_saveexec_b64 s[4:5], vcc
	s_cbranch_execnz .LBB26_76
.LBB26_63:
	s_or_b64 exec, exec, s[4:5]
	v_cmp_lt_i32_e32 vcc, v7, v4
	s_and_saveexec_b64 s[4:5], vcc
	s_cbranch_execnz .LBB26_77
.LBB26_64:
	s_or_b64 exec, exec, s[4:5]
	v_cmp_lt_i32_e32 vcc, v7, v4
	s_and_saveexec_b64 s[4:5], vcc
	s_cbranch_execnz .LBB26_78
.LBB26_65:
	s_or_b64 exec, exec, s[4:5]
	v_cmp_lt_i32_e32 vcc, v7, v4
	s_and_saveexec_b64 s[4:5], vcc
	s_cbranch_execnz .LBB26_79
.LBB26_66:
	s_or_b64 exec, exec, s[4:5]
	v_cmp_lt_i32_e32 vcc, v7, v4
	s_and_saveexec_b64 s[4:5], vcc
	s_cbranch_execnz .LBB26_80
.LBB26_67:
	s_or_b64 exec, exec, s[4:5]
	s_waitcnt vmcnt(0) lgkmcnt(0)
	s_setpc_b64 s[30:31]
.LBB26_68:
	s_brev_b32 s6, 18
	v_and_b32_e32 v8, 0x7fffffff, v6
	v_cmp_nlt_f32_e64 s[6:7], |v6|, s6
                                        ; implicit-def: $vgpr15
                                        ; implicit-def: $vgpr16
	s_and_saveexec_b64 s[8:9], s[6:7]
	s_xor_b64 s[14:15], exec, s[8:9]
	s_cbranch_execz .LBB26_70
; %bb.69:
	v_and_b32_e32 v15, 0x7fffff, v8
	v_or_b32_e32 v24, 0x800000, v15
	s_mov_b32 s6, 0xfe5163ab
	v_mad_u64_u32 v[15:16], s[6:7], v24, s6, 0
	v_mov_b32_e32 v17, 0
	s_mov_b32 s6, 0x3c439041
	v_mad_u64_u32 v[18:19], s[6:7], v24, s6, v[16:17]
	s_mov_b32 s6, 0xdb629599
	v_not_b32_e32 v23, 63
	v_mov_b32_e32 v16, v19
	v_mad_u64_u32 v[19:20], s[6:7], v24, s6, v[16:17]
	s_mov_b32 s6, 0xf534ddc0
	v_not_b32_e32 v26, 31
	v_mov_b32_e32 v16, v20
	v_mad_u64_u32 v[20:21], s[6:7], v24, s6, v[16:17]
	v_lshrrev_b32_e32 v16, 23, v8
	v_add_u32_e32 v25, 0xffffff88, v16
	v_mov_b32_e32 v16, v21
	s_mov_b32 s6, 0xfc2757d1
	v_mad_u64_u32 v[21:22], s[6:7], v24, s6, v[16:17]
	v_cmp_lt_u32_e32 vcc, 63, v25
	v_cndmask_b32_e32 v16, 0, v23, vcc
	v_add_u32_e32 v25, v16, v25
	v_mov_b32_e32 v16, v22
	s_mov_b32 s6, 0x4e441529
	v_mad_u64_u32 v[22:23], s[6:7], v24, s6, v[16:17]
	v_cmp_lt_u32_e64 s[6:7], 31, v25
	v_cndmask_b32_e64 v16, 0, v26, s[6:7]
	v_add_u32_e32 v25, v16, v25
	v_mov_b32_e32 v16, v23
	s_mov_b32 s8, 0xa2f9836e
	v_mad_u64_u32 v[16:17], s[8:9], v24, s8, v[16:17]
	v_cmp_lt_u32_e64 s[8:9], 31, v25
	v_cndmask_b32_e64 v23, 0, v26, s[8:9]
	v_cndmask_b32_e32 v24, v22, v20, vcc
	v_cndmask_b32_e32 v16, v16, v21, vcc
	;; [unrolled: 1-line block ×3, first 2 shown]
	v_add_u32_e32 v23, v23, v25
	v_cndmask_b32_e64 v25, v16, v24, s[6:7]
	v_cndmask_b32_e64 v16, v17, v16, s[6:7]
	v_cndmask_b32_e32 v17, v21, v19, vcc
	v_cndmask_b32_e64 v21, v24, v17, s[6:7]
	v_cndmask_b32_e64 v16, v16, v25, s[8:9]
	;; [unrolled: 1-line block ×3, first 2 shown]
	v_sub_u32_e32 v24, 32, v23
	v_alignbit_b32 v25, v16, v22, v24
	v_cmp_eq_u32_e64 s[10:11], 0, v23
	v_cndmask_b32_e64 v23, v25, v16, s[10:11]
	v_cndmask_b32_e32 v16, v20, v18, vcc
	v_cndmask_b32_e64 v17, v17, v16, s[6:7]
	v_cndmask_b32_e64 v18, v21, v17, s[8:9]
	v_alignbit_b32 v20, v22, v18, v24
	v_cndmask_b32_e32 v15, v19, v15, vcc
	v_cndmask_b32_e64 v20, v20, v22, s[10:11]
	v_bfe_u32 v25, v23, 29, 1
	v_cndmask_b32_e64 v15, v16, v15, s[6:7]
	v_alignbit_b32 v21, v23, v20, 30
	v_sub_u32_e32 v26, 0, v25
	v_cndmask_b32_e64 v15, v17, v15, s[8:9]
	v_xor_b32_e32 v21, v21, v26
	v_alignbit_b32 v16, v18, v15, v24
	v_cndmask_b32_e64 v16, v16, v18, s[10:11]
	v_ffbh_u32_e32 v18, v21
	v_alignbit_b32 v17, v20, v16, 30
	v_min_u32_e32 v18, 32, v18
	v_alignbit_b32 v15, v16, v15, 30
	v_xor_b32_e32 v17, v17, v26
	v_sub_u32_e32 v19, 31, v18
	v_xor_b32_e32 v15, v15, v26
	v_alignbit_b32 v20, v21, v17, v19
	v_alignbit_b32 v15, v17, v15, v19
	;; [unrolled: 1-line block ×3, first 2 shown]
	v_ffbh_u32_e32 v17, v16
	v_min_u32_e32 v17, 32, v17
	v_lshrrev_b32_e32 v22, 29, v23
	v_not_b32_e32 v19, v17
	v_alignbit_b32 v15, v16, v15, v19
	v_lshlrev_b32_e32 v16, 31, v22
	v_or_b32_e32 v19, 0x33000000, v16
	v_add_lshl_u32 v17, v17, v18, 23
	v_lshrrev_b32_e32 v15, 9, v15
	v_sub_u32_e32 v17, v19, v17
	v_or_b32_e32 v16, 0.5, v16
	v_lshlrev_b32_e32 v18, 23, v18
	v_or_b32_e32 v15, v17, v15
	v_lshrrev_b32_e32 v17, 9, v20
	v_sub_u32_e32 v16, v16, v18
	v_or_b32_e32 v16, v17, v16
	s_mov_b32 s6, 0x3fc90fda
	v_mul_f32_e32 v17, 0x3fc90fda, v16
	v_fma_f32 v18, v16, s6, -v17
	v_fmac_f32_e32 v18, 0x33a22168, v16
	v_fmac_f32_e32 v18, 0x3fc90fda, v15
	v_lshrrev_b32_e32 v15, 30, v23
	v_add_f32_e32 v16, v17, v18
	v_add_u32_e32 v15, v25, v15
.LBB26_70:
	s_andn2_saveexec_b64 s[6:7], s[14:15]
	s_cbranch_execz .LBB26_72
; %bb.71:
	s_mov_b32 s8, 0x3f22f983
	v_mul_f32_e64 v15, |v6|, s8
	v_rndne_f32_e32 v17, v15
	s_mov_b32 s8, 0xbfc90fda
	v_cvt_i32_f32_e32 v15, v17
	v_fma_f32 v16, v17, s8, |v6|
	v_fmac_f32_e32 v16, 0xb3a22168, v17
	v_fmac_f32_e32 v16, 0xa7c234c4, v17
.LBB26_72:
	s_or_b64 exec, exec, s[6:7]
	v_mul_f32_e32 v17, v16, v16
	v_mov_b32_e32 v18, 0x3c0881c4
	v_fmac_f32_e32 v18, 0xb94c1982, v17
	v_mov_b32_e32 v19, 0xbe2aaa9d
	v_fmac_f32_e32 v19, v17, v18
	v_mul_f32_e32 v18, v17, v19
	v_fmac_f32_e32 v16, v16, v18
	v_mov_b32_e32 v18, 0xbab64f3b
	v_fmac_f32_e32 v18, 0x37d75334, v17
	v_mov_b32_e32 v19, 0x3d2aabf7
	;; [unrolled: 2-line block ×3, first 2 shown]
	v_fmac_f32_e32 v18, v17, v19
	v_fma_f32 v17, v17, v18, 1.0
	v_and_b32_e32 v18, 1, v15
	v_lshlrev_b32_e32 v15, 30, v15
	v_cmp_eq_u32_e32 vcc, 0, v18
	v_and_b32_e32 v15, 0x80000000, v15
	v_cndmask_b32_e32 v16, v17, v16, vcc
	v_xor_b32_e32 v8, v8, v15
	v_xor_b32_e32 v8, v8, v16
	s_movk_i32 s6, 0x1f8
	v_xor_b32_e32 v8, v8, v6
	v_mov_b32_e32 v15, 0x7fc00000
	v_cmp_class_f32_e64 vcc, v6, s6
	v_cndmask_b32_e32 v6, v15, v8, vcc
	v_bfe_u32 v8, v6, 16, 1
	s_movk_i32 s6, 0x7fff
	v_add3_u32 v8, v6, v8, s6
	v_cmp_o_f32_e32 vcc, v6, v6
	v_mov_b32_e32 v6, 0x7fc0
	v_cndmask_b32_sdwa v8, v6, v8, vcc dst_sel:DWORD dst_unused:UNUSED_PAD src0_sel:DWORD src1_sel:WORD_1
	s_or_b64 exec, exec, s[12:13]
	s_and_saveexec_b64 s[6:7], s[4:5]
	s_xor_b64 s[4:5], exec, s[6:7]
	s_cbranch_execz .LBB26_60
.LBB26_73:
	v_mov_b32_e32 v6, 0
	v_lshlrev_b64 v[5:6], 1, v[5:6]
	v_mov_b32_e32 v7, v3
	v_add_co_u32_e32 v5, vcc, v0, v5
	v_addc_co_u32_e32 v6, vcc, v1, v6, vcc
	flat_store_short v[5:6], v2
	s_or_b64 exec, exec, s[4:5]
	v_cmp_lt_i32_e32 vcc, v7, v4
	s_and_saveexec_b64 s[4:5], vcc
	s_cbranch_execz .LBB26_61
.LBB26_74:
	v_add_u32_e32 v2, s16, v7
	v_mov_b32_e32 v3, 0
	v_lshlrev_b64 v[2:3], 1, v[2:3]
	v_add_u32_e32 v7, 0x100, v7
	v_add_co_u32_e32 v2, vcc, v0, v2
	v_addc_co_u32_e32 v3, vcc, v1, v3, vcc
	flat_store_short v[2:3], v10
	s_or_b64 exec, exec, s[4:5]
	v_cmp_lt_i32_e32 vcc, v7, v4
	s_and_saveexec_b64 s[4:5], vcc
	s_cbranch_execz .LBB26_62
.LBB26_75:
	v_add_u32_e32 v2, s16, v7
	v_mov_b32_e32 v3, 0
	v_lshlrev_b64 v[2:3], 1, v[2:3]
	v_add_u32_e32 v7, 0x100, v7
	v_add_co_u32_e32 v2, vcc, v0, v2
	v_addc_co_u32_e32 v3, vcc, v1, v3, vcc
	flat_store_short v[2:3], v12
	s_or_b64 exec, exec, s[4:5]
	v_cmp_lt_i32_e32 vcc, v7, v4
	s_and_saveexec_b64 s[4:5], vcc
	s_cbranch_execz .LBB26_63
.LBB26_76:
	v_add_u32_e32 v2, s16, v7
	v_mov_b32_e32 v3, 0
	v_lshlrev_b64 v[2:3], 1, v[2:3]
	v_add_u32_e32 v7, 0x100, v7
	v_add_co_u32_e32 v2, vcc, v0, v2
	v_addc_co_u32_e32 v3, vcc, v1, v3, vcc
	flat_store_short v[2:3], v14
	s_or_b64 exec, exec, s[4:5]
	v_cmp_lt_i32_e32 vcc, v7, v4
	s_and_saveexec_b64 s[4:5], vcc
	s_cbranch_execz .LBB26_64
.LBB26_77:
	v_add_u32_e32 v2, s16, v7
	v_mov_b32_e32 v3, 0
	v_lshlrev_b64 v[2:3], 1, v[2:3]
	v_add_u32_e32 v7, 0x100, v7
	v_add_co_u32_e32 v2, vcc, v0, v2
	v_addc_co_u32_e32 v3, vcc, v1, v3, vcc
	flat_store_short v[2:3], v13
	s_or_b64 exec, exec, s[4:5]
	v_cmp_lt_i32_e32 vcc, v7, v4
	s_and_saveexec_b64 s[4:5], vcc
	s_cbranch_execz .LBB26_65
.LBB26_78:
	v_add_u32_e32 v2, s16, v7
	v_mov_b32_e32 v3, 0
	v_lshlrev_b64 v[2:3], 1, v[2:3]
	v_add_u32_e32 v7, 0x100, v7
	v_add_co_u32_e32 v2, vcc, v0, v2
	v_addc_co_u32_e32 v3, vcc, v1, v3, vcc
	flat_store_short v[2:3], v11
	s_or_b64 exec, exec, s[4:5]
	v_cmp_lt_i32_e32 vcc, v7, v4
	s_and_saveexec_b64 s[4:5], vcc
	s_cbranch_execz .LBB26_66
.LBB26_79:
	v_add_u32_e32 v2, s16, v7
	v_mov_b32_e32 v3, 0
	v_lshlrev_b64 v[2:3], 1, v[2:3]
	v_add_u32_e32 v7, 0x100, v7
	v_add_co_u32_e32 v2, vcc, v0, v2
	v_addc_co_u32_e32 v3, vcc, v1, v3, vcc
	flat_store_short v[2:3], v9
	s_or_b64 exec, exec, s[4:5]
	v_cmp_lt_i32_e32 vcc, v7, v4
	s_and_saveexec_b64 s[4:5], vcc
	s_cbranch_execz .LBB26_67
.LBB26_80:
	v_add_u32_e32 v2, s16, v7
	v_mov_b32_e32 v3, 0
	v_lshlrev_b64 v[2:3], 1, v[2:3]
	v_add_co_u32_e32 v0, vcc, v0, v2
	v_addc_co_u32_e32 v1, vcc, v1, v3, vcc
	flat_store_short v[0:1], v8
	s_or_b64 exec, exec, s[4:5]
	s_waitcnt vmcnt(0) lgkmcnt(0)
	s_setpc_b64 s[30:31]
.Lfunc_end26:
	.size	_ZN2at6native25elementwise_kernel_helperILb0EZZZNS0_15sin_kernel_cudaERNS_18TensorIteratorBaseEENKUlvE0_clEvENKUlvE2_clEvEUlN3c108BFloat16EE_NS0_6memory8policies11unroll_baseILi256ESt5arrayIPcLm2EE23TrivialOffsetCalculatorILi1EjESG_NS9_15LoadWithoutCastENS9_16StoreWithoutCastELi8ELi1EEEEEvT0_T1_, .Lfunc_end26-_ZN2at6native25elementwise_kernel_helperILb0EZZZNS0_15sin_kernel_cudaERNS_18TensorIteratorBaseEENKUlvE0_clEvENKUlvE2_clEvEUlN3c108BFloat16EE_NS0_6memory8policies11unroll_baseILi256ESt5arrayIPcLm2EE23TrivialOffsetCalculatorILi1EjESG_NS9_15LoadWithoutCastENS9_16StoreWithoutCastELi8ELi1EEEEEvT0_T1_
                                        ; -- End function
	.set .L_ZN2at6native25elementwise_kernel_helperILb0EZZZNS0_15sin_kernel_cudaERNS_18TensorIteratorBaseEENKUlvE0_clEvENKUlvE2_clEvEUlN3c108BFloat16EE_NS0_6memory8policies11unroll_baseILi256ESt5arrayIPcLm2EE23TrivialOffsetCalculatorILi1EjESG_NS9_15LoadWithoutCastENS9_16StoreWithoutCastELi8ELi1EEEEEvT0_T1_.num_vgpr, 32
	.set .L_ZN2at6native25elementwise_kernel_helperILb0EZZZNS0_15sin_kernel_cudaERNS_18TensorIteratorBaseEENKUlvE0_clEvENKUlvE2_clEvEUlN3c108BFloat16EE_NS0_6memory8policies11unroll_baseILi256ESt5arrayIPcLm2EE23TrivialOffsetCalculatorILi1EjESG_NS9_15LoadWithoutCastENS9_16StoreWithoutCastELi8ELi1EEEEEvT0_T1_.num_agpr, 0
	.set .L_ZN2at6native25elementwise_kernel_helperILb0EZZZNS0_15sin_kernel_cudaERNS_18TensorIteratorBaseEENKUlvE0_clEvENKUlvE2_clEvEUlN3c108BFloat16EE_NS0_6memory8policies11unroll_baseILi256ESt5arrayIPcLm2EE23TrivialOffsetCalculatorILi1EjESG_NS9_15LoadWithoutCastENS9_16StoreWithoutCastELi8ELi1EEEEEvT0_T1_.numbered_sgpr, 32
	.set .L_ZN2at6native25elementwise_kernel_helperILb0EZZZNS0_15sin_kernel_cudaERNS_18TensorIteratorBaseEENKUlvE0_clEvENKUlvE2_clEvEUlN3c108BFloat16EE_NS0_6memory8policies11unroll_baseILi256ESt5arrayIPcLm2EE23TrivialOffsetCalculatorILi1EjESG_NS9_15LoadWithoutCastENS9_16StoreWithoutCastELi8ELi1EEEEEvT0_T1_.num_named_barrier, 0
	.set .L_ZN2at6native25elementwise_kernel_helperILb0EZZZNS0_15sin_kernel_cudaERNS_18TensorIteratorBaseEENKUlvE0_clEvENKUlvE2_clEvEUlN3c108BFloat16EE_NS0_6memory8policies11unroll_baseILi256ESt5arrayIPcLm2EE23TrivialOffsetCalculatorILi1EjESG_NS9_15LoadWithoutCastENS9_16StoreWithoutCastELi8ELi1EEEEEvT0_T1_.private_seg_size, 0
	.set .L_ZN2at6native25elementwise_kernel_helperILb0EZZZNS0_15sin_kernel_cudaERNS_18TensorIteratorBaseEENKUlvE0_clEvENKUlvE2_clEvEUlN3c108BFloat16EE_NS0_6memory8policies11unroll_baseILi256ESt5arrayIPcLm2EE23TrivialOffsetCalculatorILi1EjESG_NS9_15LoadWithoutCastENS9_16StoreWithoutCastELi8ELi1EEEEEvT0_T1_.uses_vcc, 1
	.set .L_ZN2at6native25elementwise_kernel_helperILb0EZZZNS0_15sin_kernel_cudaERNS_18TensorIteratorBaseEENKUlvE0_clEvENKUlvE2_clEvEUlN3c108BFloat16EE_NS0_6memory8policies11unroll_baseILi256ESt5arrayIPcLm2EE23TrivialOffsetCalculatorILi1EjESG_NS9_15LoadWithoutCastENS9_16StoreWithoutCastELi8ELi1EEEEEvT0_T1_.uses_flat_scratch, 0
	.set .L_ZN2at6native25elementwise_kernel_helperILb0EZZZNS0_15sin_kernel_cudaERNS_18TensorIteratorBaseEENKUlvE0_clEvENKUlvE2_clEvEUlN3c108BFloat16EE_NS0_6memory8policies11unroll_baseILi256ESt5arrayIPcLm2EE23TrivialOffsetCalculatorILi1EjESG_NS9_15LoadWithoutCastENS9_16StoreWithoutCastELi8ELi1EEEEEvT0_T1_.has_dyn_sized_stack, 0
	.set .L_ZN2at6native25elementwise_kernel_helperILb0EZZZNS0_15sin_kernel_cudaERNS_18TensorIteratorBaseEENKUlvE0_clEvENKUlvE2_clEvEUlN3c108BFloat16EE_NS0_6memory8policies11unroll_baseILi256ESt5arrayIPcLm2EE23TrivialOffsetCalculatorILi1EjESG_NS9_15LoadWithoutCastENS9_16StoreWithoutCastELi8ELi1EEEEEvT0_T1_.has_recursion, 0
	.set .L_ZN2at6native25elementwise_kernel_helperILb0EZZZNS0_15sin_kernel_cudaERNS_18TensorIteratorBaseEENKUlvE0_clEvENKUlvE2_clEvEUlN3c108BFloat16EE_NS0_6memory8policies11unroll_baseILi256ESt5arrayIPcLm2EE23TrivialOffsetCalculatorILi1EjESG_NS9_15LoadWithoutCastENS9_16StoreWithoutCastELi8ELi1EEEEEvT0_T1_.has_indirect_call, 0
	.section	.AMDGPU.csdata,"",@progbits
; Function info:
; codeLenInByte = 8392
; TotalNumSgprs: 36
; NumVgprs: 32
; ScratchSize: 0
; MemoryBound: 0
	.text
	.p2align	2                               ; -- Begin function _ZN2at6native25elementwise_kernel_helperILb0EZZZNS0_15sin_kernel_cudaERNS_18TensorIteratorBaseEENKUlvE0_clEvENKUlvE2_clEvEUlN3c108BFloat16EE_NS0_6memory8policies10vectorizedILi8ESt5arrayIPcLm2EELi8EEEEEvT0_T1_
	.type	_ZN2at6native25elementwise_kernel_helperILb0EZZZNS0_15sin_kernel_cudaERNS_18TensorIteratorBaseEENKUlvE0_clEvENKUlvE2_clEvEUlN3c108BFloat16EE_NS0_6memory8policies10vectorizedILi8ESt5arrayIPcLm2EELi8EEEEEvT0_T1_,@function
_ZN2at6native25elementwise_kernel_helperILb0EZZZNS0_15sin_kernel_cudaERNS_18TensorIteratorBaseEENKUlvE0_clEvENKUlvE2_clEvEUlN3c108BFloat16EE_NS0_6memory8policies10vectorizedILi8ESt5arrayIPcLm2EELi8EEEEEvT0_T1_: ; @_ZN2at6native25elementwise_kernel_helperILb0EZZZNS0_15sin_kernel_cudaERNS_18TensorIteratorBaseEENKUlvE0_clEvENKUlvE2_clEvEUlN3c108BFloat16EE_NS0_6memory8policies10vectorizedILi8ESt5arrayIPcLm2EELi8EEEEEvT0_T1_
; %bb.0:
	s_waitcnt vmcnt(0) expcnt(0) lgkmcnt(0)
	s_lshl_b32 s4, s12, 11
	s_ashr_i32 s5, s4, 31
	s_lshl_b64 s[10:11], s[4:5], 1
	v_mov_b32_e32 v4, s11
	v_add_co_u32_e32 v2, vcc, s10, v2
	v_addc_co_u32_e32 v3, vcc, v3, v4, vcc
	v_and_b32_e32 v4, 0x3ff, v31
	v_lshlrev_b32_e32 v9, 4, v4
	v_add_co_u32_e32 v2, vcc, v2, v9
	v_addc_co_u32_e32 v3, vcc, 0, v3, vcc
	flat_load_dwordx4 v[2:5], v[2:3]
	s_brev_b32 s4, 18
	v_mov_b32_e32 v7, 0
                                        ; implicit-def: $vgpr11
                                        ; implicit-def: $vgpr6
	s_waitcnt vmcnt(0) lgkmcnt(0)
	v_lshlrev_b32_e32 v8, 16, v2
	v_and_b32_e32 v10, 0x7fffffff, v8
	v_cmp_nlt_f32_e64 s[4:5], |v8|, s4
	s_and_saveexec_b64 s[6:7], s[4:5]
	s_xor_b64 s[12:13], exec, s[6:7]
	s_cbranch_execz .LBB27_2
; %bb.1:
	v_and_b32_e32 v6, 0x7fffff, v10
	v_or_b32_e32 v18, 0x800000, v6
	s_mov_b32 s4, 0xfe5163ab
	v_mad_u64_u32 v[11:12], s[4:5], v18, s4, 0
	s_mov_b32 s4, 0x3c439041
	v_lshrrev_b32_e32 v16, 23, v10
	v_mov_b32_e32 v6, v12
	v_mad_u64_u32 v[12:13], s[4:5], v18, s4, v[6:7]
	s_mov_b32 s4, 0xdb629599
	v_add_u32_e32 v19, 0xffffff88, v16
	v_mov_b32_e32 v6, v13
	v_mad_u64_u32 v[13:14], s[4:5], v18, s4, v[6:7]
	s_mov_b32 s4, 0xf534ddc0
	v_not_b32_e32 v17, 63
	v_mov_b32_e32 v6, v14
	v_mad_u64_u32 v[14:15], s[4:5], v18, s4, v[6:7]
	s_mov_b32 s4, 0xfc2757d1
	v_cmp_lt_u32_e32 vcc, 63, v19
	v_mov_b32_e32 v6, v15
	v_mad_u64_u32 v[15:16], s[4:5], v18, s4, v[6:7]
	v_cndmask_b32_e32 v6, 0, v17, vcc
	v_add_u32_e32 v19, v6, v19
	v_mov_b32_e32 v6, v16
	s_mov_b32 s4, 0x4e441529
	v_mad_u64_u32 v[16:17], s[4:5], v18, s4, v[6:7]
	v_not_b32_e32 v20, 31
	v_cmp_lt_u32_e64 s[4:5], 31, v19
	v_cndmask_b32_e64 v6, 0, v20, s[4:5]
	v_add_u32_e32 v19, v6, v19
	v_mov_b32_e32 v6, v17
	s_mov_b32 s6, 0xa2f9836e
	v_mad_u64_u32 v[6:7], s[6:7], v18, s6, v[6:7]
	v_cmp_lt_u32_e64 s[6:7], 31, v19
	v_cndmask_b32_e64 v17, 0, v20, s[6:7]
	v_cndmask_b32_e32 v18, v16, v14, vcc
	v_cndmask_b32_e32 v6, v6, v15, vcc
	;; [unrolled: 1-line block ×3, first 2 shown]
	v_add_u32_e32 v17, v17, v19
	v_cndmask_b32_e64 v19, v6, v18, s[4:5]
	v_cndmask_b32_e64 v6, v7, v6, s[4:5]
	v_cndmask_b32_e32 v7, v15, v13, vcc
	v_cndmask_b32_e64 v15, v18, v7, s[4:5]
	v_cndmask_b32_e64 v6, v6, v19, s[6:7]
	v_cndmask_b32_e64 v16, v19, v15, s[6:7]
	v_sub_u32_e32 v18, 32, v17
	v_alignbit_b32 v19, v6, v16, v18
	v_cmp_eq_u32_e64 s[8:9], 0, v17
	v_cndmask_b32_e64 v17, v19, v6, s[8:9]
	v_cndmask_b32_e32 v6, v14, v12, vcc
	v_cndmask_b32_e64 v7, v7, v6, s[4:5]
	v_cndmask_b32_e64 v12, v15, v7, s[6:7]
	v_alignbit_b32 v14, v16, v12, v18
	v_cndmask_b32_e32 v11, v13, v11, vcc
	v_cndmask_b32_e64 v14, v14, v16, s[8:9]
	v_bfe_u32 v19, v17, 29, 1
	v_cndmask_b32_e64 v6, v6, v11, s[4:5]
	v_alignbit_b32 v15, v17, v14, 30
	v_sub_u32_e32 v20, 0, v19
	v_cndmask_b32_e64 v6, v7, v6, s[6:7]
	v_xor_b32_e32 v15, v15, v20
	v_alignbit_b32 v7, v12, v6, v18
	v_cndmask_b32_e64 v7, v7, v12, s[8:9]
	v_ffbh_u32_e32 v12, v15
	v_alignbit_b32 v11, v14, v7, 30
	v_min_u32_e32 v12, 32, v12
	v_alignbit_b32 v6, v7, v6, 30
	v_xor_b32_e32 v11, v11, v20
	v_sub_u32_e32 v13, 31, v12
	v_xor_b32_e32 v6, v6, v20
	v_alignbit_b32 v14, v15, v11, v13
	v_alignbit_b32 v6, v11, v6, v13
	;; [unrolled: 1-line block ×3, first 2 shown]
	v_ffbh_u32_e32 v11, v7
	v_min_u32_e32 v11, 32, v11
	v_lshrrev_b32_e32 v16, 29, v17
	v_not_b32_e32 v13, v11
	v_alignbit_b32 v6, v7, v6, v13
	v_lshlrev_b32_e32 v7, 31, v16
	v_or_b32_e32 v13, 0x33000000, v7
	v_add_lshl_u32 v11, v11, v12, 23
	v_lshrrev_b32_e32 v6, 9, v6
	v_sub_u32_e32 v11, v13, v11
	v_or_b32_e32 v7, 0.5, v7
	v_lshlrev_b32_e32 v12, 23, v12
	v_or_b32_e32 v6, v11, v6
	v_lshrrev_b32_e32 v11, 9, v14
	v_sub_u32_e32 v7, v7, v12
	v_or_b32_e32 v7, v11, v7
	s_mov_b32 s4, 0x3fc90fda
	v_mul_f32_e32 v11, 0x3fc90fda, v7
	v_fma_f32 v12, v7, s4, -v11
	v_fmac_f32_e32 v12, 0x33a22168, v7
	v_fmac_f32_e32 v12, 0x3fc90fda, v6
	v_lshrrev_b32_e32 v7, 30, v17
	v_add_f32_e32 v6, v11, v12
	v_add_u32_e32 v11, v19, v7
.LBB27_2:
	s_andn2_saveexec_b64 s[4:5], s[12:13]
	s_cbranch_execz .LBB27_4
; %bb.3:
	s_mov_b32 s6, 0x3f22f983
	v_mul_f32_e64 v6, |v8|, s6
	v_rndne_f32_e32 v7, v6
	s_mov_b32 s6, 0xbfc90fda
	v_cvt_i32_f32_e32 v11, v7
	v_fma_f32 v6, v7, s6, |v8|
	v_fmac_f32_e32 v6, 0xb3a22168, v7
	v_fmac_f32_e32 v6, 0xa7c234c4, v7
.LBB27_4:
	s_or_b64 exec, exec, s[4:5]
	v_and_b32_e32 v2, 0xffff0000, v2
	s_brev_b32 s4, 18
	v_and_b32_e32 v7, 0x7fffffff, v2
	v_cmp_nlt_f32_e64 s[4:5], |v2|, s4
                                        ; implicit-def: $vgpr13
                                        ; implicit-def: $vgpr12
	s_and_saveexec_b64 s[6:7], s[4:5]
	s_xor_b64 s[12:13], exec, s[6:7]
	s_cbranch_execz .LBB27_6
; %bb.5:
	v_and_b32_e32 v12, 0x7fffff, v7
	v_or_b32_e32 v21, 0x800000, v12
	s_mov_b32 s4, 0xfe5163ab
	v_mad_u64_u32 v[12:13], s[4:5], v21, s4, 0
	v_mov_b32_e32 v14, 0
	s_mov_b32 s4, 0x3c439041
	v_mad_u64_u32 v[15:16], s[4:5], v21, s4, v[13:14]
	s_mov_b32 s4, 0xdb629599
	v_not_b32_e32 v20, 63
	v_mov_b32_e32 v13, v16
	v_mad_u64_u32 v[16:17], s[4:5], v21, s4, v[13:14]
	s_mov_b32 s4, 0xf534ddc0
	v_not_b32_e32 v23, 31
	v_mov_b32_e32 v13, v17
	v_mad_u64_u32 v[17:18], s[4:5], v21, s4, v[13:14]
	v_lshrrev_b32_e32 v13, 23, v7
	v_add_u32_e32 v22, 0xffffff88, v13
	v_mov_b32_e32 v13, v18
	s_mov_b32 s4, 0xfc2757d1
	v_mad_u64_u32 v[18:19], s[4:5], v21, s4, v[13:14]
	v_cmp_lt_u32_e32 vcc, 63, v22
	v_cndmask_b32_e32 v13, 0, v20, vcc
	v_add_u32_e32 v22, v13, v22
	v_mov_b32_e32 v13, v19
	s_mov_b32 s4, 0x4e441529
	v_mad_u64_u32 v[19:20], s[4:5], v21, s4, v[13:14]
	v_cmp_lt_u32_e64 s[4:5], 31, v22
	v_cndmask_b32_e64 v13, 0, v23, s[4:5]
	v_add_u32_e32 v22, v13, v22
	v_mov_b32_e32 v13, v20
	s_mov_b32 s6, 0xa2f9836e
	v_mad_u64_u32 v[13:14], s[6:7], v21, s6, v[13:14]
	v_cmp_lt_u32_e64 s[6:7], 31, v22
	v_cndmask_b32_e64 v20, 0, v23, s[6:7]
	v_cndmask_b32_e32 v21, v19, v17, vcc
	v_cndmask_b32_e32 v13, v13, v18, vcc
	;; [unrolled: 1-line block ×3, first 2 shown]
	v_add_u32_e32 v20, v20, v22
	v_cndmask_b32_e64 v22, v13, v21, s[4:5]
	v_cndmask_b32_e64 v13, v14, v13, s[4:5]
	v_cndmask_b32_e32 v14, v18, v16, vcc
	v_cndmask_b32_e64 v18, v21, v14, s[4:5]
	v_cndmask_b32_e32 v15, v17, v15, vcc
	v_cndmask_b32_e64 v13, v13, v22, s[6:7]
	v_cndmask_b32_e64 v19, v22, v18, s[6:7]
	v_sub_u32_e32 v21, 32, v20
	v_cndmask_b32_e64 v14, v14, v15, s[4:5]
	v_alignbit_b32 v22, v13, v19, v21
	v_cmp_eq_u32_e64 s[8:9], 0, v20
	v_cndmask_b32_e64 v17, v18, v14, s[6:7]
	v_cndmask_b32_e64 v13, v22, v13, s[8:9]
	v_alignbit_b32 v18, v19, v17, v21
	v_cndmask_b32_e32 v12, v16, v12, vcc
	v_cndmask_b32_e64 v18, v18, v19, s[8:9]
	v_bfe_u32 v22, v13, 29, 1
	v_cndmask_b32_e64 v12, v15, v12, s[4:5]
	v_alignbit_b32 v19, v13, v18, 30
	v_sub_u32_e32 v23, 0, v22
	v_cndmask_b32_e64 v12, v14, v12, s[6:7]
	v_xor_b32_e32 v19, v19, v23
	v_alignbit_b32 v14, v17, v12, v21
	v_cndmask_b32_e64 v14, v14, v17, s[8:9]
	v_ffbh_u32_e32 v16, v19
	v_alignbit_b32 v15, v18, v14, 30
	v_min_u32_e32 v16, 32, v16
	v_alignbit_b32 v12, v14, v12, 30
	v_xor_b32_e32 v15, v15, v23
	v_sub_u32_e32 v17, 31, v16
	v_xor_b32_e32 v12, v12, v23
	v_alignbit_b32 v18, v19, v15, v17
	v_alignbit_b32 v12, v15, v12, v17
	;; [unrolled: 1-line block ×3, first 2 shown]
	v_ffbh_u32_e32 v15, v14
	v_min_u32_e32 v15, 32, v15
	v_lshrrev_b32_e32 v20, 29, v13
	v_not_b32_e32 v17, v15
	v_alignbit_b32 v12, v14, v12, v17
	v_lshlrev_b32_e32 v14, 31, v20
	v_or_b32_e32 v17, 0x33000000, v14
	v_add_lshl_u32 v15, v15, v16, 23
	v_lshrrev_b32_e32 v12, 9, v12
	v_sub_u32_e32 v15, v17, v15
	v_or_b32_e32 v14, 0.5, v14
	v_lshlrev_b32_e32 v16, 23, v16
	v_or_b32_e32 v12, v15, v12
	v_lshrrev_b32_e32 v15, 9, v18
	v_sub_u32_e32 v14, v14, v16
	v_or_b32_e32 v14, v15, v14
	s_mov_b32 s4, 0x3fc90fda
	v_mul_f32_e32 v15, 0x3fc90fda, v14
	v_fma_f32 v16, v14, s4, -v15
	v_fmac_f32_e32 v16, 0x33a22168, v14
	v_fmac_f32_e32 v16, 0x3fc90fda, v12
	v_lshrrev_b32_e32 v13, 30, v13
	v_add_f32_e32 v12, v15, v16
	v_add_u32_e32 v13, v22, v13
.LBB27_6:
	s_andn2_saveexec_b64 s[4:5], s[12:13]
	s_cbranch_execz .LBB27_8
; %bb.7:
	s_mov_b32 s6, 0x3f22f983
	v_mul_f32_e64 v12, |v2|, s6
	v_rndne_f32_e32 v14, v12
	s_mov_b32 s6, 0xbfc90fda
	v_cvt_i32_f32_e32 v13, v14
	v_fma_f32 v12, v14, s6, |v2|
	v_fmac_f32_e32 v12, 0xb3a22168, v14
	v_fmac_f32_e32 v12, 0xa7c234c4, v14
.LBB27_8:
	s_or_b64 exec, exec, s[4:5]
	v_lshlrev_b32_e32 v14, 16, v3
	s_brev_b32 s4, 18
	v_and_b32_e32 v15, 0x7fffffff, v14
	v_cmp_nlt_f32_e64 s[4:5], |v14|, s4
                                        ; implicit-def: $vgpr18
                                        ; implicit-def: $vgpr17
	s_and_saveexec_b64 s[6:7], s[4:5]
	s_xor_b64 s[12:13], exec, s[6:7]
	s_cbranch_execz .LBB27_10
; %bb.9:
	v_and_b32_e32 v16, 0x7fffff, v15
	v_or_b32_e32 v25, 0x800000, v16
	s_mov_b32 s4, 0xfe5163ab
	v_mad_u64_u32 v[16:17], s[4:5], v25, s4, 0
	v_mov_b32_e32 v18, 0
	s_mov_b32 s4, 0x3c439041
	v_mad_u64_u32 v[19:20], s[4:5], v25, s4, v[17:18]
	s_mov_b32 s4, 0xdb629599
	v_not_b32_e32 v24, 63
	v_mov_b32_e32 v17, v20
	v_mad_u64_u32 v[20:21], s[4:5], v25, s4, v[17:18]
	s_mov_b32 s4, 0xf534ddc0
	v_not_b32_e32 v27, 31
	v_mov_b32_e32 v17, v21
	v_mad_u64_u32 v[21:22], s[4:5], v25, s4, v[17:18]
	v_lshrrev_b32_e32 v17, 23, v15
	v_add_u32_e32 v26, 0xffffff88, v17
	v_mov_b32_e32 v17, v22
	s_mov_b32 s4, 0xfc2757d1
	v_mad_u64_u32 v[22:23], s[4:5], v25, s4, v[17:18]
	v_cmp_lt_u32_e32 vcc, 63, v26
	v_cndmask_b32_e32 v17, 0, v24, vcc
	v_add_u32_e32 v26, v17, v26
	v_mov_b32_e32 v17, v23
	s_mov_b32 s4, 0x4e441529
	v_mad_u64_u32 v[23:24], s[4:5], v25, s4, v[17:18]
	v_cmp_lt_u32_e64 s[4:5], 31, v26
	v_cndmask_b32_e64 v17, 0, v27, s[4:5]
	v_add_u32_e32 v26, v17, v26
	v_mov_b32_e32 v17, v24
	s_mov_b32 s6, 0xa2f9836e
	v_mad_u64_u32 v[17:18], s[6:7], v25, s6, v[17:18]
	v_cmp_lt_u32_e64 s[6:7], 31, v26
	v_cndmask_b32_e64 v24, 0, v27, s[6:7]
	v_cndmask_b32_e32 v25, v23, v21, vcc
	v_cndmask_b32_e32 v17, v17, v22, vcc
	;; [unrolled: 1-line block ×3, first 2 shown]
	v_add_u32_e32 v24, v24, v26
	v_cndmask_b32_e64 v26, v17, v25, s[4:5]
	v_cndmask_b32_e64 v17, v18, v17, s[4:5]
	v_cndmask_b32_e32 v18, v22, v20, vcc
	v_cndmask_b32_e64 v22, v25, v18, s[4:5]
	v_cndmask_b32_e64 v17, v17, v26, s[6:7]
	;; [unrolled: 1-line block ×3, first 2 shown]
	v_sub_u32_e32 v25, 32, v24
	v_alignbit_b32 v26, v17, v23, v25
	v_cmp_eq_u32_e64 s[8:9], 0, v24
	v_cndmask_b32_e64 v24, v26, v17, s[8:9]
	v_cndmask_b32_e32 v17, v21, v19, vcc
	v_cndmask_b32_e64 v18, v18, v17, s[4:5]
	v_cndmask_b32_e64 v19, v22, v18, s[6:7]
	v_alignbit_b32 v21, v23, v19, v25
	v_cndmask_b32_e32 v16, v20, v16, vcc
	v_cndmask_b32_e64 v21, v21, v23, s[8:9]
	v_bfe_u32 v26, v24, 29, 1
	v_cndmask_b32_e64 v16, v17, v16, s[4:5]
	v_alignbit_b32 v22, v24, v21, 30
	v_sub_u32_e32 v27, 0, v26
	v_cndmask_b32_e64 v16, v18, v16, s[6:7]
	v_xor_b32_e32 v22, v22, v27
	v_alignbit_b32 v17, v19, v16, v25
	v_cndmask_b32_e64 v17, v17, v19, s[8:9]
	v_ffbh_u32_e32 v19, v22
	v_alignbit_b32 v18, v21, v17, 30
	v_min_u32_e32 v19, 32, v19
	v_alignbit_b32 v16, v17, v16, 30
	v_xor_b32_e32 v18, v18, v27
	v_sub_u32_e32 v20, 31, v19
	v_xor_b32_e32 v16, v16, v27
	v_alignbit_b32 v21, v22, v18, v20
	v_alignbit_b32 v16, v18, v16, v20
	;; [unrolled: 1-line block ×3, first 2 shown]
	v_ffbh_u32_e32 v18, v17
	v_min_u32_e32 v18, 32, v18
	v_lshrrev_b32_e32 v23, 29, v24
	v_not_b32_e32 v20, v18
	v_alignbit_b32 v16, v17, v16, v20
	v_lshlrev_b32_e32 v17, 31, v23
	v_or_b32_e32 v20, 0x33000000, v17
	v_add_lshl_u32 v18, v18, v19, 23
	v_lshrrev_b32_e32 v16, 9, v16
	v_sub_u32_e32 v18, v20, v18
	v_or_b32_e32 v17, 0.5, v17
	v_lshlrev_b32_e32 v19, 23, v19
	v_or_b32_e32 v16, v18, v16
	v_lshrrev_b32_e32 v18, 9, v21
	v_sub_u32_e32 v17, v17, v19
	v_or_b32_e32 v17, v18, v17
	s_mov_b32 s4, 0x3fc90fda
	v_mul_f32_e32 v18, 0x3fc90fda, v17
	v_fma_f32 v19, v17, s4, -v18
	v_fmac_f32_e32 v19, 0x33a22168, v17
	v_fmac_f32_e32 v19, 0x3fc90fda, v16
	v_lshrrev_b32_e32 v16, 30, v24
	v_add_f32_e32 v17, v18, v19
	v_add_u32_e32 v18, v26, v16
.LBB27_10:
	s_andn2_saveexec_b64 s[4:5], s[12:13]
	s_cbranch_execz .LBB27_12
; %bb.11:
	s_mov_b32 s6, 0x3f22f983
	v_mul_f32_e64 v16, |v14|, s6
	v_rndne_f32_e32 v16, v16
	s_mov_b32 s6, 0xbfc90fda
	v_cvt_i32_f32_e32 v18, v16
	v_fma_f32 v17, v16, s6, |v14|
	v_fmac_f32_e32 v17, 0xb3a22168, v16
	v_fmac_f32_e32 v17, 0xa7c234c4, v16
.LBB27_12:
	s_or_b64 exec, exec, s[4:5]
	v_and_b32_e32 v3, 0xffff0000, v3
	s_brev_b32 s4, 18
	v_and_b32_e32 v16, 0x7fffffff, v3
	v_cmp_nlt_f32_e64 s[4:5], |v3|, s4
                                        ; implicit-def: $vgpr21
                                        ; implicit-def: $vgpr20
	s_and_saveexec_b64 s[6:7], s[4:5]
	s_xor_b64 s[12:13], exec, s[6:7]
	s_cbranch_execz .LBB27_14
; %bb.13:
	v_and_b32_e32 v19, 0x7fffff, v16
	v_or_b32_e32 v28, 0x800000, v19
	s_mov_b32 s4, 0xfe5163ab
	v_mad_u64_u32 v[19:20], s[4:5], v28, s4, 0
	v_mov_b32_e32 v21, 0
	s_mov_b32 s4, 0x3c439041
	v_mad_u64_u32 v[22:23], s[4:5], v28, s4, v[20:21]
	s_mov_b32 s4, 0xdb629599
	v_not_b32_e32 v27, 63
	v_mov_b32_e32 v20, v23
	v_mad_u64_u32 v[23:24], s[4:5], v28, s4, v[20:21]
	s_mov_b32 s4, 0xf534ddc0
	v_not_b32_e32 v30, 31
	v_mov_b32_e32 v20, v24
	v_mad_u64_u32 v[24:25], s[4:5], v28, s4, v[20:21]
	v_lshrrev_b32_e32 v20, 23, v16
	v_add_u32_e32 v29, 0xffffff88, v20
	v_mov_b32_e32 v20, v25
	s_mov_b32 s4, 0xfc2757d1
	v_mad_u64_u32 v[25:26], s[4:5], v28, s4, v[20:21]
	v_cmp_lt_u32_e32 vcc, 63, v29
	v_cndmask_b32_e32 v20, 0, v27, vcc
	v_add_u32_e32 v29, v20, v29
	v_mov_b32_e32 v20, v26
	s_mov_b32 s4, 0x4e441529
	v_mad_u64_u32 v[26:27], s[4:5], v28, s4, v[20:21]
	v_cmp_lt_u32_e64 s[4:5], 31, v29
	v_cndmask_b32_e64 v20, 0, v30, s[4:5]
	v_add_u32_e32 v29, v20, v29
	v_mov_b32_e32 v20, v27
	s_mov_b32 s6, 0xa2f9836e
	v_mad_u64_u32 v[20:21], s[6:7], v28, s6, v[20:21]
	v_cmp_lt_u32_e64 s[6:7], 31, v29
	v_cndmask_b32_e64 v27, 0, v30, s[6:7]
	v_cndmask_b32_e32 v28, v26, v24, vcc
	v_cndmask_b32_e32 v20, v20, v25, vcc
	;; [unrolled: 1-line block ×3, first 2 shown]
	v_add_u32_e32 v27, v27, v29
	v_cndmask_b32_e64 v29, v20, v28, s[4:5]
	v_cndmask_b32_e64 v20, v21, v20, s[4:5]
	v_cndmask_b32_e32 v21, v25, v23, vcc
	v_cndmask_b32_e64 v25, v28, v21, s[4:5]
	v_cndmask_b32_e64 v20, v20, v29, s[6:7]
	;; [unrolled: 1-line block ×3, first 2 shown]
	v_sub_u32_e32 v28, 32, v27
	v_alignbit_b32 v29, v20, v26, v28
	v_cmp_eq_u32_e64 s[8:9], 0, v27
	v_cndmask_b32_e64 v27, v29, v20, s[8:9]
	v_cndmask_b32_e32 v20, v24, v22, vcc
	v_cndmask_b32_e64 v21, v21, v20, s[4:5]
	v_cndmask_b32_e64 v22, v25, v21, s[6:7]
	v_alignbit_b32 v24, v26, v22, v28
	v_cndmask_b32_e32 v19, v23, v19, vcc
	v_cndmask_b32_e64 v24, v24, v26, s[8:9]
	v_bfe_u32 v29, v27, 29, 1
	v_cndmask_b32_e64 v19, v20, v19, s[4:5]
	v_alignbit_b32 v25, v27, v24, 30
	v_sub_u32_e32 v30, 0, v29
	v_cndmask_b32_e64 v19, v21, v19, s[6:7]
	v_xor_b32_e32 v25, v25, v30
	v_alignbit_b32 v20, v22, v19, v28
	v_cndmask_b32_e64 v20, v20, v22, s[8:9]
	v_ffbh_u32_e32 v22, v25
	v_alignbit_b32 v21, v24, v20, 30
	v_min_u32_e32 v22, 32, v22
	v_alignbit_b32 v19, v20, v19, 30
	v_xor_b32_e32 v21, v21, v30
	v_sub_u32_e32 v23, 31, v22
	v_xor_b32_e32 v19, v19, v30
	v_alignbit_b32 v24, v25, v21, v23
	v_alignbit_b32 v19, v21, v19, v23
	;; [unrolled: 1-line block ×3, first 2 shown]
	v_ffbh_u32_e32 v21, v20
	v_min_u32_e32 v21, 32, v21
	v_lshrrev_b32_e32 v26, 29, v27
	v_not_b32_e32 v23, v21
	v_alignbit_b32 v19, v20, v19, v23
	v_lshlrev_b32_e32 v20, 31, v26
	v_or_b32_e32 v23, 0x33000000, v20
	v_add_lshl_u32 v21, v21, v22, 23
	v_lshrrev_b32_e32 v19, 9, v19
	v_sub_u32_e32 v21, v23, v21
	v_or_b32_e32 v20, 0.5, v20
	v_lshlrev_b32_e32 v22, 23, v22
	v_or_b32_e32 v19, v21, v19
	v_lshrrev_b32_e32 v21, 9, v24
	v_sub_u32_e32 v20, v20, v22
	v_or_b32_e32 v20, v21, v20
	s_mov_b32 s4, 0x3fc90fda
	v_mul_f32_e32 v21, 0x3fc90fda, v20
	v_fma_f32 v22, v20, s4, -v21
	v_fmac_f32_e32 v22, 0x33a22168, v20
	v_fmac_f32_e32 v22, 0x3fc90fda, v19
	v_lshrrev_b32_e32 v19, 30, v27
	v_add_f32_e32 v20, v21, v22
	v_add_u32_e32 v21, v29, v19
.LBB27_14:
	s_andn2_saveexec_b64 s[4:5], s[12:13]
	s_cbranch_execz .LBB27_16
; %bb.15:
	s_mov_b32 s6, 0x3f22f983
	v_mul_f32_e64 v19, |v3|, s6
	v_rndne_f32_e32 v19, v19
	s_mov_b32 s6, 0xbfc90fda
	v_cvt_i32_f32_e32 v21, v19
	v_fma_f32 v20, v19, s6, |v3|
	v_fmac_f32_e32 v20, 0xb3a22168, v19
	v_fmac_f32_e32 v20, 0xa7c234c4, v19
.LBB27_16:
	s_or_b64 exec, exec, s[4:5]
	v_lshlrev_b32_e32 v19, 16, v4
	s_brev_b32 s4, 18
	v_and_b32_e32 v22, 0x7fffffff, v19
	v_cmp_nlt_f32_e64 s[4:5], |v19|, s4
                                        ; implicit-def: $vgpr25
                                        ; implicit-def: $vgpr23
	s_and_saveexec_b64 s[6:7], s[4:5]
	s_xor_b64 s[12:13], exec, s[6:7]
	s_cbranch_execz .LBB27_18
; %bb.17:
	v_and_b32_e32 v23, 0x7fffff, v22
	v_or_b32_e32 v32, 0x800000, v23
	s_mov_b32 s4, 0xfe5163ab
	v_mad_u64_u32 v[23:24], s[4:5], v32, s4, 0
	v_mov_b32_e32 v25, 0
	s_mov_b32 s4, 0x3c439041
	v_mad_u64_u32 v[26:27], s[4:5], v32, s4, v[24:25]
	s_mov_b32 s4, 0xdb629599
	v_not_b32_e32 v31, 63
	v_mov_b32_e32 v24, v27
	v_mad_u64_u32 v[27:28], s[4:5], v32, s4, v[24:25]
	s_mov_b32 s4, 0xf534ddc0
	v_not_b32_e32 v34, 31
	v_mov_b32_e32 v24, v28
	v_mad_u64_u32 v[28:29], s[4:5], v32, s4, v[24:25]
	v_lshrrev_b32_e32 v24, 23, v22
	v_add_u32_e32 v33, 0xffffff88, v24
	v_mov_b32_e32 v24, v29
	s_mov_b32 s4, 0xfc2757d1
	v_mad_u64_u32 v[29:30], s[4:5], v32, s4, v[24:25]
	v_cmp_lt_u32_e32 vcc, 63, v33
	v_cndmask_b32_e32 v24, 0, v31, vcc
	v_add_u32_e32 v33, v24, v33
	v_mov_b32_e32 v24, v30
	s_mov_b32 s4, 0x4e441529
	v_mad_u64_u32 v[30:31], s[4:5], v32, s4, v[24:25]
	v_cmp_lt_u32_e64 s[4:5], 31, v33
	v_cndmask_b32_e64 v24, 0, v34, s[4:5]
	v_add_u32_e32 v33, v24, v33
	v_mov_b32_e32 v24, v31
	s_mov_b32 s6, 0xa2f9836e
	v_mad_u64_u32 v[24:25], s[6:7], v32, s6, v[24:25]
	v_cmp_lt_u32_e64 s[6:7], 31, v33
	v_cndmask_b32_e64 v31, 0, v34, s[6:7]
	v_cndmask_b32_e32 v32, v30, v28, vcc
	v_cndmask_b32_e32 v24, v24, v29, vcc
	;; [unrolled: 1-line block ×3, first 2 shown]
	v_add_u32_e32 v31, v31, v33
	v_cndmask_b32_e64 v33, v24, v32, s[4:5]
	v_cndmask_b32_e64 v24, v25, v24, s[4:5]
	v_cndmask_b32_e32 v25, v29, v27, vcc
	v_cndmask_b32_e64 v29, v32, v25, s[4:5]
	v_cndmask_b32_e32 v26, v28, v26, vcc
	v_cndmask_b32_e64 v24, v24, v33, s[6:7]
	v_cndmask_b32_e64 v30, v33, v29, s[6:7]
	v_sub_u32_e32 v32, 32, v31
	v_cndmask_b32_e64 v25, v25, v26, s[4:5]
	v_alignbit_b32 v33, v24, v30, v32
	v_cmp_eq_u32_e64 s[8:9], 0, v31
	v_cndmask_b32_e64 v28, v29, v25, s[6:7]
	v_cndmask_b32_e64 v24, v33, v24, s[8:9]
	v_alignbit_b32 v29, v30, v28, v32
	v_cndmask_b32_e32 v23, v27, v23, vcc
	v_cndmask_b32_e64 v29, v29, v30, s[8:9]
	v_bfe_u32 v33, v24, 29, 1
	v_cndmask_b32_e64 v23, v26, v23, s[4:5]
	v_alignbit_b32 v30, v24, v29, 30
	v_sub_u32_e32 v34, 0, v33
	v_cndmask_b32_e64 v23, v25, v23, s[6:7]
	v_xor_b32_e32 v30, v30, v34
	v_alignbit_b32 v25, v28, v23, v32
	v_cndmask_b32_e64 v25, v25, v28, s[8:9]
	v_ffbh_u32_e32 v27, v30
	v_alignbit_b32 v26, v29, v25, 30
	v_min_u32_e32 v27, 32, v27
	v_alignbit_b32 v23, v25, v23, 30
	v_xor_b32_e32 v26, v26, v34
	v_sub_u32_e32 v28, 31, v27
	v_xor_b32_e32 v23, v23, v34
	v_alignbit_b32 v29, v30, v26, v28
	v_alignbit_b32 v23, v26, v23, v28
	;; [unrolled: 1-line block ×3, first 2 shown]
	v_ffbh_u32_e32 v26, v25
	v_min_u32_e32 v26, 32, v26
	v_lshrrev_b32_e32 v31, 29, v24
	v_not_b32_e32 v28, v26
	v_alignbit_b32 v23, v25, v23, v28
	v_lshlrev_b32_e32 v25, 31, v31
	v_or_b32_e32 v28, 0x33000000, v25
	v_add_lshl_u32 v26, v26, v27, 23
	v_lshrrev_b32_e32 v23, 9, v23
	v_sub_u32_e32 v26, v28, v26
	v_or_b32_e32 v25, 0.5, v25
	v_lshlrev_b32_e32 v27, 23, v27
	v_or_b32_e32 v23, v26, v23
	v_lshrrev_b32_e32 v26, 9, v29
	v_sub_u32_e32 v25, v25, v27
	v_or_b32_e32 v25, v26, v25
	s_mov_b32 s4, 0x3fc90fda
	v_mul_f32_e32 v26, 0x3fc90fda, v25
	v_fma_f32 v27, v25, s4, -v26
	v_fmac_f32_e32 v27, 0x33a22168, v25
	v_fmac_f32_e32 v27, 0x3fc90fda, v23
	v_lshrrev_b32_e32 v24, 30, v24
	v_add_f32_e32 v23, v26, v27
	v_add_u32_e32 v25, v33, v24
.LBB27_18:
	s_andn2_saveexec_b64 s[4:5], s[12:13]
	s_cbranch_execz .LBB27_20
; %bb.19:
	s_mov_b32 s6, 0x3f22f983
	v_mul_f32_e64 v23, |v19|, s6
	v_rndne_f32_e32 v24, v23
	s_mov_b32 s6, 0xbfc90fda
	v_cvt_i32_f32_e32 v25, v24
	v_fma_f32 v23, v24, s6, |v19|
	v_fmac_f32_e32 v23, 0xb3a22168, v24
	v_fmac_f32_e32 v23, 0xa7c234c4, v24
.LBB27_20:
	s_or_b64 exec, exec, s[4:5]
	v_and_b32_e32 v4, 0xffff0000, v4
	s_brev_b32 s4, 18
	v_and_b32_e32 v24, 0x7fffffff, v4
	v_cmp_nlt_f32_e64 s[4:5], |v4|, s4
                                        ; implicit-def: $vgpr29
                                        ; implicit-def: $vgpr28
	s_and_saveexec_b64 s[6:7], s[4:5]
	s_xor_b64 s[12:13], exec, s[6:7]
	s_cbranch_execz .LBB27_22
; %bb.21:
	v_and_b32_e32 v26, 0x7fffff, v24
	v_or_b32_e32 v35, 0x800000, v26
	s_mov_b32 s4, 0xfe5163ab
	v_mad_u64_u32 v[26:27], s[4:5], v35, s4, 0
	v_mov_b32_e32 v28, 0
	s_mov_b32 s4, 0x3c439041
	v_mad_u64_u32 v[29:30], s[4:5], v35, s4, v[27:28]
	s_mov_b32 s4, 0xdb629599
	v_not_b32_e32 v34, 63
	v_mov_b32_e32 v27, v30
	v_mad_u64_u32 v[30:31], s[4:5], v35, s4, v[27:28]
	s_mov_b32 s4, 0xf534ddc0
	v_not_b32_e32 v37, 31
	v_mov_b32_e32 v27, v31
	v_mad_u64_u32 v[31:32], s[4:5], v35, s4, v[27:28]
	v_lshrrev_b32_e32 v27, 23, v24
	v_add_u32_e32 v36, 0xffffff88, v27
	v_mov_b32_e32 v27, v32
	s_mov_b32 s4, 0xfc2757d1
	v_mad_u64_u32 v[32:33], s[4:5], v35, s4, v[27:28]
	v_cmp_lt_u32_e32 vcc, 63, v36
	v_cndmask_b32_e32 v27, 0, v34, vcc
	v_add_u32_e32 v36, v27, v36
	v_mov_b32_e32 v27, v33
	s_mov_b32 s4, 0x4e441529
	v_mad_u64_u32 v[33:34], s[4:5], v35, s4, v[27:28]
	v_cmp_lt_u32_e64 s[4:5], 31, v36
	v_cndmask_b32_e64 v27, 0, v37, s[4:5]
	v_add_u32_e32 v36, v27, v36
	v_mov_b32_e32 v27, v34
	s_mov_b32 s6, 0xa2f9836e
	v_mad_u64_u32 v[27:28], s[6:7], v35, s6, v[27:28]
	v_cmp_lt_u32_e64 s[6:7], 31, v36
	v_cndmask_b32_e64 v34, 0, v37, s[6:7]
	v_cndmask_b32_e32 v35, v33, v31, vcc
	v_cndmask_b32_e32 v27, v27, v32, vcc
	;; [unrolled: 1-line block ×3, first 2 shown]
	v_add_u32_e32 v34, v34, v36
	v_cndmask_b32_e64 v36, v27, v35, s[4:5]
	v_cndmask_b32_e64 v27, v28, v27, s[4:5]
	v_cndmask_b32_e32 v28, v32, v30, vcc
	v_cndmask_b32_e64 v32, v35, v28, s[4:5]
	v_cndmask_b32_e32 v29, v31, v29, vcc
	v_cndmask_b32_e64 v27, v27, v36, s[6:7]
	v_cndmask_b32_e64 v33, v36, v32, s[6:7]
	v_sub_u32_e32 v35, 32, v34
	v_cndmask_b32_e64 v28, v28, v29, s[4:5]
	v_alignbit_b32 v36, v27, v33, v35
	v_cmp_eq_u32_e64 s[8:9], 0, v34
	v_cndmask_b32_e64 v31, v32, v28, s[6:7]
	v_cndmask_b32_e64 v27, v36, v27, s[8:9]
	v_alignbit_b32 v32, v33, v31, v35
	v_cndmask_b32_e32 v26, v30, v26, vcc
	v_cndmask_b32_e64 v32, v32, v33, s[8:9]
	v_bfe_u32 v36, v27, 29, 1
	v_cndmask_b32_e64 v26, v29, v26, s[4:5]
	v_alignbit_b32 v33, v27, v32, 30
	v_sub_u32_e32 v37, 0, v36
	v_cndmask_b32_e64 v26, v28, v26, s[6:7]
	v_xor_b32_e32 v33, v33, v37
	v_alignbit_b32 v28, v31, v26, v35
	v_cndmask_b32_e64 v28, v28, v31, s[8:9]
	v_ffbh_u32_e32 v30, v33
	v_alignbit_b32 v29, v32, v28, 30
	v_min_u32_e32 v30, 32, v30
	v_alignbit_b32 v26, v28, v26, 30
	v_xor_b32_e32 v29, v29, v37
	v_sub_u32_e32 v31, 31, v30
	v_xor_b32_e32 v26, v26, v37
	v_alignbit_b32 v32, v33, v29, v31
	v_alignbit_b32 v26, v29, v26, v31
	;; [unrolled: 1-line block ×3, first 2 shown]
	v_ffbh_u32_e32 v29, v28
	v_min_u32_e32 v29, 32, v29
	v_lshrrev_b32_e32 v34, 29, v27
	v_not_b32_e32 v31, v29
	v_alignbit_b32 v26, v28, v26, v31
	v_lshlrev_b32_e32 v28, 31, v34
	v_or_b32_e32 v31, 0x33000000, v28
	v_add_lshl_u32 v29, v29, v30, 23
	v_lshrrev_b32_e32 v26, 9, v26
	v_sub_u32_e32 v29, v31, v29
	v_or_b32_e32 v28, 0.5, v28
	v_lshlrev_b32_e32 v30, 23, v30
	v_or_b32_e32 v26, v29, v26
	v_lshrrev_b32_e32 v29, 9, v32
	v_sub_u32_e32 v28, v28, v30
	v_or_b32_e32 v28, v29, v28
	s_mov_b32 s4, 0x3fc90fda
	v_mul_f32_e32 v29, 0x3fc90fda, v28
	v_fma_f32 v30, v28, s4, -v29
	v_fmac_f32_e32 v30, 0x33a22168, v28
	v_fmac_f32_e32 v30, 0x3fc90fda, v26
	v_lshrrev_b32_e32 v26, 30, v27
	v_add_f32_e32 v28, v29, v30
	v_add_u32_e32 v29, v36, v26
.LBB27_22:
	s_andn2_saveexec_b64 s[4:5], s[12:13]
	s_cbranch_execz .LBB27_24
; %bb.23:
	s_mov_b32 s6, 0x3f22f983
	v_mul_f32_e64 v26, |v4|, s6
	v_rndne_f32_e32 v26, v26
	s_mov_b32 s6, 0xbfc90fda
	v_cvt_i32_f32_e32 v29, v26
	v_fma_f32 v28, v26, s6, |v4|
	v_fmac_f32_e32 v28, 0xb3a22168, v26
	v_fmac_f32_e32 v28, 0xa7c234c4, v26
.LBB27_24:
	s_or_b64 exec, exec, s[4:5]
	v_lshlrev_b32_e32 v26, 16, v5
	s_brev_b32 s4, 18
	v_and_b32_e32 v27, 0x7fffffff, v26
	v_cmp_nlt_f32_e64 s[4:5], |v26|, s4
                                        ; implicit-def: $vgpr33
                                        ; implicit-def: $vgpr30
	s_and_saveexec_b64 s[6:7], s[4:5]
	s_xor_b64 s[12:13], exec, s[6:7]
	s_cbranch_execz .LBB27_26
; %bb.25:
	v_and_b32_e32 v30, 0x7fffff, v27
	v_or_b32_e32 v39, 0x800000, v30
	s_mov_b32 s4, 0xfe5163ab
	v_mad_u64_u32 v[30:31], s[4:5], v39, s4, 0
	v_mov_b32_e32 v32, 0
	s_mov_b32 s4, 0x3c439041
	v_mad_u64_u32 v[33:34], s[4:5], v39, s4, v[31:32]
	s_mov_b32 s4, 0xdb629599
	v_not_b32_e32 v38, 63
	v_mov_b32_e32 v31, v34
	v_mad_u64_u32 v[34:35], s[4:5], v39, s4, v[31:32]
	s_mov_b32 s4, 0xf534ddc0
	v_not_b32_e32 v49, 31
	v_mov_b32_e32 v31, v35
	v_mad_u64_u32 v[35:36], s[4:5], v39, s4, v[31:32]
	v_lshrrev_b32_e32 v31, 23, v27
	v_add_u32_e32 v48, 0xffffff88, v31
	v_mov_b32_e32 v31, v36
	s_mov_b32 s4, 0xfc2757d1
	v_mad_u64_u32 v[36:37], s[4:5], v39, s4, v[31:32]
	v_cmp_lt_u32_e32 vcc, 63, v48
	v_cndmask_b32_e32 v31, 0, v38, vcc
	v_add_u32_e32 v48, v31, v48
	v_mov_b32_e32 v31, v37
	s_mov_b32 s4, 0x4e441529
	v_mad_u64_u32 v[37:38], s[4:5], v39, s4, v[31:32]
	v_cmp_lt_u32_e64 s[4:5], 31, v48
	v_cndmask_b32_e64 v31, 0, v49, s[4:5]
	v_add_u32_e32 v48, v31, v48
	v_mov_b32_e32 v31, v38
	s_mov_b32 s6, 0xa2f9836e
	v_mad_u64_u32 v[31:32], s[6:7], v39, s6, v[31:32]
	v_cmp_lt_u32_e64 s[6:7], 31, v48
	v_cndmask_b32_e64 v38, 0, v49, s[6:7]
	v_cndmask_b32_e32 v39, v37, v35, vcc
	v_cndmask_b32_e32 v31, v31, v36, vcc
	;; [unrolled: 1-line block ×3, first 2 shown]
	v_add_u32_e32 v38, v38, v48
	v_cndmask_b32_e64 v48, v31, v39, s[4:5]
	v_cndmask_b32_e64 v31, v32, v31, s[4:5]
	v_cndmask_b32_e32 v32, v36, v34, vcc
	v_cndmask_b32_e64 v36, v39, v32, s[4:5]
	v_cndmask_b32_e32 v33, v35, v33, vcc
	v_cndmask_b32_e64 v31, v31, v48, s[6:7]
	v_cndmask_b32_e64 v37, v48, v36, s[6:7]
	v_sub_u32_e32 v39, 32, v38
	v_cndmask_b32_e64 v32, v32, v33, s[4:5]
	v_alignbit_b32 v48, v31, v37, v39
	v_cmp_eq_u32_e64 s[8:9], 0, v38
	v_cndmask_b32_e64 v35, v36, v32, s[6:7]
	v_cndmask_b32_e64 v31, v48, v31, s[8:9]
	v_alignbit_b32 v36, v37, v35, v39
	v_cndmask_b32_e32 v30, v34, v30, vcc
	v_cndmask_b32_e64 v36, v36, v37, s[8:9]
	v_bfe_u32 v48, v31, 29, 1
	v_cndmask_b32_e64 v30, v33, v30, s[4:5]
	v_alignbit_b32 v37, v31, v36, 30
	v_sub_u32_e32 v49, 0, v48
	v_cndmask_b32_e64 v30, v32, v30, s[6:7]
	v_xor_b32_e32 v37, v37, v49
	v_alignbit_b32 v32, v35, v30, v39
	v_cndmask_b32_e64 v32, v32, v35, s[8:9]
	v_ffbh_u32_e32 v34, v37
	v_alignbit_b32 v33, v36, v32, 30
	v_min_u32_e32 v34, 32, v34
	v_alignbit_b32 v30, v32, v30, 30
	v_xor_b32_e32 v33, v33, v49
	v_sub_u32_e32 v35, 31, v34
	v_xor_b32_e32 v30, v30, v49
	v_alignbit_b32 v36, v37, v33, v35
	v_alignbit_b32 v30, v33, v30, v35
	;; [unrolled: 1-line block ×3, first 2 shown]
	v_ffbh_u32_e32 v33, v32
	v_min_u32_e32 v33, 32, v33
	v_lshrrev_b32_e32 v38, 29, v31
	v_not_b32_e32 v35, v33
	v_alignbit_b32 v30, v32, v30, v35
	v_lshlrev_b32_e32 v32, 31, v38
	v_or_b32_e32 v35, 0x33000000, v32
	v_add_lshl_u32 v33, v33, v34, 23
	v_lshrrev_b32_e32 v30, 9, v30
	v_sub_u32_e32 v33, v35, v33
	v_or_b32_e32 v32, 0.5, v32
	v_lshlrev_b32_e32 v34, 23, v34
	v_or_b32_e32 v30, v33, v30
	v_lshrrev_b32_e32 v33, 9, v36
	v_sub_u32_e32 v32, v32, v34
	v_or_b32_e32 v32, v33, v32
	s_mov_b32 s4, 0x3fc90fda
	v_mul_f32_e32 v33, 0x3fc90fda, v32
	v_fma_f32 v34, v32, s4, -v33
	v_fmac_f32_e32 v34, 0x33a22168, v32
	v_fmac_f32_e32 v34, 0x3fc90fda, v30
	v_lshrrev_b32_e32 v31, 30, v31
	v_add_f32_e32 v30, v33, v34
	v_add_u32_e32 v33, v48, v31
.LBB27_26:
	s_andn2_saveexec_b64 s[4:5], s[12:13]
	s_cbranch_execz .LBB27_28
; %bb.27:
	s_mov_b32 s6, 0x3f22f983
	v_mul_f32_e64 v30, |v26|, s6
	v_rndne_f32_e32 v31, v30
	s_mov_b32 s6, 0xbfc90fda
	v_cvt_i32_f32_e32 v33, v31
	v_fma_f32 v30, v31, s6, |v26|
	v_fmac_f32_e32 v30, 0xb3a22168, v31
	v_fmac_f32_e32 v30, 0xa7c234c4, v31
.LBB27_28:
	s_or_b64 exec, exec, s[4:5]
	v_and_b32_e32 v5, 0xffff0000, v5
	s_brev_b32 s4, 18
	v_and_b32_e32 v31, 0x7fffffff, v5
	v_cmp_nlt_f32_e64 s[4:5], |v5|, s4
                                        ; implicit-def: $vgpr34
                                        ; implicit-def: $vgpr32
	s_and_saveexec_b64 s[6:7], s[4:5]
	s_xor_b64 s[12:13], exec, s[6:7]
	s_cbranch_execz .LBB27_30
; %bb.29:
	v_and_b32_e32 v32, 0x7fffff, v31
	v_or_b32_e32 v32, 0x800000, v32
	s_mov_b32 s4, 0xfe5163ab
	v_mad_u64_u32 v[34:35], s[4:5], v32, s4, 0
	v_mov_b32_e32 v36, 0
	s_mov_b32 s4, 0x3c439041
	v_mad_u64_u32 v[37:38], s[4:5], v32, s4, v[35:36]
	s_mov_b32 s4, 0xdb629599
	v_not_b32_e32 v52, 31
	v_mov_b32_e32 v35, v38
	v_mad_u64_u32 v[38:39], s[4:5], v32, s4, v[35:36]
	s_mov_b32 s4, 0xf534ddc0
	s_mov_b32 s6, 0xa2f9836e
	v_mov_b32_e32 v35, v39
	v_mad_u64_u32 v[48:49], s[4:5], v32, s4, v[35:36]
	v_lshrrev_b32_e32 v35, 23, v31
	v_add_u32_e32 v51, 0xffffff88, v35
	v_mov_b32_e32 v35, v49
	s_mov_b32 s4, 0xfc2757d1
	v_mad_u64_u32 v[49:50], s[4:5], v32, s4, v[35:36]
	v_not_b32_e32 v39, 63
	v_cmp_lt_u32_e32 vcc, 63, v51
	v_cndmask_b32_e32 v35, 0, v39, vcc
	v_add_u32_e32 v39, v35, v51
	v_mov_b32_e32 v35, v50
	s_mov_b32 s4, 0x4e441529
	v_mad_u64_u32 v[50:51], s[4:5], v32, s4, v[35:36]
	v_cmp_lt_u32_e64 s[4:5], 31, v39
	v_cndmask_b32_e64 v35, 0, v52, s[4:5]
	v_add_u32_e32 v39, v35, v39
	v_mov_b32_e32 v35, v51
	v_mad_u64_u32 v[35:36], s[6:7], v32, s6, v[35:36]
	v_cmp_lt_u32_e64 s[6:7], 31, v39
	v_cndmask_b32_e64 v32, 0, v52, s[6:7]
	v_add_u32_e32 v32, v32, v39
	v_cndmask_b32_e32 v39, v50, v48, vcc
	v_cndmask_b32_e32 v35, v35, v49, vcc
	;; [unrolled: 1-line block ×3, first 2 shown]
	v_cndmask_b32_e64 v51, v35, v39, s[4:5]
	v_cndmask_b32_e64 v35, v36, v35, s[4:5]
	v_cndmask_b32_e32 v36, v49, v38, vcc
	v_cndmask_b32_e64 v39, v39, v36, s[4:5]
	v_sub_u32_e32 v50, 32, v32
	v_cmp_eq_u32_e64 s[8:9], 0, v32
	v_cndmask_b32_e32 v32, v48, v37, vcc
	v_cndmask_b32_e64 v35, v35, v51, s[6:7]
	v_cndmask_b32_e64 v49, v51, v39, s[6:7]
	;; [unrolled: 1-line block ×3, first 2 shown]
	v_alignbit_b32 v51, v35, v49, v50
	v_cndmask_b32_e64 v37, v39, v36, s[6:7]
	v_cndmask_b32_e64 v35, v51, v35, s[8:9]
	v_alignbit_b32 v39, v49, v37, v50
	v_cndmask_b32_e32 v34, v38, v34, vcc
	v_cndmask_b32_e64 v39, v39, v49, s[8:9]
	v_bfe_u32 v51, v35, 29, 1
	v_cndmask_b32_e64 v32, v32, v34, s[4:5]
	v_alignbit_b32 v48, v35, v39, 30
	v_sub_u32_e32 v52, 0, v51
	v_cndmask_b32_e64 v32, v36, v32, s[6:7]
	v_xor_b32_e32 v48, v48, v52
	v_alignbit_b32 v34, v37, v32, v50
	v_cndmask_b32_e64 v34, v34, v37, s[8:9]
	v_ffbh_u32_e32 v37, v48
	v_alignbit_b32 v36, v39, v34, 30
	v_min_u32_e32 v37, 32, v37
	v_alignbit_b32 v32, v34, v32, 30
	v_xor_b32_e32 v36, v36, v52
	v_sub_u32_e32 v38, 31, v37
	v_xor_b32_e32 v32, v32, v52
	v_alignbit_b32 v39, v48, v36, v38
	v_alignbit_b32 v32, v36, v32, v38
	;; [unrolled: 1-line block ×3, first 2 shown]
	v_ffbh_u32_e32 v36, v34
	v_min_u32_e32 v36, 32, v36
	v_lshrrev_b32_e32 v49, 29, v35
	v_not_b32_e32 v38, v36
	v_alignbit_b32 v32, v34, v32, v38
	v_lshlrev_b32_e32 v34, 31, v49
	v_or_b32_e32 v38, 0x33000000, v34
	v_add_lshl_u32 v36, v36, v37, 23
	v_lshrrev_b32_e32 v32, 9, v32
	v_sub_u32_e32 v36, v38, v36
	v_or_b32_e32 v34, 0.5, v34
	v_lshlrev_b32_e32 v37, 23, v37
	v_or_b32_e32 v32, v36, v32
	v_lshrrev_b32_e32 v36, 9, v39
	v_sub_u32_e32 v34, v34, v37
	v_or_b32_e32 v34, v36, v34
	s_mov_b32 s4, 0x3fc90fda
	v_mul_f32_e32 v36, 0x3fc90fda, v34
	v_fma_f32 v37, v34, s4, -v36
	v_fmac_f32_e32 v37, 0x33a22168, v34
	v_fmac_f32_e32 v37, 0x3fc90fda, v32
	v_lshrrev_b32_e32 v34, 30, v35
	v_add_f32_e32 v32, v36, v37
	v_add_u32_e32 v34, v51, v34
.LBB27_30:
	s_andn2_saveexec_b64 s[4:5], s[12:13]
	s_cbranch_execz .LBB27_32
; %bb.31:
	s_mov_b32 s6, 0x3f22f983
	v_mul_f32_e64 v32, |v5|, s6
	v_rndne_f32_e32 v35, v32
	s_mov_b32 s6, 0xbfc90fda
	v_cvt_i32_f32_e32 v34, v35
	v_fma_f32 v32, v35, s6, |v5|
	v_fmac_f32_e32 v32, 0xb3a22168, v35
	v_fmac_f32_e32 v32, 0xa7c234c4, v35
.LBB27_32:
	s_or_b64 exec, exec, s[4:5]
	v_mul_f32_e32 v48, v17, v17
	v_mov_b32_e32 v49, 0x3c0881c4
	v_lshlrev_b32_e32 v39, 30, v18
	v_fmac_f32_e32 v49, 0xb94c1982, v48
	v_mov_b32_e32 v51, 0xbe2aaa9d
	v_mov_b32_e32 v50, 0xbab64f3b
	v_and_b32_e32 v39, 0x80000000, v39
	v_fma_f32 v49, v48, v49, v51
	v_fmac_f32_e32 v50, 0x37d75334, v48
	v_xor_b32_e32 v15, v15, v39
	v_mov_b32_e32 v39, 0x3d2aabf7
	v_mul_f32_e32 v49, v48, v49
	v_fmac_f32_e32 v17, v17, v49
	v_mov_b32_e32 v49, 0xbf000004
	v_fma_f32 v50, v48, v50, v39
	v_fma_f32 v50, v48, v50, v49
	v_and_b32_e32 v18, 1, v18
	v_fma_f32 v48, v48, v50, 1.0
	v_cmp_eq_u32_e32 vcc, 0, v18
	v_cndmask_b32_e32 v17, v48, v17, vcc
	s_movk_i32 s12, 0x1f8
	v_xor_b32_e32 v15, v15, v17
	v_xor_b32_e32 v52, v15, v14
	v_cmp_class_f32_e64 vcc, v14, s12
	v_mov_b32_e32 v14, s11
	v_add_co_u32_e64 v0, s[4:5], s10, v0
	v_addc_co_u32_e64 v1, s[4:5], v1, v14, s[4:5]
	v_lshlrev_b32_e32 v53, 30, v13
	v_add_co_u32_e64 v14, s[4:5], v0, v9
	v_lshlrev_b32_e32 v0, 30, v11
	v_and_b32_e32 v9, 0x80000000, v53
	v_and_b32_e32 v0, 0x80000000, v0
	v_xor_b32_e32 v7, v7, v9
	v_mul_f32_e32 v9, v6, v6
	v_xor_b32_e32 v0, v10, v0
	v_mov_b32_e32 v10, 0x3c0881c4
	v_fmac_f32_e32 v10, 0xb94c1982, v9
	v_fma_f32 v10, v9, v10, v51
	v_mul_f32_e32 v10, v9, v10
	v_fmac_f32_e32 v6, v6, v10
	v_mov_b32_e32 v10, 0xbab64f3b
	v_fmac_f32_e32 v10, 0x37d75334, v9
	v_fma_f32 v10, v9, v10, v39
	v_addc_co_u32_e64 v15, s[4:5], 0, v1, s[4:5]
	v_and_b32_e32 v1, 1, v11
	v_fma_f32 v10, v9, v10, v49
	v_fma_f32 v9, v9, v10, 1.0
	v_mul_f32_e32 v10, v12, v12
	v_cmp_eq_u32_e64 s[4:5], 0, v1
	v_mov_b32_e32 v1, 0x3c0881c4
	v_fmac_f32_e32 v1, 0xb94c1982, v10
	v_fma_f32 v1, v10, v1, v51
	v_mul_f32_e32 v1, v10, v1
	v_fmac_f32_e32 v12, v12, v1
	v_mov_b32_e32 v1, 0xbab64f3b
	v_fmac_f32_e32 v1, 0x37d75334, v10
	v_fma_f32 v1, v10, v1, v39
	v_fma_f32 v1, v10, v1, v49
	v_and_b32_e32 v11, 1, v13
	v_fma_f32 v1, v10, v1, 1.0
	v_cmp_eq_u32_e64 s[6:7], 0, v11
	v_cndmask_b32_e64 v6, v9, v6, s[4:5]
	v_cndmask_b32_e64 v1, v1, v12, s[6:7]
	v_xor_b32_e32 v0, v0, v6
	v_mov_b32_e32 v17, 0x7fc00000
	v_xor_b32_e32 v1, v7, v1
	v_xor_b32_e32 v0, v0, v8
	v_cmp_class_f32_e64 s[4:5], v8, s12
	v_xor_b32_e32 v1, v1, v2
	v_cndmask_b32_e64 v0, v17, v0, s[4:5]
	v_cmp_class_f32_e64 s[4:5], v2, s12
	v_mov_b32_e32 v2, 1
	v_lshlrev_b32_e32 v7, 30, v21
	v_cndmask_b32_e64 v1, v17, v1, s[4:5]
	v_and_b32_sdwa v6, v0, v2 dst_sel:DWORD dst_unused:UNUSED_PAD src0_sel:WORD_1 src1_sel:DWORD
	s_movk_i32 s10, 0x7fff
	v_add3_u32 v6, v0, v6, s10
	v_cmp_o_f32_e64 s[4:5], v0, v0
	v_and_b32_sdwa v0, v1, v2 dst_sel:DWORD dst_unused:UNUSED_PAD src0_sel:WORD_1 src1_sel:DWORD
	v_and_b32_e32 v7, 0x80000000, v7
	v_add3_u32 v0, v1, v0, s10
	v_cmp_o_f32_e64 s[6:7], v1, v1
	v_mul_f32_e32 v1, v20, v20
	v_xor_b32_e32 v7, v16, v7
	v_mov_b32_e32 v16, 0x3c0881c4
	v_fmac_f32_e32 v16, 0xb94c1982, v1
	v_fma_f32 v16, v1, v16, v51
	v_mul_f32_e32 v16, v1, v16
	v_fmac_f32_e32 v20, v20, v16
	v_mov_b32_e32 v16, 0xbab64f3b
	v_fmac_f32_e32 v16, 0x37d75334, v1
	v_fma_f32 v16, v1, v16, v39
	v_fma_f32 v16, v1, v16, v49
	v_and_b32_e32 v21, 1, v21
	v_fma_f32 v1, v1, v16, 1.0
	v_cmp_eq_u32_e64 s[8:9], 0, v21
	v_cndmask_b32_e64 v1, v1, v20, s[8:9]
	v_xor_b32_e32 v1, v7, v1
	v_lshlrev_b32_e32 v11, 30, v29
	v_and_b32_e32 v13, 1, v29
	v_mul_f32_e32 v9, v23, v23
	v_mov_b32_e32 v7, 0x3c0881c4
	v_xor_b32_e32 v1, v1, v3
	v_cndmask_b32_e32 v29, v17, v52, vcc
	v_cmp_class_f32_e64 vcc, v3, s12
	v_fmac_f32_e32 v7, 0xb94c1982, v9
	v_cndmask_b32_e32 v1, v17, v1, vcc
	v_and_b32_sdwa v3, v29, v2 dst_sel:DWORD dst_unused:UNUSED_PAD src0_sel:WORD_1 src1_sel:DWORD
	v_mul_f32_e32 v16, v28, v28
	v_mov_b32_e32 v21, 0x3c0881c4
	v_mov_b32_e32 v20, 0xbab64f3b
	v_add3_u32 v3, v29, v3, s10
	v_cmp_o_f32_e32 vcc, v29, v29
	v_and_b32_sdwa v29, v1, v2 dst_sel:DWORD dst_unused:UNUSED_PAD src0_sel:WORD_1 src1_sel:DWORD
	v_fma_f32 v7, v9, v7, v51
	v_lshlrev_b32_e32 v12, 30, v25
	v_mov_b32_e32 v8, 0x7fc0
	v_fmac_f32_e32 v21, 0xb94c1982, v16
	v_fmac_f32_e32 v20, 0x37d75334, v16
	v_lshrrev_b32_e32 v3, 16, v3
	v_add3_u32 v29, v1, v29, s10
	v_cmp_o_f32_e64 s[8:9], v1, v1
	v_mov_b32_e32 v1, 0xbab64f3b
	v_mul_f32_e32 v7, v9, v7
	v_fmac_f32_e32 v1, 0x37d75334, v9
	v_cndmask_b32_e32 v52, v8, v3, vcc
	v_and_b32_e32 v3, 0x80000000, v11
	v_and_b32_e32 v11, 0x80000000, v12
	v_fma_f32 v12, v16, v21, v51
	v_fmac_f32_e32 v23, v23, v7
	v_fma_f32 v7, v16, v20, v39
	v_mul_f32_e32 v12, v16, v12
	v_fma_f32 v1, v9, v1, v39
	v_fma_f32 v7, v16, v7, v49
	v_and_b32_e32 v25, 1, v25
	v_fmac_f32_e32 v28, v28, v12
	v_fma_f32 v1, v9, v1, v49
	v_fma_f32 v7, v16, v7, 1.0
	v_cmp_eq_u32_e32 vcc, 0, v13
	v_fma_f32 v1, v9, v1, 1.0
	v_cndmask_b32_e32 v7, v7, v28, vcc
	v_cmp_eq_u32_e32 vcc, 0, v25
	v_xor_b32_e32 v11, v22, v11
	v_cndmask_b32_e32 v1, v1, v23, vcc
	v_xor_b32_e32 v1, v11, v1
	v_xor_b32_e32 v3, v24, v3
	;; [unrolled: 1-line block ×3, first 2 shown]
	v_cmp_class_f32_e64 vcc, v19, s12
	v_xor_b32_e32 v3, v3, v7
	v_cndmask_b32_e32 v1, v17, v1, vcc
	v_xor_b32_e32 v3, v3, v4
	v_cmp_class_f32_e64 vcc, v4, s12
	v_and_b32_sdwa v7, v1, v2 dst_sel:DWORD dst_unused:UNUSED_PAD src0_sel:WORD_1 src1_sel:DWORD
	v_mul_f32_e32 v38, v30, v30
	v_mov_b32_e32 v18, 0x3c0881c4
	v_cndmask_b32_e32 v3, v17, v3, vcc
	v_add3_u32 v7, v1, v7, s10
	v_mul_f32_e32 v37, v32, v32
	v_mov_b32_e32 v50, 0x3c0881c4
	v_fmac_f32_e32 v18, 0xb94c1982, v38
	v_and_b32_sdwa v4, v3, v2 dst_sel:DWORD dst_unused:UNUSED_PAD src0_sel:WORD_1 src1_sel:DWORD
	v_lshrrev_b32_e32 v7, 16, v7
	v_cmp_o_f32_e32 vcc, v1, v1
	v_mov_b32_e32 v48, 0xbab64f3b
	v_mov_b32_e32 v10, 0xbab64f3b
	v_fmac_f32_e32 v50, 0xb94c1982, v37
	v_add3_u32 v4, v3, v4, s10
	v_cndmask_b32_e32 v1, v8, v7, vcc
	v_cmp_o_f32_e32 vcc, v3, v3
	v_fma_f32 v3, v38, v18, v51
	v_fmac_f32_e32 v10, 0x37d75334, v38
	v_fmac_f32_e32 v48, 0x37d75334, v37
	;; [unrolled: 1-line block ×3, first 2 shown]
	v_mul_f32_e32 v3, v38, v3
	v_mul_f32_e32 v7, v37, v51
	v_fmac_f32_e32 v30, v30, v3
	v_fma_f32 v3, v38, v10, v39
	v_fmac_f32_e32 v39, v37, v48
	v_lshlrev_b32_e32 v35, 30, v34
	v_and_b32_e32 v34, 1, v34
	v_lshrrev_b32_e32 v4, 16, v4
	v_fmac_f32_e32 v32, v32, v7
	v_fma_f32 v7, v37, v39, v49
	v_lshlrev_b32_e32 v36, 30, v33
	v_and_b32_e32 v33, 1, v33
	v_cndmask_b32_e32 v4, v8, v4, vcc
	v_fmac_f32_e32 v49, v38, v3
	v_fma_f32 v7, v37, v7, 1.0
	v_cmp_eq_u32_e32 vcc, 0, v34
	v_fma_f32 v3, v38, v49, 1.0
	v_cndmask_b32_e32 v7, v7, v32, vcc
	v_cmp_eq_u32_e32 vcc, 0, v33
	v_and_b32_e32 v10, 0x80000000, v36
	v_cndmask_b32_e32 v3, v3, v30, vcc
	v_and_b32_e32 v9, 0x80000000, v35
	v_xor_b32_e32 v10, v27, v10
	v_xor_b32_e32 v9, v31, v9
	;; [unrolled: 1-line block ×5, first 2 shown]
	v_cmp_class_f32_e64 vcc, v26, s12
	v_xor_b32_e32 v7, v7, v5
	v_cndmask_b32_e32 v3, v17, v3, vcc
	v_cmp_class_f32_e64 vcc, v5, s12
	v_cndmask_b32_e32 v5, v17, v7, vcc
	v_and_b32_sdwa v7, v5, v2 dst_sel:DWORD dst_unused:UNUSED_PAD src0_sel:WORD_1 src1_sel:DWORD
	v_and_b32_sdwa v2, v3, v2 dst_sel:DWORD dst_unused:UNUSED_PAD src0_sel:WORD_1 src1_sel:DWORD
	v_add3_u32 v2, v3, v2, s10
	v_cmp_o_f32_e32 vcc, v3, v3
	v_lshrrev_b32_e32 v6, 16, v6
	v_lshrrev_b32_e32 v0, 16, v0
	;; [unrolled: 1-line block ×3, first 2 shown]
	v_add3_u32 v7, v5, v7, s10
	v_cndmask_b32_sdwa v2, v8, v2, vcc dst_sel:DWORD dst_unused:UNUSED_PAD src0_sel:DWORD src1_sel:WORD_1
	v_cmp_o_f32_e32 vcc, v5, v5
	v_cndmask_b32_e64 v6, v8, v6, s[4:5]
	v_cndmask_b32_e64 v0, v8, v0, s[6:7]
	;; [unrolled: 1-line block ×3, first 2 shown]
	v_cndmask_b32_sdwa v3, v8, v7, vcc dst_sel:DWORD dst_unused:UNUSED_PAD src0_sel:DWORD src1_sel:WORD_1
	s_mov_b32 s4, 0x5040100
	v_perm_b32 v3, v3, v2, s4
	v_perm_b32 v2, v4, v1, s4
	;; [unrolled: 1-line block ×4, first 2 shown]
	flat_store_dwordx4 v[14:15], v[0:3]
	s_waitcnt vmcnt(0) lgkmcnt(0)
	s_setpc_b64 s[30:31]
.Lfunc_end27:
	.size	_ZN2at6native25elementwise_kernel_helperILb0EZZZNS0_15sin_kernel_cudaERNS_18TensorIteratorBaseEENKUlvE0_clEvENKUlvE2_clEvEUlN3c108BFloat16EE_NS0_6memory8policies10vectorizedILi8ESt5arrayIPcLm2EELi8EEEEEvT0_T1_, .Lfunc_end27-_ZN2at6native25elementwise_kernel_helperILb0EZZZNS0_15sin_kernel_cudaERNS_18TensorIteratorBaseEENKUlvE0_clEvENKUlvE2_clEvEUlN3c108BFloat16EE_NS0_6memory8policies10vectorizedILi8ESt5arrayIPcLm2EELi8EEEEEvT0_T1_
                                        ; -- End function
	.set .L_ZN2at6native25elementwise_kernel_helperILb0EZZZNS0_15sin_kernel_cudaERNS_18TensorIteratorBaseEENKUlvE0_clEvENKUlvE2_clEvEUlN3c108BFloat16EE_NS0_6memory8policies10vectorizedILi8ESt5arrayIPcLm2EELi8EEEEEvT0_T1_.num_vgpr, 54
	.set .L_ZN2at6native25elementwise_kernel_helperILb0EZZZNS0_15sin_kernel_cudaERNS_18TensorIteratorBaseEENKUlvE0_clEvENKUlvE2_clEvEUlN3c108BFloat16EE_NS0_6memory8policies10vectorizedILi8ESt5arrayIPcLm2EELi8EEEEEvT0_T1_.num_agpr, 0
	.set .L_ZN2at6native25elementwise_kernel_helperILb0EZZZNS0_15sin_kernel_cudaERNS_18TensorIteratorBaseEENKUlvE0_clEvENKUlvE2_clEvEUlN3c108BFloat16EE_NS0_6memory8policies10vectorizedILi8ESt5arrayIPcLm2EELi8EEEEEvT0_T1_.numbered_sgpr, 32
	.set .L_ZN2at6native25elementwise_kernel_helperILb0EZZZNS0_15sin_kernel_cudaERNS_18TensorIteratorBaseEENKUlvE0_clEvENKUlvE2_clEvEUlN3c108BFloat16EE_NS0_6memory8policies10vectorizedILi8ESt5arrayIPcLm2EELi8EEEEEvT0_T1_.num_named_barrier, 0
	.set .L_ZN2at6native25elementwise_kernel_helperILb0EZZZNS0_15sin_kernel_cudaERNS_18TensorIteratorBaseEENKUlvE0_clEvENKUlvE2_clEvEUlN3c108BFloat16EE_NS0_6memory8policies10vectorizedILi8ESt5arrayIPcLm2EELi8EEEEEvT0_T1_.private_seg_size, 0
	.set .L_ZN2at6native25elementwise_kernel_helperILb0EZZZNS0_15sin_kernel_cudaERNS_18TensorIteratorBaseEENKUlvE0_clEvENKUlvE2_clEvEUlN3c108BFloat16EE_NS0_6memory8policies10vectorizedILi8ESt5arrayIPcLm2EELi8EEEEEvT0_T1_.uses_vcc, 1
	.set .L_ZN2at6native25elementwise_kernel_helperILb0EZZZNS0_15sin_kernel_cudaERNS_18TensorIteratorBaseEENKUlvE0_clEvENKUlvE2_clEvEUlN3c108BFloat16EE_NS0_6memory8policies10vectorizedILi8ESt5arrayIPcLm2EELi8EEEEEvT0_T1_.uses_flat_scratch, 0
	.set .L_ZN2at6native25elementwise_kernel_helperILb0EZZZNS0_15sin_kernel_cudaERNS_18TensorIteratorBaseEENKUlvE0_clEvENKUlvE2_clEvEUlN3c108BFloat16EE_NS0_6memory8policies10vectorizedILi8ESt5arrayIPcLm2EELi8EEEEEvT0_T1_.has_dyn_sized_stack, 0
	.set .L_ZN2at6native25elementwise_kernel_helperILb0EZZZNS0_15sin_kernel_cudaERNS_18TensorIteratorBaseEENKUlvE0_clEvENKUlvE2_clEvEUlN3c108BFloat16EE_NS0_6memory8policies10vectorizedILi8ESt5arrayIPcLm2EELi8EEEEEvT0_T1_.has_recursion, 0
	.set .L_ZN2at6native25elementwise_kernel_helperILb0EZZZNS0_15sin_kernel_cudaERNS_18TensorIteratorBaseEENKUlvE0_clEvENKUlvE2_clEvEUlN3c108BFloat16EE_NS0_6memory8policies10vectorizedILi8ESt5arrayIPcLm2EELi8EEEEEvT0_T1_.has_indirect_call, 0
	.section	.AMDGPU.csdata,"",@progbits
; Function info:
; codeLenInByte = 7052
; TotalNumSgprs: 36
; NumVgprs: 54
; ScratchSize: 0
; MemoryBound: 0
	.section	.text._ZN2at6native29vectorized_elementwise_kernelILi16EZZZNS0_15sin_kernel_cudaERNS_18TensorIteratorBaseEENKUlvE0_clEvENKUlvE2_clEvEUlN3c108BFloat16EE_St5arrayIPcLm2EEEEviT0_T1_,"axG",@progbits,_ZN2at6native29vectorized_elementwise_kernelILi16EZZZNS0_15sin_kernel_cudaERNS_18TensorIteratorBaseEENKUlvE0_clEvENKUlvE2_clEvEUlN3c108BFloat16EE_St5arrayIPcLm2EEEEviT0_T1_,comdat
	.globl	_ZN2at6native29vectorized_elementwise_kernelILi16EZZZNS0_15sin_kernel_cudaERNS_18TensorIteratorBaseEENKUlvE0_clEvENKUlvE2_clEvEUlN3c108BFloat16EE_St5arrayIPcLm2EEEEviT0_T1_ ; -- Begin function _ZN2at6native29vectorized_elementwise_kernelILi16EZZZNS0_15sin_kernel_cudaERNS_18TensorIteratorBaseEENKUlvE0_clEvENKUlvE2_clEvEUlN3c108BFloat16EE_St5arrayIPcLm2EEEEviT0_T1_
	.p2align	8
	.type	_ZN2at6native29vectorized_elementwise_kernelILi16EZZZNS0_15sin_kernel_cudaERNS_18TensorIteratorBaseEENKUlvE0_clEvENKUlvE2_clEvEUlN3c108BFloat16EE_St5arrayIPcLm2EEEEviT0_T1_,@function
_ZN2at6native29vectorized_elementwise_kernelILi16EZZZNS0_15sin_kernel_cudaERNS_18TensorIteratorBaseEENKUlvE0_clEvENKUlvE2_clEvEUlN3c108BFloat16EE_St5arrayIPcLm2EEEEviT0_T1_: ; @_ZN2at6native29vectorized_elementwise_kernelILi16EZZZNS0_15sin_kernel_cudaERNS_18TensorIteratorBaseEENKUlvE0_clEvENKUlvE2_clEvEUlN3c108BFloat16EE_St5arrayIPcLm2EEEEviT0_T1_
; %bb.0:
	s_mov_b32 s14, s6
	s_load_dword s6, s[4:5], 0x0
	s_load_dwordx4 s[16:19], s[4:5], 0x8
	s_add_u32 s0, s0, s7
	s_addc_u32 s1, s1, 0
	s_lshl_b32 s4, s14, 11
	s_waitcnt lgkmcnt(0)
	s_sub_i32 s15, s6, s4
	v_mov_b32_e32 v40, v0
	s_cmpk_gt_i32 s15, 0x7ff
	s_mov_b64 s[4:5], -1
	s_mov_b32 s32, 0
	s_cbranch_scc1 .LBB28_3
; %bb.1:
	s_andn2_b64 vcc, exec, s[4:5]
	s_cbranch_vccz .LBB28_4
.LBB28_2:
	s_endpgm
.LBB28_3:
	s_getpc_b64 s[4:5]
	s_add_u32 s4, s4, _ZN2at6native25elementwise_kernel_helperILb0EZZZNS0_15sin_kernel_cudaERNS_18TensorIteratorBaseEENKUlvE0_clEvENKUlvE2_clEvEUlN3c108BFloat16EE_NS0_6memory8policies10vectorizedILi8ESt5arrayIPcLm2EELi8EEEEEvT0_T1_@rel32@lo+4
	s_addc_u32 s5, s5, _ZN2at6native25elementwise_kernel_helperILb0EZZZNS0_15sin_kernel_cudaERNS_18TensorIteratorBaseEENKUlvE0_clEvENKUlvE2_clEvEUlN3c108BFloat16EE_NS0_6memory8policies10vectorizedILi8ESt5arrayIPcLm2EELi8EEEEEvT0_T1_@rel32@hi+12
	s_mov_b32 s12, s14
	v_mov_b32_e32 v31, v40
	v_mov_b32_e32 v0, s16
	;; [unrolled: 1-line block ×5, first 2 shown]
	s_swappc_b64 s[30:31], s[4:5]
	s_cbranch_execnz .LBB28_2
.LBB28_4:
	s_getpc_b64 s[4:5]
	s_add_u32 s4, s4, _ZN2at6native25elementwise_kernel_helperILb0EZZZNS0_15sin_kernel_cudaERNS_18TensorIteratorBaseEENKUlvE0_clEvENKUlvE2_clEvEUlN3c108BFloat16EE_NS0_6memory8policies11unroll_baseILi256ESt5arrayIPcLm2EE23TrivialOffsetCalculatorILi1EjESG_NS9_15LoadWithoutCastENS9_16StoreWithoutCastELi8ELi1EEEEEvT0_T1_@rel32@lo+4
	s_addc_u32 s5, s5, _ZN2at6native25elementwise_kernel_helperILb0EZZZNS0_15sin_kernel_cudaERNS_18TensorIteratorBaseEENKUlvE0_clEvENKUlvE2_clEvEUlN3c108BFloat16EE_NS0_6memory8policies11unroll_baseILi256ESt5arrayIPcLm2EE23TrivialOffsetCalculatorILi1EjESG_NS9_15LoadWithoutCastENS9_16StoreWithoutCastELi8ELi1EEEEEvT0_T1_@rel32@hi+12
	s_mov_b32 s12, s14
	v_mov_b32_e32 v31, v40
	v_mov_b32_e32 v0, s16
	;; [unrolled: 1-line block ×6, first 2 shown]
	s_swappc_b64 s[30:31], s[4:5]
	s_endpgm
	.section	.rodata,"a",@progbits
	.p2align	6, 0x0
	.amdhsa_kernel _ZN2at6native29vectorized_elementwise_kernelILi16EZZZNS0_15sin_kernel_cudaERNS_18TensorIteratorBaseEENKUlvE0_clEvENKUlvE2_clEvEUlN3c108BFloat16EE_St5arrayIPcLm2EEEEviT0_T1_
		.amdhsa_group_segment_fixed_size 0
		.amdhsa_private_segment_fixed_size 0
		.amdhsa_kernarg_size 24
		.amdhsa_user_sgpr_count 6
		.amdhsa_user_sgpr_private_segment_buffer 1
		.amdhsa_user_sgpr_dispatch_ptr 0
		.amdhsa_user_sgpr_queue_ptr 0
		.amdhsa_user_sgpr_kernarg_segment_ptr 1
		.amdhsa_user_sgpr_dispatch_id 0
		.amdhsa_user_sgpr_flat_scratch_init 0
		.amdhsa_user_sgpr_private_segment_size 0
		.amdhsa_uses_dynamic_stack 0
		.amdhsa_system_sgpr_private_segment_wavefront_offset 0
		.amdhsa_system_sgpr_workgroup_id_x 1
		.amdhsa_system_sgpr_workgroup_id_y 0
		.amdhsa_system_sgpr_workgroup_id_z 0
		.amdhsa_system_sgpr_workgroup_info 0
		.amdhsa_system_vgpr_workitem_id 0
		.amdhsa_next_free_vgpr 54
		.amdhsa_next_free_sgpr 33
		.amdhsa_reserve_vcc 1
		.amdhsa_reserve_flat_scratch 0
		.amdhsa_float_round_mode_32 0
		.amdhsa_float_round_mode_16_64 0
		.amdhsa_float_denorm_mode_32 3
		.amdhsa_float_denorm_mode_16_64 3
		.amdhsa_dx10_clamp 1
		.amdhsa_ieee_mode 1
		.amdhsa_fp16_overflow 0
		.amdhsa_exception_fp_ieee_invalid_op 0
		.amdhsa_exception_fp_denorm_src 0
		.amdhsa_exception_fp_ieee_div_zero 0
		.amdhsa_exception_fp_ieee_overflow 0
		.amdhsa_exception_fp_ieee_underflow 0
		.amdhsa_exception_fp_ieee_inexact 0
		.amdhsa_exception_int_div_zero 0
	.end_amdhsa_kernel
	.section	.text._ZN2at6native29vectorized_elementwise_kernelILi16EZZZNS0_15sin_kernel_cudaERNS_18TensorIteratorBaseEENKUlvE0_clEvENKUlvE2_clEvEUlN3c108BFloat16EE_St5arrayIPcLm2EEEEviT0_T1_,"axG",@progbits,_ZN2at6native29vectorized_elementwise_kernelILi16EZZZNS0_15sin_kernel_cudaERNS_18TensorIteratorBaseEENKUlvE0_clEvENKUlvE2_clEvEUlN3c108BFloat16EE_St5arrayIPcLm2EEEEviT0_T1_,comdat
.Lfunc_end28:
	.size	_ZN2at6native29vectorized_elementwise_kernelILi16EZZZNS0_15sin_kernel_cudaERNS_18TensorIteratorBaseEENKUlvE0_clEvENKUlvE2_clEvEUlN3c108BFloat16EE_St5arrayIPcLm2EEEEviT0_T1_, .Lfunc_end28-_ZN2at6native29vectorized_elementwise_kernelILi16EZZZNS0_15sin_kernel_cudaERNS_18TensorIteratorBaseEENKUlvE0_clEvENKUlvE2_clEvEUlN3c108BFloat16EE_St5arrayIPcLm2EEEEviT0_T1_
                                        ; -- End function
	.set _ZN2at6native29vectorized_elementwise_kernelILi16EZZZNS0_15sin_kernel_cudaERNS_18TensorIteratorBaseEENKUlvE0_clEvENKUlvE2_clEvEUlN3c108BFloat16EE_St5arrayIPcLm2EEEEviT0_T1_.num_vgpr, max(41, .L_ZN2at6native25elementwise_kernel_helperILb0EZZZNS0_15sin_kernel_cudaERNS_18TensorIteratorBaseEENKUlvE0_clEvENKUlvE2_clEvEUlN3c108BFloat16EE_NS0_6memory8policies10vectorizedILi8ESt5arrayIPcLm2EELi8EEEEEvT0_T1_.num_vgpr, .L_ZN2at6native25elementwise_kernel_helperILb0EZZZNS0_15sin_kernel_cudaERNS_18TensorIteratorBaseEENKUlvE0_clEvENKUlvE2_clEvEUlN3c108BFloat16EE_NS0_6memory8policies11unroll_baseILi256ESt5arrayIPcLm2EE23TrivialOffsetCalculatorILi1EjESG_NS9_15LoadWithoutCastENS9_16StoreWithoutCastELi8ELi1EEEEEvT0_T1_.num_vgpr)
	.set _ZN2at6native29vectorized_elementwise_kernelILi16EZZZNS0_15sin_kernel_cudaERNS_18TensorIteratorBaseEENKUlvE0_clEvENKUlvE2_clEvEUlN3c108BFloat16EE_St5arrayIPcLm2EEEEviT0_T1_.num_agpr, max(0, .L_ZN2at6native25elementwise_kernel_helperILb0EZZZNS0_15sin_kernel_cudaERNS_18TensorIteratorBaseEENKUlvE0_clEvENKUlvE2_clEvEUlN3c108BFloat16EE_NS0_6memory8policies10vectorizedILi8ESt5arrayIPcLm2EELi8EEEEEvT0_T1_.num_agpr, .L_ZN2at6native25elementwise_kernel_helperILb0EZZZNS0_15sin_kernel_cudaERNS_18TensorIteratorBaseEENKUlvE0_clEvENKUlvE2_clEvEUlN3c108BFloat16EE_NS0_6memory8policies11unroll_baseILi256ESt5arrayIPcLm2EE23TrivialOffsetCalculatorILi1EjESG_NS9_15LoadWithoutCastENS9_16StoreWithoutCastELi8ELi1EEEEEvT0_T1_.num_agpr)
	.set _ZN2at6native29vectorized_elementwise_kernelILi16EZZZNS0_15sin_kernel_cudaERNS_18TensorIteratorBaseEENKUlvE0_clEvENKUlvE2_clEvEUlN3c108BFloat16EE_St5arrayIPcLm2EEEEviT0_T1_.numbered_sgpr, max(33, .L_ZN2at6native25elementwise_kernel_helperILb0EZZZNS0_15sin_kernel_cudaERNS_18TensorIteratorBaseEENKUlvE0_clEvENKUlvE2_clEvEUlN3c108BFloat16EE_NS0_6memory8policies10vectorizedILi8ESt5arrayIPcLm2EELi8EEEEEvT0_T1_.numbered_sgpr, .L_ZN2at6native25elementwise_kernel_helperILb0EZZZNS0_15sin_kernel_cudaERNS_18TensorIteratorBaseEENKUlvE0_clEvENKUlvE2_clEvEUlN3c108BFloat16EE_NS0_6memory8policies11unroll_baseILi256ESt5arrayIPcLm2EE23TrivialOffsetCalculatorILi1EjESG_NS9_15LoadWithoutCastENS9_16StoreWithoutCastELi8ELi1EEEEEvT0_T1_.numbered_sgpr)
	.set _ZN2at6native29vectorized_elementwise_kernelILi16EZZZNS0_15sin_kernel_cudaERNS_18TensorIteratorBaseEENKUlvE0_clEvENKUlvE2_clEvEUlN3c108BFloat16EE_St5arrayIPcLm2EEEEviT0_T1_.num_named_barrier, max(0, .L_ZN2at6native25elementwise_kernel_helperILb0EZZZNS0_15sin_kernel_cudaERNS_18TensorIteratorBaseEENKUlvE0_clEvENKUlvE2_clEvEUlN3c108BFloat16EE_NS0_6memory8policies10vectorizedILi8ESt5arrayIPcLm2EELi8EEEEEvT0_T1_.num_named_barrier, .L_ZN2at6native25elementwise_kernel_helperILb0EZZZNS0_15sin_kernel_cudaERNS_18TensorIteratorBaseEENKUlvE0_clEvENKUlvE2_clEvEUlN3c108BFloat16EE_NS0_6memory8policies11unroll_baseILi256ESt5arrayIPcLm2EE23TrivialOffsetCalculatorILi1EjESG_NS9_15LoadWithoutCastENS9_16StoreWithoutCastELi8ELi1EEEEEvT0_T1_.num_named_barrier)
	.set _ZN2at6native29vectorized_elementwise_kernelILi16EZZZNS0_15sin_kernel_cudaERNS_18TensorIteratorBaseEENKUlvE0_clEvENKUlvE2_clEvEUlN3c108BFloat16EE_St5arrayIPcLm2EEEEviT0_T1_.private_seg_size, 0+max(.L_ZN2at6native25elementwise_kernel_helperILb0EZZZNS0_15sin_kernel_cudaERNS_18TensorIteratorBaseEENKUlvE0_clEvENKUlvE2_clEvEUlN3c108BFloat16EE_NS0_6memory8policies10vectorizedILi8ESt5arrayIPcLm2EELi8EEEEEvT0_T1_.private_seg_size, .L_ZN2at6native25elementwise_kernel_helperILb0EZZZNS0_15sin_kernel_cudaERNS_18TensorIteratorBaseEENKUlvE0_clEvENKUlvE2_clEvEUlN3c108BFloat16EE_NS0_6memory8policies11unroll_baseILi256ESt5arrayIPcLm2EE23TrivialOffsetCalculatorILi1EjESG_NS9_15LoadWithoutCastENS9_16StoreWithoutCastELi8ELi1EEEEEvT0_T1_.private_seg_size)
	.set _ZN2at6native29vectorized_elementwise_kernelILi16EZZZNS0_15sin_kernel_cudaERNS_18TensorIteratorBaseEENKUlvE0_clEvENKUlvE2_clEvEUlN3c108BFloat16EE_St5arrayIPcLm2EEEEviT0_T1_.uses_vcc, or(1, .L_ZN2at6native25elementwise_kernel_helperILb0EZZZNS0_15sin_kernel_cudaERNS_18TensorIteratorBaseEENKUlvE0_clEvENKUlvE2_clEvEUlN3c108BFloat16EE_NS0_6memory8policies10vectorizedILi8ESt5arrayIPcLm2EELi8EEEEEvT0_T1_.uses_vcc, .L_ZN2at6native25elementwise_kernel_helperILb0EZZZNS0_15sin_kernel_cudaERNS_18TensorIteratorBaseEENKUlvE0_clEvENKUlvE2_clEvEUlN3c108BFloat16EE_NS0_6memory8policies11unroll_baseILi256ESt5arrayIPcLm2EE23TrivialOffsetCalculatorILi1EjESG_NS9_15LoadWithoutCastENS9_16StoreWithoutCastELi8ELi1EEEEEvT0_T1_.uses_vcc)
	.set _ZN2at6native29vectorized_elementwise_kernelILi16EZZZNS0_15sin_kernel_cudaERNS_18TensorIteratorBaseEENKUlvE0_clEvENKUlvE2_clEvEUlN3c108BFloat16EE_St5arrayIPcLm2EEEEviT0_T1_.uses_flat_scratch, or(0, .L_ZN2at6native25elementwise_kernel_helperILb0EZZZNS0_15sin_kernel_cudaERNS_18TensorIteratorBaseEENKUlvE0_clEvENKUlvE2_clEvEUlN3c108BFloat16EE_NS0_6memory8policies10vectorizedILi8ESt5arrayIPcLm2EELi8EEEEEvT0_T1_.uses_flat_scratch, .L_ZN2at6native25elementwise_kernel_helperILb0EZZZNS0_15sin_kernel_cudaERNS_18TensorIteratorBaseEENKUlvE0_clEvENKUlvE2_clEvEUlN3c108BFloat16EE_NS0_6memory8policies11unroll_baseILi256ESt5arrayIPcLm2EE23TrivialOffsetCalculatorILi1EjESG_NS9_15LoadWithoutCastENS9_16StoreWithoutCastELi8ELi1EEEEEvT0_T1_.uses_flat_scratch)
	.set _ZN2at6native29vectorized_elementwise_kernelILi16EZZZNS0_15sin_kernel_cudaERNS_18TensorIteratorBaseEENKUlvE0_clEvENKUlvE2_clEvEUlN3c108BFloat16EE_St5arrayIPcLm2EEEEviT0_T1_.has_dyn_sized_stack, or(0, .L_ZN2at6native25elementwise_kernel_helperILb0EZZZNS0_15sin_kernel_cudaERNS_18TensorIteratorBaseEENKUlvE0_clEvENKUlvE2_clEvEUlN3c108BFloat16EE_NS0_6memory8policies10vectorizedILi8ESt5arrayIPcLm2EELi8EEEEEvT0_T1_.has_dyn_sized_stack, .L_ZN2at6native25elementwise_kernel_helperILb0EZZZNS0_15sin_kernel_cudaERNS_18TensorIteratorBaseEENKUlvE0_clEvENKUlvE2_clEvEUlN3c108BFloat16EE_NS0_6memory8policies11unroll_baseILi256ESt5arrayIPcLm2EE23TrivialOffsetCalculatorILi1EjESG_NS9_15LoadWithoutCastENS9_16StoreWithoutCastELi8ELi1EEEEEvT0_T1_.has_dyn_sized_stack)
	.set _ZN2at6native29vectorized_elementwise_kernelILi16EZZZNS0_15sin_kernel_cudaERNS_18TensorIteratorBaseEENKUlvE0_clEvENKUlvE2_clEvEUlN3c108BFloat16EE_St5arrayIPcLm2EEEEviT0_T1_.has_recursion, or(0, .L_ZN2at6native25elementwise_kernel_helperILb0EZZZNS0_15sin_kernel_cudaERNS_18TensorIteratorBaseEENKUlvE0_clEvENKUlvE2_clEvEUlN3c108BFloat16EE_NS0_6memory8policies10vectorizedILi8ESt5arrayIPcLm2EELi8EEEEEvT0_T1_.has_recursion, .L_ZN2at6native25elementwise_kernel_helperILb0EZZZNS0_15sin_kernel_cudaERNS_18TensorIteratorBaseEENKUlvE0_clEvENKUlvE2_clEvEUlN3c108BFloat16EE_NS0_6memory8policies11unroll_baseILi256ESt5arrayIPcLm2EE23TrivialOffsetCalculatorILi1EjESG_NS9_15LoadWithoutCastENS9_16StoreWithoutCastELi8ELi1EEEEEvT0_T1_.has_recursion)
	.set _ZN2at6native29vectorized_elementwise_kernelILi16EZZZNS0_15sin_kernel_cudaERNS_18TensorIteratorBaseEENKUlvE0_clEvENKUlvE2_clEvEUlN3c108BFloat16EE_St5arrayIPcLm2EEEEviT0_T1_.has_indirect_call, or(0, .L_ZN2at6native25elementwise_kernel_helperILb0EZZZNS0_15sin_kernel_cudaERNS_18TensorIteratorBaseEENKUlvE0_clEvENKUlvE2_clEvEUlN3c108BFloat16EE_NS0_6memory8policies10vectorizedILi8ESt5arrayIPcLm2EELi8EEEEEvT0_T1_.has_indirect_call, .L_ZN2at6native25elementwise_kernel_helperILb0EZZZNS0_15sin_kernel_cudaERNS_18TensorIteratorBaseEENKUlvE0_clEvENKUlvE2_clEvEUlN3c108BFloat16EE_NS0_6memory8policies11unroll_baseILi256ESt5arrayIPcLm2EE23TrivialOffsetCalculatorILi1EjESG_NS9_15LoadWithoutCastENS9_16StoreWithoutCastELi8ELi1EEEEEvT0_T1_.has_indirect_call)
	.section	.AMDGPU.csdata,"",@progbits
; Kernel info:
; codeLenInByte = 180
; TotalNumSgprs: 37
; NumVgprs: 54
; ScratchSize: 0
; MemoryBound: 0
; FloatMode: 240
; IeeeMode: 1
; LDSByteSize: 0 bytes/workgroup (compile time only)
; SGPRBlocks: 4
; VGPRBlocks: 13
; NumSGPRsForWavesPerEU: 37
; NumVGPRsForWavesPerEU: 54
; Occupancy: 4
; WaveLimiterHint : 0
; COMPUTE_PGM_RSRC2:SCRATCH_EN: 0
; COMPUTE_PGM_RSRC2:USER_SGPR: 6
; COMPUTE_PGM_RSRC2:TRAP_HANDLER: 0
; COMPUTE_PGM_RSRC2:TGID_X_EN: 1
; COMPUTE_PGM_RSRC2:TGID_Y_EN: 0
; COMPUTE_PGM_RSRC2:TGID_Z_EN: 0
; COMPUTE_PGM_RSRC2:TIDIG_COMP_CNT: 0
	.section	.text._ZN2at6native29vectorized_elementwise_kernelILi8EZZZNS0_15sin_kernel_cudaERNS_18TensorIteratorBaseEENKUlvE0_clEvENKUlvE2_clEvEUlN3c108BFloat16EE_St5arrayIPcLm2EEEEviT0_T1_,"axG",@progbits,_ZN2at6native29vectorized_elementwise_kernelILi8EZZZNS0_15sin_kernel_cudaERNS_18TensorIteratorBaseEENKUlvE0_clEvENKUlvE2_clEvEUlN3c108BFloat16EE_St5arrayIPcLm2EEEEviT0_T1_,comdat
	.globl	_ZN2at6native29vectorized_elementwise_kernelILi8EZZZNS0_15sin_kernel_cudaERNS_18TensorIteratorBaseEENKUlvE0_clEvENKUlvE2_clEvEUlN3c108BFloat16EE_St5arrayIPcLm2EEEEviT0_T1_ ; -- Begin function _ZN2at6native29vectorized_elementwise_kernelILi8EZZZNS0_15sin_kernel_cudaERNS_18TensorIteratorBaseEENKUlvE0_clEvENKUlvE2_clEvEUlN3c108BFloat16EE_St5arrayIPcLm2EEEEviT0_T1_
	.p2align	8
	.type	_ZN2at6native29vectorized_elementwise_kernelILi8EZZZNS0_15sin_kernel_cudaERNS_18TensorIteratorBaseEENKUlvE0_clEvENKUlvE2_clEvEUlN3c108BFloat16EE_St5arrayIPcLm2EEEEviT0_T1_,@function
_ZN2at6native29vectorized_elementwise_kernelILi8EZZZNS0_15sin_kernel_cudaERNS_18TensorIteratorBaseEENKUlvE0_clEvENKUlvE2_clEvEUlN3c108BFloat16EE_St5arrayIPcLm2EEEEviT0_T1_: ; @_ZN2at6native29vectorized_elementwise_kernelILi8EZZZNS0_15sin_kernel_cudaERNS_18TensorIteratorBaseEENKUlvE0_clEvENKUlvE2_clEvEUlN3c108BFloat16EE_St5arrayIPcLm2EEEEviT0_T1_
; %bb.0:
	s_mov_b32 s14, s6
	s_load_dword s6, s[4:5], 0x0
	s_load_dwordx4 s[16:19], s[4:5], 0x8
	s_add_u32 s0, s0, s7
	s_addc_u32 s1, s1, 0
	s_lshl_b32 s4, s14, 11
	s_waitcnt lgkmcnt(0)
	s_sub_i32 s15, s6, s4
	v_mov_b32_e32 v40, v0
	s_cmpk_gt_i32 s15, 0x7ff
	s_mov_b64 s[4:5], -1
	s_mov_b32 s32, 0
	s_cbranch_scc1 .LBB29_3
; %bb.1:
	s_andn2_b64 vcc, exec, s[4:5]
	s_cbranch_vccz .LBB29_4
.LBB29_2:
	s_endpgm
.LBB29_3:
	s_getpc_b64 s[4:5]
	s_add_u32 s4, s4, _ZN2at6native25elementwise_kernel_helperILb0EZZZNS0_15sin_kernel_cudaERNS_18TensorIteratorBaseEENKUlvE0_clEvENKUlvE2_clEvEUlN3c108BFloat16EE_NS0_6memory8policies10vectorizedILi8ESt5arrayIPcLm2EELi8EEEEEvT0_T1_@rel32@lo+4
	s_addc_u32 s5, s5, _ZN2at6native25elementwise_kernel_helperILb0EZZZNS0_15sin_kernel_cudaERNS_18TensorIteratorBaseEENKUlvE0_clEvENKUlvE2_clEvEUlN3c108BFloat16EE_NS0_6memory8policies10vectorizedILi8ESt5arrayIPcLm2EELi8EEEEEvT0_T1_@rel32@hi+12
	s_mov_b32 s12, s14
	v_mov_b32_e32 v31, v40
	v_mov_b32_e32 v0, s16
	;; [unrolled: 1-line block ×5, first 2 shown]
	s_swappc_b64 s[30:31], s[4:5]
	s_cbranch_execnz .LBB29_2
.LBB29_4:
	s_getpc_b64 s[4:5]
	s_add_u32 s4, s4, _ZN2at6native25elementwise_kernel_helperILb0EZZZNS0_15sin_kernel_cudaERNS_18TensorIteratorBaseEENKUlvE0_clEvENKUlvE2_clEvEUlN3c108BFloat16EE_NS0_6memory8policies11unroll_baseILi256ESt5arrayIPcLm2EE23TrivialOffsetCalculatorILi1EjESG_NS9_15LoadWithoutCastENS9_16StoreWithoutCastELi8ELi1EEEEEvT0_T1_@rel32@lo+4
	s_addc_u32 s5, s5, _ZN2at6native25elementwise_kernel_helperILb0EZZZNS0_15sin_kernel_cudaERNS_18TensorIteratorBaseEENKUlvE0_clEvENKUlvE2_clEvEUlN3c108BFloat16EE_NS0_6memory8policies11unroll_baseILi256ESt5arrayIPcLm2EE23TrivialOffsetCalculatorILi1EjESG_NS9_15LoadWithoutCastENS9_16StoreWithoutCastELi8ELi1EEEEEvT0_T1_@rel32@hi+12
	s_mov_b32 s12, s14
	v_mov_b32_e32 v31, v40
	v_mov_b32_e32 v0, s16
	;; [unrolled: 1-line block ×6, first 2 shown]
	s_swappc_b64 s[30:31], s[4:5]
	s_endpgm
	.section	.rodata,"a",@progbits
	.p2align	6, 0x0
	.amdhsa_kernel _ZN2at6native29vectorized_elementwise_kernelILi8EZZZNS0_15sin_kernel_cudaERNS_18TensorIteratorBaseEENKUlvE0_clEvENKUlvE2_clEvEUlN3c108BFloat16EE_St5arrayIPcLm2EEEEviT0_T1_
		.amdhsa_group_segment_fixed_size 0
		.amdhsa_private_segment_fixed_size 0
		.amdhsa_kernarg_size 24
		.amdhsa_user_sgpr_count 6
		.amdhsa_user_sgpr_private_segment_buffer 1
		.amdhsa_user_sgpr_dispatch_ptr 0
		.amdhsa_user_sgpr_queue_ptr 0
		.amdhsa_user_sgpr_kernarg_segment_ptr 1
		.amdhsa_user_sgpr_dispatch_id 0
		.amdhsa_user_sgpr_flat_scratch_init 0
		.amdhsa_user_sgpr_private_segment_size 0
		.amdhsa_uses_dynamic_stack 0
		.amdhsa_system_sgpr_private_segment_wavefront_offset 0
		.amdhsa_system_sgpr_workgroup_id_x 1
		.amdhsa_system_sgpr_workgroup_id_y 0
		.amdhsa_system_sgpr_workgroup_id_z 0
		.amdhsa_system_sgpr_workgroup_info 0
		.amdhsa_system_vgpr_workitem_id 0
		.amdhsa_next_free_vgpr 54
		.amdhsa_next_free_sgpr 33
		.amdhsa_reserve_vcc 1
		.amdhsa_reserve_flat_scratch 0
		.amdhsa_float_round_mode_32 0
		.amdhsa_float_round_mode_16_64 0
		.amdhsa_float_denorm_mode_32 3
		.amdhsa_float_denorm_mode_16_64 3
		.amdhsa_dx10_clamp 1
		.amdhsa_ieee_mode 1
		.amdhsa_fp16_overflow 0
		.amdhsa_exception_fp_ieee_invalid_op 0
		.amdhsa_exception_fp_denorm_src 0
		.amdhsa_exception_fp_ieee_div_zero 0
		.amdhsa_exception_fp_ieee_overflow 0
		.amdhsa_exception_fp_ieee_underflow 0
		.amdhsa_exception_fp_ieee_inexact 0
		.amdhsa_exception_int_div_zero 0
	.end_amdhsa_kernel
	.section	.text._ZN2at6native29vectorized_elementwise_kernelILi8EZZZNS0_15sin_kernel_cudaERNS_18TensorIteratorBaseEENKUlvE0_clEvENKUlvE2_clEvEUlN3c108BFloat16EE_St5arrayIPcLm2EEEEviT0_T1_,"axG",@progbits,_ZN2at6native29vectorized_elementwise_kernelILi8EZZZNS0_15sin_kernel_cudaERNS_18TensorIteratorBaseEENKUlvE0_clEvENKUlvE2_clEvEUlN3c108BFloat16EE_St5arrayIPcLm2EEEEviT0_T1_,comdat
.Lfunc_end29:
	.size	_ZN2at6native29vectorized_elementwise_kernelILi8EZZZNS0_15sin_kernel_cudaERNS_18TensorIteratorBaseEENKUlvE0_clEvENKUlvE2_clEvEUlN3c108BFloat16EE_St5arrayIPcLm2EEEEviT0_T1_, .Lfunc_end29-_ZN2at6native29vectorized_elementwise_kernelILi8EZZZNS0_15sin_kernel_cudaERNS_18TensorIteratorBaseEENKUlvE0_clEvENKUlvE2_clEvEUlN3c108BFloat16EE_St5arrayIPcLm2EEEEviT0_T1_
                                        ; -- End function
	.set _ZN2at6native29vectorized_elementwise_kernelILi8EZZZNS0_15sin_kernel_cudaERNS_18TensorIteratorBaseEENKUlvE0_clEvENKUlvE2_clEvEUlN3c108BFloat16EE_St5arrayIPcLm2EEEEviT0_T1_.num_vgpr, max(41, .L_ZN2at6native25elementwise_kernel_helperILb0EZZZNS0_15sin_kernel_cudaERNS_18TensorIteratorBaseEENKUlvE0_clEvENKUlvE2_clEvEUlN3c108BFloat16EE_NS0_6memory8policies10vectorizedILi8ESt5arrayIPcLm2EELi8EEEEEvT0_T1_.num_vgpr, .L_ZN2at6native25elementwise_kernel_helperILb0EZZZNS0_15sin_kernel_cudaERNS_18TensorIteratorBaseEENKUlvE0_clEvENKUlvE2_clEvEUlN3c108BFloat16EE_NS0_6memory8policies11unroll_baseILi256ESt5arrayIPcLm2EE23TrivialOffsetCalculatorILi1EjESG_NS9_15LoadWithoutCastENS9_16StoreWithoutCastELi8ELi1EEEEEvT0_T1_.num_vgpr)
	.set _ZN2at6native29vectorized_elementwise_kernelILi8EZZZNS0_15sin_kernel_cudaERNS_18TensorIteratorBaseEENKUlvE0_clEvENKUlvE2_clEvEUlN3c108BFloat16EE_St5arrayIPcLm2EEEEviT0_T1_.num_agpr, max(0, .L_ZN2at6native25elementwise_kernel_helperILb0EZZZNS0_15sin_kernel_cudaERNS_18TensorIteratorBaseEENKUlvE0_clEvENKUlvE2_clEvEUlN3c108BFloat16EE_NS0_6memory8policies10vectorizedILi8ESt5arrayIPcLm2EELi8EEEEEvT0_T1_.num_agpr, .L_ZN2at6native25elementwise_kernel_helperILb0EZZZNS0_15sin_kernel_cudaERNS_18TensorIteratorBaseEENKUlvE0_clEvENKUlvE2_clEvEUlN3c108BFloat16EE_NS0_6memory8policies11unroll_baseILi256ESt5arrayIPcLm2EE23TrivialOffsetCalculatorILi1EjESG_NS9_15LoadWithoutCastENS9_16StoreWithoutCastELi8ELi1EEEEEvT0_T1_.num_agpr)
	.set _ZN2at6native29vectorized_elementwise_kernelILi8EZZZNS0_15sin_kernel_cudaERNS_18TensorIteratorBaseEENKUlvE0_clEvENKUlvE2_clEvEUlN3c108BFloat16EE_St5arrayIPcLm2EEEEviT0_T1_.numbered_sgpr, max(33, .L_ZN2at6native25elementwise_kernel_helperILb0EZZZNS0_15sin_kernel_cudaERNS_18TensorIteratorBaseEENKUlvE0_clEvENKUlvE2_clEvEUlN3c108BFloat16EE_NS0_6memory8policies10vectorizedILi8ESt5arrayIPcLm2EELi8EEEEEvT0_T1_.numbered_sgpr, .L_ZN2at6native25elementwise_kernel_helperILb0EZZZNS0_15sin_kernel_cudaERNS_18TensorIteratorBaseEENKUlvE0_clEvENKUlvE2_clEvEUlN3c108BFloat16EE_NS0_6memory8policies11unroll_baseILi256ESt5arrayIPcLm2EE23TrivialOffsetCalculatorILi1EjESG_NS9_15LoadWithoutCastENS9_16StoreWithoutCastELi8ELi1EEEEEvT0_T1_.numbered_sgpr)
	.set _ZN2at6native29vectorized_elementwise_kernelILi8EZZZNS0_15sin_kernel_cudaERNS_18TensorIteratorBaseEENKUlvE0_clEvENKUlvE2_clEvEUlN3c108BFloat16EE_St5arrayIPcLm2EEEEviT0_T1_.num_named_barrier, max(0, .L_ZN2at6native25elementwise_kernel_helperILb0EZZZNS0_15sin_kernel_cudaERNS_18TensorIteratorBaseEENKUlvE0_clEvENKUlvE2_clEvEUlN3c108BFloat16EE_NS0_6memory8policies10vectorizedILi8ESt5arrayIPcLm2EELi8EEEEEvT0_T1_.num_named_barrier, .L_ZN2at6native25elementwise_kernel_helperILb0EZZZNS0_15sin_kernel_cudaERNS_18TensorIteratorBaseEENKUlvE0_clEvENKUlvE2_clEvEUlN3c108BFloat16EE_NS0_6memory8policies11unroll_baseILi256ESt5arrayIPcLm2EE23TrivialOffsetCalculatorILi1EjESG_NS9_15LoadWithoutCastENS9_16StoreWithoutCastELi8ELi1EEEEEvT0_T1_.num_named_barrier)
	.set _ZN2at6native29vectorized_elementwise_kernelILi8EZZZNS0_15sin_kernel_cudaERNS_18TensorIteratorBaseEENKUlvE0_clEvENKUlvE2_clEvEUlN3c108BFloat16EE_St5arrayIPcLm2EEEEviT0_T1_.private_seg_size, 0+max(.L_ZN2at6native25elementwise_kernel_helperILb0EZZZNS0_15sin_kernel_cudaERNS_18TensorIteratorBaseEENKUlvE0_clEvENKUlvE2_clEvEUlN3c108BFloat16EE_NS0_6memory8policies10vectorizedILi8ESt5arrayIPcLm2EELi8EEEEEvT0_T1_.private_seg_size, .L_ZN2at6native25elementwise_kernel_helperILb0EZZZNS0_15sin_kernel_cudaERNS_18TensorIteratorBaseEENKUlvE0_clEvENKUlvE2_clEvEUlN3c108BFloat16EE_NS0_6memory8policies11unroll_baseILi256ESt5arrayIPcLm2EE23TrivialOffsetCalculatorILi1EjESG_NS9_15LoadWithoutCastENS9_16StoreWithoutCastELi8ELi1EEEEEvT0_T1_.private_seg_size)
	.set _ZN2at6native29vectorized_elementwise_kernelILi8EZZZNS0_15sin_kernel_cudaERNS_18TensorIteratorBaseEENKUlvE0_clEvENKUlvE2_clEvEUlN3c108BFloat16EE_St5arrayIPcLm2EEEEviT0_T1_.uses_vcc, or(1, .L_ZN2at6native25elementwise_kernel_helperILb0EZZZNS0_15sin_kernel_cudaERNS_18TensorIteratorBaseEENKUlvE0_clEvENKUlvE2_clEvEUlN3c108BFloat16EE_NS0_6memory8policies10vectorizedILi8ESt5arrayIPcLm2EELi8EEEEEvT0_T1_.uses_vcc, .L_ZN2at6native25elementwise_kernel_helperILb0EZZZNS0_15sin_kernel_cudaERNS_18TensorIteratorBaseEENKUlvE0_clEvENKUlvE2_clEvEUlN3c108BFloat16EE_NS0_6memory8policies11unroll_baseILi256ESt5arrayIPcLm2EE23TrivialOffsetCalculatorILi1EjESG_NS9_15LoadWithoutCastENS9_16StoreWithoutCastELi8ELi1EEEEEvT0_T1_.uses_vcc)
	.set _ZN2at6native29vectorized_elementwise_kernelILi8EZZZNS0_15sin_kernel_cudaERNS_18TensorIteratorBaseEENKUlvE0_clEvENKUlvE2_clEvEUlN3c108BFloat16EE_St5arrayIPcLm2EEEEviT0_T1_.uses_flat_scratch, or(0, .L_ZN2at6native25elementwise_kernel_helperILb0EZZZNS0_15sin_kernel_cudaERNS_18TensorIteratorBaseEENKUlvE0_clEvENKUlvE2_clEvEUlN3c108BFloat16EE_NS0_6memory8policies10vectorizedILi8ESt5arrayIPcLm2EELi8EEEEEvT0_T1_.uses_flat_scratch, .L_ZN2at6native25elementwise_kernel_helperILb0EZZZNS0_15sin_kernel_cudaERNS_18TensorIteratorBaseEENKUlvE0_clEvENKUlvE2_clEvEUlN3c108BFloat16EE_NS0_6memory8policies11unroll_baseILi256ESt5arrayIPcLm2EE23TrivialOffsetCalculatorILi1EjESG_NS9_15LoadWithoutCastENS9_16StoreWithoutCastELi8ELi1EEEEEvT0_T1_.uses_flat_scratch)
	.set _ZN2at6native29vectorized_elementwise_kernelILi8EZZZNS0_15sin_kernel_cudaERNS_18TensorIteratorBaseEENKUlvE0_clEvENKUlvE2_clEvEUlN3c108BFloat16EE_St5arrayIPcLm2EEEEviT0_T1_.has_dyn_sized_stack, or(0, .L_ZN2at6native25elementwise_kernel_helperILb0EZZZNS0_15sin_kernel_cudaERNS_18TensorIteratorBaseEENKUlvE0_clEvENKUlvE2_clEvEUlN3c108BFloat16EE_NS0_6memory8policies10vectorizedILi8ESt5arrayIPcLm2EELi8EEEEEvT0_T1_.has_dyn_sized_stack, .L_ZN2at6native25elementwise_kernel_helperILb0EZZZNS0_15sin_kernel_cudaERNS_18TensorIteratorBaseEENKUlvE0_clEvENKUlvE2_clEvEUlN3c108BFloat16EE_NS0_6memory8policies11unroll_baseILi256ESt5arrayIPcLm2EE23TrivialOffsetCalculatorILi1EjESG_NS9_15LoadWithoutCastENS9_16StoreWithoutCastELi8ELi1EEEEEvT0_T1_.has_dyn_sized_stack)
	.set _ZN2at6native29vectorized_elementwise_kernelILi8EZZZNS0_15sin_kernel_cudaERNS_18TensorIteratorBaseEENKUlvE0_clEvENKUlvE2_clEvEUlN3c108BFloat16EE_St5arrayIPcLm2EEEEviT0_T1_.has_recursion, or(0, .L_ZN2at6native25elementwise_kernel_helperILb0EZZZNS0_15sin_kernel_cudaERNS_18TensorIteratorBaseEENKUlvE0_clEvENKUlvE2_clEvEUlN3c108BFloat16EE_NS0_6memory8policies10vectorizedILi8ESt5arrayIPcLm2EELi8EEEEEvT0_T1_.has_recursion, .L_ZN2at6native25elementwise_kernel_helperILb0EZZZNS0_15sin_kernel_cudaERNS_18TensorIteratorBaseEENKUlvE0_clEvENKUlvE2_clEvEUlN3c108BFloat16EE_NS0_6memory8policies11unroll_baseILi256ESt5arrayIPcLm2EE23TrivialOffsetCalculatorILi1EjESG_NS9_15LoadWithoutCastENS9_16StoreWithoutCastELi8ELi1EEEEEvT0_T1_.has_recursion)
	.set _ZN2at6native29vectorized_elementwise_kernelILi8EZZZNS0_15sin_kernel_cudaERNS_18TensorIteratorBaseEENKUlvE0_clEvENKUlvE2_clEvEUlN3c108BFloat16EE_St5arrayIPcLm2EEEEviT0_T1_.has_indirect_call, or(0, .L_ZN2at6native25elementwise_kernel_helperILb0EZZZNS0_15sin_kernel_cudaERNS_18TensorIteratorBaseEENKUlvE0_clEvENKUlvE2_clEvEUlN3c108BFloat16EE_NS0_6memory8policies10vectorizedILi8ESt5arrayIPcLm2EELi8EEEEEvT0_T1_.has_indirect_call, .L_ZN2at6native25elementwise_kernel_helperILb0EZZZNS0_15sin_kernel_cudaERNS_18TensorIteratorBaseEENKUlvE0_clEvENKUlvE2_clEvEUlN3c108BFloat16EE_NS0_6memory8policies11unroll_baseILi256ESt5arrayIPcLm2EE23TrivialOffsetCalculatorILi1EjESG_NS9_15LoadWithoutCastENS9_16StoreWithoutCastELi8ELi1EEEEEvT0_T1_.has_indirect_call)
	.section	.AMDGPU.csdata,"",@progbits
; Kernel info:
; codeLenInByte = 180
; TotalNumSgprs: 37
; NumVgprs: 54
; ScratchSize: 0
; MemoryBound: 0
; FloatMode: 240
; IeeeMode: 1
; LDSByteSize: 0 bytes/workgroup (compile time only)
; SGPRBlocks: 4
; VGPRBlocks: 13
; NumSGPRsForWavesPerEU: 37
; NumVGPRsForWavesPerEU: 54
; Occupancy: 4
; WaveLimiterHint : 0
; COMPUTE_PGM_RSRC2:SCRATCH_EN: 0
; COMPUTE_PGM_RSRC2:USER_SGPR: 6
; COMPUTE_PGM_RSRC2:TRAP_HANDLER: 0
; COMPUTE_PGM_RSRC2:TGID_X_EN: 1
; COMPUTE_PGM_RSRC2:TGID_Y_EN: 0
; COMPUTE_PGM_RSRC2:TGID_Z_EN: 0
; COMPUTE_PGM_RSRC2:TIDIG_COMP_CNT: 0
	.section	.text._ZN2at6native29vectorized_elementwise_kernelILi4EZZZNS0_15sin_kernel_cudaERNS_18TensorIteratorBaseEENKUlvE0_clEvENKUlvE2_clEvEUlN3c108BFloat16EE_St5arrayIPcLm2EEEEviT0_T1_,"axG",@progbits,_ZN2at6native29vectorized_elementwise_kernelILi4EZZZNS0_15sin_kernel_cudaERNS_18TensorIteratorBaseEENKUlvE0_clEvENKUlvE2_clEvEUlN3c108BFloat16EE_St5arrayIPcLm2EEEEviT0_T1_,comdat
	.globl	_ZN2at6native29vectorized_elementwise_kernelILi4EZZZNS0_15sin_kernel_cudaERNS_18TensorIteratorBaseEENKUlvE0_clEvENKUlvE2_clEvEUlN3c108BFloat16EE_St5arrayIPcLm2EEEEviT0_T1_ ; -- Begin function _ZN2at6native29vectorized_elementwise_kernelILi4EZZZNS0_15sin_kernel_cudaERNS_18TensorIteratorBaseEENKUlvE0_clEvENKUlvE2_clEvEUlN3c108BFloat16EE_St5arrayIPcLm2EEEEviT0_T1_
	.p2align	8
	.type	_ZN2at6native29vectorized_elementwise_kernelILi4EZZZNS0_15sin_kernel_cudaERNS_18TensorIteratorBaseEENKUlvE0_clEvENKUlvE2_clEvEUlN3c108BFloat16EE_St5arrayIPcLm2EEEEviT0_T1_,@function
_ZN2at6native29vectorized_elementwise_kernelILi4EZZZNS0_15sin_kernel_cudaERNS_18TensorIteratorBaseEENKUlvE0_clEvENKUlvE2_clEvEUlN3c108BFloat16EE_St5arrayIPcLm2EEEEviT0_T1_: ; @_ZN2at6native29vectorized_elementwise_kernelILi4EZZZNS0_15sin_kernel_cudaERNS_18TensorIteratorBaseEENKUlvE0_clEvENKUlvE2_clEvEUlN3c108BFloat16EE_St5arrayIPcLm2EEEEviT0_T1_
; %bb.0:
	s_add_u32 s0, s0, s7
	s_load_dword s7, s[4:5], 0x0
	s_load_dwordx4 s[16:19], s[4:5], 0x8
	s_addc_u32 s1, s1, 0
	s_lshl_b32 s4, s6, 11
	s_mov_b64 s[8:9], -1
	s_waitcnt lgkmcnt(0)
	s_sub_i32 s7, s7, s4
	s_cmpk_gt_i32 s7, 0x7ff
	s_mov_b32 s32, 0
	s_cbranch_scc1 .LBB30_3
; %bb.1:
	s_and_b64 vcc, exec, s[8:9]
	s_cbranch_vccnz .LBB30_36
.LBB30_2:
	s_endpgm
.LBB30_3:
	s_ashr_i32 s5, s4, 31
	s_lshl_b64 s[12:13], s[4:5], 1
	s_add_u32 s4, s18, s12
	s_addc_u32 s5, s19, s13
	v_lshlrev_b32_e32 v7, 3, v0
	global_load_dwordx2 v[3:4], v7, s[4:5]
	global_load_dwordx2 v[1:2], v7, s[4:5] offset:2048
	s_brev_b32 s4, 18
	v_mov_b32_e32 v6, 0
                                        ; implicit-def: $vgpr10
                                        ; implicit-def: $vgpr5
	s_waitcnt vmcnt(1)
	v_lshlrev_b32_e32 v8, 16, v3
	v_and_b32_e32 v9, 0x7fffffff, v8
	v_cmp_nlt_f32_e64 s[4:5], |v8|, s4
	s_and_saveexec_b64 s[8:9], s[4:5]
	s_xor_b64 s[14:15], exec, s[8:9]
	s_cbranch_execz .LBB30_5
; %bb.4:
	v_and_b32_e32 v5, 0x7fffff, v9
	v_or_b32_e32 v17, 0x800000, v5
	s_mov_b32 s4, 0xfe5163ab
	v_mad_u64_u32 v[10:11], s[4:5], v17, s4, 0
	s_mov_b32 s4, 0x3c439041
	v_lshrrev_b32_e32 v15, 23, v9
	v_mov_b32_e32 v5, v11
	v_mad_u64_u32 v[11:12], s[4:5], v17, s4, v[5:6]
	s_mov_b32 s4, 0xdb629599
	v_add_u32_e32 v18, 0xffffff88, v15
	v_mov_b32_e32 v5, v12
	v_mad_u64_u32 v[12:13], s[4:5], v17, s4, v[5:6]
	s_mov_b32 s4, 0xf534ddc0
	v_not_b32_e32 v16, 63
	v_mov_b32_e32 v5, v13
	v_mad_u64_u32 v[13:14], s[4:5], v17, s4, v[5:6]
	s_mov_b32 s4, 0xfc2757d1
	v_cmp_lt_u32_e32 vcc, 63, v18
	v_mov_b32_e32 v5, v14
	v_mad_u64_u32 v[14:15], s[4:5], v17, s4, v[5:6]
	v_cndmask_b32_e32 v5, 0, v16, vcc
	v_add_u32_e32 v18, v5, v18
	v_mov_b32_e32 v5, v15
	s_mov_b32 s4, 0x4e441529
	v_mad_u64_u32 v[15:16], s[4:5], v17, s4, v[5:6]
	v_not_b32_e32 v19, 31
	v_cmp_lt_u32_e64 s[4:5], 31, v18
	v_cndmask_b32_e64 v5, 0, v19, s[4:5]
	v_add_u32_e32 v18, v5, v18
	v_mov_b32_e32 v5, v16
	s_mov_b32 s8, 0xa2f9836e
	v_mad_u64_u32 v[5:6], s[8:9], v17, s8, v[5:6]
	v_cmp_lt_u32_e64 s[8:9], 31, v18
	v_cndmask_b32_e64 v16, 0, v19, s[8:9]
	v_cndmask_b32_e32 v17, v15, v13, vcc
	v_cndmask_b32_e32 v5, v5, v14, vcc
	;; [unrolled: 1-line block ×3, first 2 shown]
	v_add_u32_e32 v16, v16, v18
	v_cndmask_b32_e64 v18, v5, v17, s[4:5]
	v_cndmask_b32_e64 v5, v6, v5, s[4:5]
	v_cndmask_b32_e32 v6, v14, v12, vcc
	v_cndmask_b32_e64 v14, v17, v6, s[4:5]
	v_cndmask_b32_e64 v5, v5, v18, s[8:9]
	;; [unrolled: 1-line block ×3, first 2 shown]
	v_sub_u32_e32 v17, 32, v16
	v_alignbit_b32 v18, v5, v15, v17
	v_cmp_eq_u32_e64 s[10:11], 0, v16
	v_cndmask_b32_e64 v16, v18, v5, s[10:11]
	v_cndmask_b32_e32 v5, v13, v11, vcc
	v_cndmask_b32_e64 v6, v6, v5, s[4:5]
	v_cndmask_b32_e64 v11, v14, v6, s[8:9]
	v_alignbit_b32 v13, v15, v11, v17
	v_cndmask_b32_e32 v10, v12, v10, vcc
	v_cndmask_b32_e64 v13, v13, v15, s[10:11]
	v_bfe_u32 v18, v16, 29, 1
	v_cndmask_b32_e64 v5, v5, v10, s[4:5]
	v_alignbit_b32 v14, v16, v13, 30
	v_sub_u32_e32 v19, 0, v18
	v_cndmask_b32_e64 v5, v6, v5, s[8:9]
	v_xor_b32_e32 v14, v14, v19
	v_alignbit_b32 v6, v11, v5, v17
	v_cndmask_b32_e64 v6, v6, v11, s[10:11]
	v_ffbh_u32_e32 v11, v14
	v_alignbit_b32 v10, v13, v6, 30
	v_min_u32_e32 v11, 32, v11
	v_alignbit_b32 v5, v6, v5, 30
	v_xor_b32_e32 v10, v10, v19
	v_sub_u32_e32 v12, 31, v11
	v_xor_b32_e32 v5, v5, v19
	v_alignbit_b32 v13, v14, v10, v12
	v_alignbit_b32 v5, v10, v5, v12
	;; [unrolled: 1-line block ×3, first 2 shown]
	v_ffbh_u32_e32 v10, v6
	v_min_u32_e32 v10, 32, v10
	v_lshrrev_b32_e32 v15, 29, v16
	v_not_b32_e32 v12, v10
	v_alignbit_b32 v5, v6, v5, v12
	v_lshlrev_b32_e32 v6, 31, v15
	v_or_b32_e32 v12, 0x33000000, v6
	v_add_lshl_u32 v10, v10, v11, 23
	v_lshrrev_b32_e32 v5, 9, v5
	v_sub_u32_e32 v10, v12, v10
	v_or_b32_e32 v6, 0.5, v6
	v_lshlrev_b32_e32 v11, 23, v11
	v_or_b32_e32 v5, v10, v5
	v_lshrrev_b32_e32 v10, 9, v13
	v_sub_u32_e32 v6, v6, v11
	v_or_b32_e32 v6, v10, v6
	s_mov_b32 s4, 0x3fc90fda
	v_mul_f32_e32 v10, 0x3fc90fda, v6
	v_fma_f32 v11, v6, s4, -v10
	v_fmac_f32_e32 v11, 0x33a22168, v6
	v_fmac_f32_e32 v11, 0x3fc90fda, v5
	v_lshrrev_b32_e32 v6, 30, v16
	v_add_f32_e32 v5, v10, v11
	v_add_u32_e32 v10, v18, v6
.LBB30_5:
	s_andn2_saveexec_b64 s[4:5], s[14:15]
	s_cbranch_execz .LBB30_7
; %bb.6:
	s_mov_b32 s8, 0x3f22f983
	v_mul_f32_e64 v5, |v8|, s8
	v_rndne_f32_e32 v6, v5
	s_mov_b32 s8, 0xbfc90fda
	v_cvt_i32_f32_e32 v10, v6
	v_fma_f32 v5, v6, s8, |v8|
	v_fmac_f32_e32 v5, 0xb3a22168, v6
	v_fmac_f32_e32 v5, 0xa7c234c4, v6
.LBB30_7:
	s_or_b64 exec, exec, s[4:5]
	v_and_b32_e32 v3, 0xffff0000, v3
	s_brev_b32 s4, 18
	v_and_b32_e32 v6, 0x7fffffff, v3
	v_cmp_nlt_f32_e64 s[4:5], |v3|, s4
                                        ; implicit-def: $vgpr14
                                        ; implicit-def: $vgpr11
	s_and_saveexec_b64 s[8:9], s[4:5]
	s_xor_b64 s[14:15], exec, s[8:9]
	s_cbranch_execz .LBB30_9
; %bb.8:
	v_and_b32_e32 v11, 0x7fffff, v6
	v_or_b32_e32 v20, 0x800000, v11
	s_mov_b32 s4, 0xfe5163ab
	v_mad_u64_u32 v[11:12], s[4:5], v20, s4, 0
	v_mov_b32_e32 v13, 0
	s_mov_b32 s4, 0x3c439041
	v_mad_u64_u32 v[14:15], s[4:5], v20, s4, v[12:13]
	s_mov_b32 s4, 0xdb629599
	v_not_b32_e32 v19, 63
	v_mov_b32_e32 v12, v15
	v_mad_u64_u32 v[15:16], s[4:5], v20, s4, v[12:13]
	s_mov_b32 s4, 0xf534ddc0
	v_not_b32_e32 v22, 31
	v_mov_b32_e32 v12, v16
	v_mad_u64_u32 v[16:17], s[4:5], v20, s4, v[12:13]
	v_lshrrev_b32_e32 v12, 23, v6
	v_add_u32_e32 v21, 0xffffff88, v12
	v_mov_b32_e32 v12, v17
	s_mov_b32 s4, 0xfc2757d1
	v_mad_u64_u32 v[17:18], s[4:5], v20, s4, v[12:13]
	v_cmp_lt_u32_e32 vcc, 63, v21
	v_cndmask_b32_e32 v12, 0, v19, vcc
	v_add_u32_e32 v21, v12, v21
	v_mov_b32_e32 v12, v18
	s_mov_b32 s4, 0x4e441529
	v_mad_u64_u32 v[18:19], s[4:5], v20, s4, v[12:13]
	v_cmp_lt_u32_e64 s[4:5], 31, v21
	v_cndmask_b32_e64 v12, 0, v22, s[4:5]
	v_add_u32_e32 v21, v12, v21
	v_mov_b32_e32 v12, v19
	s_mov_b32 s8, 0xa2f9836e
	v_mad_u64_u32 v[12:13], s[8:9], v20, s8, v[12:13]
	v_cmp_lt_u32_e64 s[8:9], 31, v21
	v_cndmask_b32_e64 v19, 0, v22, s[8:9]
	v_cndmask_b32_e32 v20, v18, v16, vcc
	v_cndmask_b32_e32 v12, v12, v17, vcc
	;; [unrolled: 1-line block ×3, first 2 shown]
	v_add_u32_e32 v19, v19, v21
	v_cndmask_b32_e64 v21, v12, v20, s[4:5]
	v_cndmask_b32_e64 v12, v13, v12, s[4:5]
	v_cndmask_b32_e32 v13, v17, v15, vcc
	v_cndmask_b32_e64 v17, v20, v13, s[4:5]
	v_cndmask_b32_e32 v14, v16, v14, vcc
	v_cndmask_b32_e64 v12, v12, v21, s[8:9]
	v_cndmask_b32_e64 v18, v21, v17, s[8:9]
	v_sub_u32_e32 v20, 32, v19
	v_cndmask_b32_e64 v13, v13, v14, s[4:5]
	v_alignbit_b32 v21, v12, v18, v20
	v_cmp_eq_u32_e64 s[10:11], 0, v19
	v_cndmask_b32_e64 v16, v17, v13, s[8:9]
	v_cndmask_b32_e64 v12, v21, v12, s[10:11]
	v_alignbit_b32 v17, v18, v16, v20
	v_cndmask_b32_e32 v11, v15, v11, vcc
	v_cndmask_b32_e64 v17, v17, v18, s[10:11]
	v_bfe_u32 v21, v12, 29, 1
	v_cndmask_b32_e64 v11, v14, v11, s[4:5]
	v_alignbit_b32 v18, v12, v17, 30
	v_sub_u32_e32 v22, 0, v21
	v_cndmask_b32_e64 v11, v13, v11, s[8:9]
	v_xor_b32_e32 v18, v18, v22
	v_alignbit_b32 v13, v16, v11, v20
	v_cndmask_b32_e64 v13, v13, v16, s[10:11]
	v_ffbh_u32_e32 v15, v18
	v_alignbit_b32 v14, v17, v13, 30
	v_min_u32_e32 v15, 32, v15
	v_alignbit_b32 v11, v13, v11, 30
	v_xor_b32_e32 v14, v14, v22
	v_sub_u32_e32 v16, 31, v15
	v_xor_b32_e32 v11, v11, v22
	v_alignbit_b32 v17, v18, v14, v16
	v_alignbit_b32 v11, v14, v11, v16
	;; [unrolled: 1-line block ×3, first 2 shown]
	v_ffbh_u32_e32 v14, v13
	v_min_u32_e32 v14, 32, v14
	v_lshrrev_b32_e32 v19, 29, v12
	v_not_b32_e32 v16, v14
	v_alignbit_b32 v11, v13, v11, v16
	v_lshlrev_b32_e32 v13, 31, v19
	v_or_b32_e32 v16, 0x33000000, v13
	v_add_lshl_u32 v14, v14, v15, 23
	v_lshrrev_b32_e32 v11, 9, v11
	v_sub_u32_e32 v14, v16, v14
	v_or_b32_e32 v13, 0.5, v13
	v_lshlrev_b32_e32 v15, 23, v15
	v_or_b32_e32 v11, v14, v11
	v_lshrrev_b32_e32 v14, 9, v17
	v_sub_u32_e32 v13, v13, v15
	v_or_b32_e32 v13, v14, v13
	s_mov_b32 s4, 0x3fc90fda
	v_mul_f32_e32 v14, 0x3fc90fda, v13
	v_fma_f32 v15, v13, s4, -v14
	v_fmac_f32_e32 v15, 0x33a22168, v13
	v_fmac_f32_e32 v15, 0x3fc90fda, v11
	v_lshrrev_b32_e32 v12, 30, v12
	v_add_f32_e32 v11, v14, v15
	v_add_u32_e32 v14, v21, v12
.LBB30_9:
	s_andn2_saveexec_b64 s[4:5], s[14:15]
	s_cbranch_execz .LBB30_11
; %bb.10:
	s_mov_b32 s8, 0x3f22f983
	v_mul_f32_e64 v11, |v3|, s8
	v_rndne_f32_e32 v12, v11
	s_mov_b32 s8, 0xbfc90fda
	v_cvt_i32_f32_e32 v14, v12
	v_fma_f32 v11, v12, s8, |v3|
	v_fmac_f32_e32 v11, 0xb3a22168, v12
	v_fmac_f32_e32 v11, 0xa7c234c4, v12
.LBB30_11:
	s_or_b64 exec, exec, s[4:5]
	v_lshlrev_b32_e32 v12, 16, v4
	s_brev_b32 s4, 18
	v_and_b32_e32 v13, 0x7fffffff, v12
	v_cmp_nlt_f32_e64 s[4:5], |v12|, s4
                                        ; implicit-def: $vgpr17
                                        ; implicit-def: $vgpr15
	s_and_saveexec_b64 s[8:9], s[4:5]
	s_xor_b64 s[14:15], exec, s[8:9]
	s_cbranch_execz .LBB30_13
; %bb.12:
	v_and_b32_e32 v15, 0x7fffff, v13
	v_or_b32_e32 v24, 0x800000, v15
	s_mov_b32 s4, 0xfe5163ab
	v_mad_u64_u32 v[15:16], s[4:5], v24, s4, 0
	v_mov_b32_e32 v17, 0
	s_mov_b32 s4, 0x3c439041
	v_mad_u64_u32 v[18:19], s[4:5], v24, s4, v[16:17]
	s_mov_b32 s4, 0xdb629599
	v_not_b32_e32 v23, 63
	v_mov_b32_e32 v16, v19
	v_mad_u64_u32 v[19:20], s[4:5], v24, s4, v[16:17]
	s_mov_b32 s4, 0xf534ddc0
	v_not_b32_e32 v26, 31
	v_mov_b32_e32 v16, v20
	v_mad_u64_u32 v[20:21], s[4:5], v24, s4, v[16:17]
	v_lshrrev_b32_e32 v16, 23, v13
	v_add_u32_e32 v25, 0xffffff88, v16
	v_mov_b32_e32 v16, v21
	s_mov_b32 s4, 0xfc2757d1
	v_mad_u64_u32 v[21:22], s[4:5], v24, s4, v[16:17]
	v_cmp_lt_u32_e32 vcc, 63, v25
	v_cndmask_b32_e32 v16, 0, v23, vcc
	v_add_u32_e32 v25, v16, v25
	v_mov_b32_e32 v16, v22
	s_mov_b32 s4, 0x4e441529
	v_mad_u64_u32 v[22:23], s[4:5], v24, s4, v[16:17]
	v_cmp_lt_u32_e64 s[4:5], 31, v25
	v_cndmask_b32_e64 v16, 0, v26, s[4:5]
	v_add_u32_e32 v25, v16, v25
	v_mov_b32_e32 v16, v23
	s_mov_b32 s8, 0xa2f9836e
	v_mad_u64_u32 v[16:17], s[8:9], v24, s8, v[16:17]
	v_cmp_lt_u32_e64 s[8:9], 31, v25
	v_cndmask_b32_e64 v23, 0, v26, s[8:9]
	v_cndmask_b32_e32 v24, v22, v20, vcc
	v_cndmask_b32_e32 v16, v16, v21, vcc
	;; [unrolled: 1-line block ×3, first 2 shown]
	v_add_u32_e32 v23, v23, v25
	v_cndmask_b32_e64 v25, v16, v24, s[4:5]
	v_cndmask_b32_e64 v16, v17, v16, s[4:5]
	v_cndmask_b32_e32 v17, v21, v19, vcc
	v_cndmask_b32_e64 v21, v24, v17, s[4:5]
	v_cndmask_b32_e32 v18, v20, v18, vcc
	v_cndmask_b32_e64 v16, v16, v25, s[8:9]
	v_cndmask_b32_e64 v22, v25, v21, s[8:9]
	v_sub_u32_e32 v24, 32, v23
	v_cndmask_b32_e64 v17, v17, v18, s[4:5]
	v_alignbit_b32 v25, v16, v22, v24
	v_cmp_eq_u32_e64 s[10:11], 0, v23
	v_cndmask_b32_e64 v20, v21, v17, s[8:9]
	v_cndmask_b32_e64 v16, v25, v16, s[10:11]
	v_alignbit_b32 v21, v22, v20, v24
	v_cndmask_b32_e32 v15, v19, v15, vcc
	v_cndmask_b32_e64 v21, v21, v22, s[10:11]
	v_bfe_u32 v25, v16, 29, 1
	v_cndmask_b32_e64 v15, v18, v15, s[4:5]
	v_alignbit_b32 v22, v16, v21, 30
	v_sub_u32_e32 v26, 0, v25
	v_cndmask_b32_e64 v15, v17, v15, s[8:9]
	v_xor_b32_e32 v22, v22, v26
	v_alignbit_b32 v17, v20, v15, v24
	v_cndmask_b32_e64 v17, v17, v20, s[10:11]
	v_ffbh_u32_e32 v19, v22
	v_alignbit_b32 v18, v21, v17, 30
	v_min_u32_e32 v19, 32, v19
	v_alignbit_b32 v15, v17, v15, 30
	v_xor_b32_e32 v18, v18, v26
	v_sub_u32_e32 v20, 31, v19
	v_xor_b32_e32 v15, v15, v26
	v_alignbit_b32 v21, v22, v18, v20
	v_alignbit_b32 v15, v18, v15, v20
	;; [unrolled: 1-line block ×3, first 2 shown]
	v_ffbh_u32_e32 v18, v17
	v_min_u32_e32 v18, 32, v18
	v_lshrrev_b32_e32 v23, 29, v16
	v_not_b32_e32 v20, v18
	v_alignbit_b32 v15, v17, v15, v20
	v_lshlrev_b32_e32 v17, 31, v23
	v_or_b32_e32 v20, 0x33000000, v17
	v_add_lshl_u32 v18, v18, v19, 23
	v_lshrrev_b32_e32 v15, 9, v15
	v_sub_u32_e32 v18, v20, v18
	v_or_b32_e32 v17, 0.5, v17
	v_lshlrev_b32_e32 v19, 23, v19
	v_or_b32_e32 v15, v18, v15
	v_lshrrev_b32_e32 v18, 9, v21
	v_sub_u32_e32 v17, v17, v19
	v_or_b32_e32 v17, v18, v17
	s_mov_b32 s4, 0x3fc90fda
	v_mul_f32_e32 v18, 0x3fc90fda, v17
	v_fma_f32 v19, v17, s4, -v18
	v_fmac_f32_e32 v19, 0x33a22168, v17
	v_fmac_f32_e32 v19, 0x3fc90fda, v15
	v_lshrrev_b32_e32 v16, 30, v16
	v_add_f32_e32 v15, v18, v19
	v_add_u32_e32 v17, v25, v16
.LBB30_13:
	s_andn2_saveexec_b64 s[4:5], s[14:15]
	s_cbranch_execz .LBB30_15
; %bb.14:
	s_mov_b32 s8, 0x3f22f983
	v_mul_f32_e64 v15, |v12|, s8
	v_rndne_f32_e32 v16, v15
	s_mov_b32 s8, 0xbfc90fda
	v_cvt_i32_f32_e32 v17, v16
	v_fma_f32 v15, v16, s8, |v12|
	v_fmac_f32_e32 v15, 0xb3a22168, v16
	v_fmac_f32_e32 v15, 0xa7c234c4, v16
.LBB30_15:
	s_or_b64 exec, exec, s[4:5]
	v_and_b32_e32 v4, 0xffff0000, v4
	s_brev_b32 s4, 18
	v_and_b32_e32 v16, 0x7fffffff, v4
	v_cmp_nlt_f32_e64 s[4:5], |v4|, s4
                                        ; implicit-def: $vgpr19
                                        ; implicit-def: $vgpr18
	s_and_saveexec_b64 s[8:9], s[4:5]
	s_xor_b64 s[14:15], exec, s[8:9]
	s_cbranch_execz .LBB30_17
; %bb.16:
	v_and_b32_e32 v18, 0x7fffff, v16
	v_or_b32_e32 v27, 0x800000, v18
	s_mov_b32 s4, 0xfe5163ab
	v_mad_u64_u32 v[18:19], s[4:5], v27, s4, 0
	v_mov_b32_e32 v20, 0
	s_mov_b32 s4, 0x3c439041
	v_mad_u64_u32 v[21:22], s[4:5], v27, s4, v[19:20]
	s_mov_b32 s4, 0xdb629599
	v_not_b32_e32 v26, 63
	v_mov_b32_e32 v19, v22
	v_mad_u64_u32 v[22:23], s[4:5], v27, s4, v[19:20]
	s_mov_b32 s4, 0xf534ddc0
	v_not_b32_e32 v29, 31
	v_mov_b32_e32 v19, v23
	v_mad_u64_u32 v[23:24], s[4:5], v27, s4, v[19:20]
	v_lshrrev_b32_e32 v19, 23, v16
	v_add_u32_e32 v28, 0xffffff88, v19
	v_mov_b32_e32 v19, v24
	s_mov_b32 s4, 0xfc2757d1
	v_mad_u64_u32 v[24:25], s[4:5], v27, s4, v[19:20]
	v_cmp_lt_u32_e32 vcc, 63, v28
	v_cndmask_b32_e32 v19, 0, v26, vcc
	v_add_u32_e32 v28, v19, v28
	v_mov_b32_e32 v19, v25
	s_mov_b32 s4, 0x4e441529
	v_mad_u64_u32 v[25:26], s[4:5], v27, s4, v[19:20]
	v_cmp_lt_u32_e64 s[4:5], 31, v28
	v_cndmask_b32_e64 v19, 0, v29, s[4:5]
	v_add_u32_e32 v28, v19, v28
	v_mov_b32_e32 v19, v26
	s_mov_b32 s8, 0xa2f9836e
	v_mad_u64_u32 v[19:20], s[8:9], v27, s8, v[19:20]
	v_cmp_lt_u32_e64 s[8:9], 31, v28
	v_cndmask_b32_e64 v26, 0, v29, s[8:9]
	v_cndmask_b32_e32 v27, v25, v23, vcc
	v_cndmask_b32_e32 v19, v19, v24, vcc
	v_cndmask_b32_e32 v20, v20, v25, vcc
	v_add_u32_e32 v26, v26, v28
	v_cndmask_b32_e64 v28, v19, v27, s[4:5]
	v_cndmask_b32_e64 v19, v20, v19, s[4:5]
	v_cndmask_b32_e32 v20, v24, v22, vcc
	v_cndmask_b32_e64 v24, v27, v20, s[4:5]
	v_cndmask_b32_e32 v21, v23, v21, vcc
	v_cndmask_b32_e64 v19, v19, v28, s[8:9]
	v_cndmask_b32_e64 v25, v28, v24, s[8:9]
	v_sub_u32_e32 v27, 32, v26
	v_cndmask_b32_e64 v20, v20, v21, s[4:5]
	v_alignbit_b32 v28, v19, v25, v27
	v_cmp_eq_u32_e64 s[10:11], 0, v26
	v_cndmask_b32_e64 v23, v24, v20, s[8:9]
	v_cndmask_b32_e64 v19, v28, v19, s[10:11]
	v_alignbit_b32 v24, v25, v23, v27
	v_cndmask_b32_e32 v18, v22, v18, vcc
	v_cndmask_b32_e64 v24, v24, v25, s[10:11]
	v_bfe_u32 v28, v19, 29, 1
	v_cndmask_b32_e64 v18, v21, v18, s[4:5]
	v_alignbit_b32 v25, v19, v24, 30
	v_sub_u32_e32 v29, 0, v28
	v_cndmask_b32_e64 v18, v20, v18, s[8:9]
	v_xor_b32_e32 v25, v25, v29
	v_alignbit_b32 v20, v23, v18, v27
	v_cndmask_b32_e64 v20, v20, v23, s[10:11]
	v_ffbh_u32_e32 v22, v25
	v_alignbit_b32 v21, v24, v20, 30
	v_min_u32_e32 v22, 32, v22
	v_alignbit_b32 v18, v20, v18, 30
	v_xor_b32_e32 v21, v21, v29
	v_sub_u32_e32 v23, 31, v22
	v_xor_b32_e32 v18, v18, v29
	v_alignbit_b32 v24, v25, v21, v23
	v_alignbit_b32 v18, v21, v18, v23
	;; [unrolled: 1-line block ×3, first 2 shown]
	v_ffbh_u32_e32 v21, v20
	v_min_u32_e32 v21, 32, v21
	v_lshrrev_b32_e32 v26, 29, v19
	v_not_b32_e32 v23, v21
	v_alignbit_b32 v18, v20, v18, v23
	v_lshlrev_b32_e32 v20, 31, v26
	v_or_b32_e32 v23, 0x33000000, v20
	v_add_lshl_u32 v21, v21, v22, 23
	v_lshrrev_b32_e32 v18, 9, v18
	v_sub_u32_e32 v21, v23, v21
	v_or_b32_e32 v20, 0.5, v20
	v_lshlrev_b32_e32 v22, 23, v22
	v_or_b32_e32 v18, v21, v18
	v_lshrrev_b32_e32 v21, 9, v24
	v_sub_u32_e32 v20, v20, v22
	v_or_b32_e32 v20, v21, v20
	s_mov_b32 s4, 0x3fc90fda
	v_mul_f32_e32 v21, 0x3fc90fda, v20
	v_fma_f32 v22, v20, s4, -v21
	v_fmac_f32_e32 v22, 0x33a22168, v20
	v_fmac_f32_e32 v22, 0x3fc90fda, v18
	v_lshrrev_b32_e32 v19, 30, v19
	v_add_f32_e32 v18, v21, v22
	v_add_u32_e32 v19, v28, v19
.LBB30_17:
	s_andn2_saveexec_b64 s[4:5], s[14:15]
	s_cbranch_execz .LBB30_19
; %bb.18:
	s_mov_b32 s8, 0x3f22f983
	v_mul_f32_e64 v18, |v4|, s8
	v_rndne_f32_e32 v20, v18
	s_mov_b32 s8, 0xbfc90fda
	v_cvt_i32_f32_e32 v19, v20
	v_fma_f32 v18, v20, s8, |v4|
	v_fmac_f32_e32 v18, 0xb3a22168, v20
	v_fmac_f32_e32 v18, 0xa7c234c4, v20
.LBB30_19:
	s_or_b64 exec, exec, s[4:5]
	s_waitcnt vmcnt(0)
	v_lshlrev_b32_e32 v20, 16, v1
	s_brev_b32 s4, 18
	v_and_b32_e32 v21, 0x7fffffff, v20
	v_cmp_nlt_f32_e64 s[4:5], |v20|, s4
                                        ; implicit-def: $vgpr24
                                        ; implicit-def: $vgpr22
	s_and_saveexec_b64 s[8:9], s[4:5]
	s_xor_b64 s[14:15], exec, s[8:9]
	s_cbranch_execz .LBB30_21
; %bb.20:
	v_and_b32_e32 v22, 0x7fffff, v21
	v_or_b32_e32 v31, 0x800000, v22
	s_mov_b32 s4, 0xfe5163ab
	v_mad_u64_u32 v[22:23], s[4:5], v31, s4, 0
	v_mov_b32_e32 v24, 0
	s_mov_b32 s4, 0x3c439041
	v_mad_u64_u32 v[25:26], s[4:5], v31, s4, v[23:24]
	s_mov_b32 s4, 0xdb629599
	v_not_b32_e32 v30, 63
	v_mov_b32_e32 v23, v26
	v_mad_u64_u32 v[26:27], s[4:5], v31, s4, v[23:24]
	s_mov_b32 s4, 0xf534ddc0
	v_not_b32_e32 v33, 31
	v_mov_b32_e32 v23, v27
	v_mad_u64_u32 v[27:28], s[4:5], v31, s4, v[23:24]
	v_lshrrev_b32_e32 v23, 23, v21
	v_add_u32_e32 v32, 0xffffff88, v23
	v_mov_b32_e32 v23, v28
	s_mov_b32 s4, 0xfc2757d1
	v_mad_u64_u32 v[28:29], s[4:5], v31, s4, v[23:24]
	v_cmp_lt_u32_e32 vcc, 63, v32
	v_cndmask_b32_e32 v23, 0, v30, vcc
	v_add_u32_e32 v32, v23, v32
	v_mov_b32_e32 v23, v29
	s_mov_b32 s4, 0x4e441529
	v_mad_u64_u32 v[29:30], s[4:5], v31, s4, v[23:24]
	v_cmp_lt_u32_e64 s[4:5], 31, v32
	v_cndmask_b32_e64 v23, 0, v33, s[4:5]
	v_add_u32_e32 v32, v23, v32
	v_mov_b32_e32 v23, v30
	s_mov_b32 s8, 0xa2f9836e
	v_mad_u64_u32 v[23:24], s[8:9], v31, s8, v[23:24]
	v_cmp_lt_u32_e64 s[8:9], 31, v32
	v_cndmask_b32_e64 v30, 0, v33, s[8:9]
	v_cndmask_b32_e32 v31, v29, v27, vcc
	v_cndmask_b32_e32 v23, v23, v28, vcc
	;; [unrolled: 1-line block ×3, first 2 shown]
	v_add_u32_e32 v30, v30, v32
	v_cndmask_b32_e64 v32, v23, v31, s[4:5]
	v_cndmask_b32_e64 v23, v24, v23, s[4:5]
	v_cndmask_b32_e32 v24, v28, v26, vcc
	v_cndmask_b32_e64 v28, v31, v24, s[4:5]
	v_cndmask_b32_e32 v25, v27, v25, vcc
	v_cndmask_b32_e64 v23, v23, v32, s[8:9]
	v_cndmask_b32_e64 v29, v32, v28, s[8:9]
	v_sub_u32_e32 v31, 32, v30
	v_cndmask_b32_e64 v24, v24, v25, s[4:5]
	v_alignbit_b32 v32, v23, v29, v31
	v_cmp_eq_u32_e64 s[10:11], 0, v30
	v_cndmask_b32_e64 v27, v28, v24, s[8:9]
	v_cndmask_b32_e64 v23, v32, v23, s[10:11]
	v_alignbit_b32 v28, v29, v27, v31
	v_cndmask_b32_e32 v22, v26, v22, vcc
	v_cndmask_b32_e64 v28, v28, v29, s[10:11]
	v_bfe_u32 v32, v23, 29, 1
	v_cndmask_b32_e64 v22, v25, v22, s[4:5]
	v_alignbit_b32 v29, v23, v28, 30
	v_sub_u32_e32 v33, 0, v32
	v_cndmask_b32_e64 v22, v24, v22, s[8:9]
	v_xor_b32_e32 v29, v29, v33
	v_alignbit_b32 v24, v27, v22, v31
	v_cndmask_b32_e64 v24, v24, v27, s[10:11]
	v_ffbh_u32_e32 v26, v29
	v_alignbit_b32 v25, v28, v24, 30
	v_min_u32_e32 v26, 32, v26
	v_alignbit_b32 v22, v24, v22, 30
	v_xor_b32_e32 v25, v25, v33
	v_sub_u32_e32 v27, 31, v26
	v_xor_b32_e32 v22, v22, v33
	v_alignbit_b32 v28, v29, v25, v27
	v_alignbit_b32 v22, v25, v22, v27
	;; [unrolled: 1-line block ×3, first 2 shown]
	v_ffbh_u32_e32 v25, v24
	v_min_u32_e32 v25, 32, v25
	v_lshrrev_b32_e32 v30, 29, v23
	v_not_b32_e32 v27, v25
	v_alignbit_b32 v22, v24, v22, v27
	v_lshlrev_b32_e32 v24, 31, v30
	v_or_b32_e32 v27, 0x33000000, v24
	v_add_lshl_u32 v25, v25, v26, 23
	v_lshrrev_b32_e32 v22, 9, v22
	v_sub_u32_e32 v25, v27, v25
	v_or_b32_e32 v24, 0.5, v24
	v_lshlrev_b32_e32 v26, 23, v26
	v_or_b32_e32 v22, v25, v22
	v_lshrrev_b32_e32 v25, 9, v28
	v_sub_u32_e32 v24, v24, v26
	v_or_b32_e32 v24, v25, v24
	s_mov_b32 s4, 0x3fc90fda
	v_mul_f32_e32 v25, 0x3fc90fda, v24
	v_fma_f32 v26, v24, s4, -v25
	v_fmac_f32_e32 v26, 0x33a22168, v24
	v_fmac_f32_e32 v26, 0x3fc90fda, v22
	v_lshrrev_b32_e32 v23, 30, v23
	v_add_f32_e32 v22, v25, v26
	v_add_u32_e32 v24, v32, v23
.LBB30_21:
	s_andn2_saveexec_b64 s[4:5], s[14:15]
	s_cbranch_execz .LBB30_23
; %bb.22:
	s_mov_b32 s8, 0x3f22f983
	v_mul_f32_e64 v22, |v20|, s8
	v_rndne_f32_e32 v23, v22
	s_mov_b32 s8, 0xbfc90fda
	v_cvt_i32_f32_e32 v24, v23
	v_fma_f32 v22, v23, s8, |v20|
	v_fmac_f32_e32 v22, 0xb3a22168, v23
	v_fmac_f32_e32 v22, 0xa7c234c4, v23
.LBB30_23:
	s_or_b64 exec, exec, s[4:5]
	v_and_b32_e32 v1, 0xffff0000, v1
	s_brev_b32 s4, 18
	v_and_b32_e32 v23, 0x7fffffff, v1
	v_cmp_nlt_f32_e64 s[4:5], |v1|, s4
                                        ; implicit-def: $vgpr28
                                        ; implicit-def: $vgpr25
	s_and_saveexec_b64 s[8:9], s[4:5]
	s_xor_b64 s[14:15], exec, s[8:9]
	s_cbranch_execz .LBB30_25
; %bb.24:
	v_and_b32_e32 v25, 0x7fffff, v23
	v_or_b32_e32 v34, 0x800000, v25
	s_mov_b32 s4, 0xfe5163ab
	v_mad_u64_u32 v[25:26], s[4:5], v34, s4, 0
	v_mov_b32_e32 v27, 0
	s_mov_b32 s4, 0x3c439041
	v_mad_u64_u32 v[28:29], s[4:5], v34, s4, v[26:27]
	s_mov_b32 s4, 0xdb629599
	v_not_b32_e32 v33, 63
	v_mov_b32_e32 v26, v29
	v_mad_u64_u32 v[29:30], s[4:5], v34, s4, v[26:27]
	s_mov_b32 s4, 0xf534ddc0
	v_not_b32_e32 v36, 31
	v_mov_b32_e32 v26, v30
	v_mad_u64_u32 v[30:31], s[4:5], v34, s4, v[26:27]
	v_lshrrev_b32_e32 v26, 23, v23
	v_add_u32_e32 v35, 0xffffff88, v26
	v_mov_b32_e32 v26, v31
	s_mov_b32 s4, 0xfc2757d1
	v_mad_u64_u32 v[31:32], s[4:5], v34, s4, v[26:27]
	v_cmp_lt_u32_e32 vcc, 63, v35
	v_cndmask_b32_e32 v26, 0, v33, vcc
	v_add_u32_e32 v35, v26, v35
	v_mov_b32_e32 v26, v32
	s_mov_b32 s4, 0x4e441529
	v_mad_u64_u32 v[32:33], s[4:5], v34, s4, v[26:27]
	v_cmp_lt_u32_e64 s[4:5], 31, v35
	v_cndmask_b32_e64 v26, 0, v36, s[4:5]
	v_add_u32_e32 v35, v26, v35
	v_mov_b32_e32 v26, v33
	s_mov_b32 s8, 0xa2f9836e
	v_mad_u64_u32 v[26:27], s[8:9], v34, s8, v[26:27]
	v_cmp_lt_u32_e64 s[8:9], 31, v35
	v_cndmask_b32_e64 v33, 0, v36, s[8:9]
	v_cndmask_b32_e32 v34, v32, v30, vcc
	v_cndmask_b32_e32 v26, v26, v31, vcc
	;; [unrolled: 1-line block ×3, first 2 shown]
	v_add_u32_e32 v33, v33, v35
	v_cndmask_b32_e64 v35, v26, v34, s[4:5]
	v_cndmask_b32_e64 v26, v27, v26, s[4:5]
	v_cndmask_b32_e32 v27, v31, v29, vcc
	v_cndmask_b32_e64 v31, v34, v27, s[4:5]
	v_cndmask_b32_e32 v28, v30, v28, vcc
	v_cndmask_b32_e64 v26, v26, v35, s[8:9]
	v_cndmask_b32_e64 v32, v35, v31, s[8:9]
	v_sub_u32_e32 v34, 32, v33
	v_cndmask_b32_e64 v27, v27, v28, s[4:5]
	v_alignbit_b32 v35, v26, v32, v34
	v_cmp_eq_u32_e64 s[10:11], 0, v33
	v_cndmask_b32_e64 v30, v31, v27, s[8:9]
	v_cndmask_b32_e64 v26, v35, v26, s[10:11]
	v_alignbit_b32 v31, v32, v30, v34
	v_cndmask_b32_e32 v25, v29, v25, vcc
	v_cndmask_b32_e64 v31, v31, v32, s[10:11]
	v_bfe_u32 v35, v26, 29, 1
	v_cndmask_b32_e64 v25, v28, v25, s[4:5]
	v_alignbit_b32 v32, v26, v31, 30
	v_sub_u32_e32 v36, 0, v35
	v_cndmask_b32_e64 v25, v27, v25, s[8:9]
	v_xor_b32_e32 v32, v32, v36
	v_alignbit_b32 v27, v30, v25, v34
	v_cndmask_b32_e64 v27, v27, v30, s[10:11]
	v_ffbh_u32_e32 v29, v32
	v_alignbit_b32 v28, v31, v27, 30
	v_min_u32_e32 v29, 32, v29
	v_alignbit_b32 v25, v27, v25, 30
	v_xor_b32_e32 v28, v28, v36
	v_sub_u32_e32 v30, 31, v29
	v_xor_b32_e32 v25, v25, v36
	v_alignbit_b32 v31, v32, v28, v30
	v_alignbit_b32 v25, v28, v25, v30
	;; [unrolled: 1-line block ×3, first 2 shown]
	v_ffbh_u32_e32 v28, v27
	v_min_u32_e32 v28, 32, v28
	v_lshrrev_b32_e32 v33, 29, v26
	v_not_b32_e32 v30, v28
	v_alignbit_b32 v25, v27, v25, v30
	v_lshlrev_b32_e32 v27, 31, v33
	v_or_b32_e32 v30, 0x33000000, v27
	v_add_lshl_u32 v28, v28, v29, 23
	v_lshrrev_b32_e32 v25, 9, v25
	v_sub_u32_e32 v28, v30, v28
	v_or_b32_e32 v27, 0.5, v27
	v_lshlrev_b32_e32 v29, 23, v29
	v_or_b32_e32 v25, v28, v25
	v_lshrrev_b32_e32 v28, 9, v31
	v_sub_u32_e32 v27, v27, v29
	v_or_b32_e32 v27, v28, v27
	s_mov_b32 s4, 0x3fc90fda
	v_mul_f32_e32 v28, 0x3fc90fda, v27
	v_fma_f32 v29, v27, s4, -v28
	v_fmac_f32_e32 v29, 0x33a22168, v27
	v_fmac_f32_e32 v29, 0x3fc90fda, v25
	v_lshrrev_b32_e32 v26, 30, v26
	v_add_f32_e32 v25, v28, v29
	v_add_u32_e32 v28, v35, v26
.LBB30_25:
	s_andn2_saveexec_b64 s[4:5], s[14:15]
	s_cbranch_execz .LBB30_27
; %bb.26:
	s_mov_b32 s8, 0x3f22f983
	v_mul_f32_e64 v25, |v1|, s8
	v_rndne_f32_e32 v26, v25
	s_mov_b32 s8, 0xbfc90fda
	v_cvt_i32_f32_e32 v28, v26
	v_fma_f32 v25, v26, s8, |v1|
	v_fmac_f32_e32 v25, 0xb3a22168, v26
	v_fmac_f32_e32 v25, 0xa7c234c4, v26
.LBB30_27:
	s_or_b64 exec, exec, s[4:5]
	v_lshlrev_b32_e32 v26, 16, v2
	s_brev_b32 s4, 18
	v_and_b32_e32 v27, 0x7fffffff, v26
	v_cmp_nlt_f32_e64 s[4:5], |v26|, s4
                                        ; implicit-def: $vgpr31
                                        ; implicit-def: $vgpr30
	s_and_saveexec_b64 s[8:9], s[4:5]
	s_xor_b64 s[14:15], exec, s[8:9]
	s_cbranch_execz .LBB30_29
; %bb.28:
	v_and_b32_e32 v29, 0x7fffff, v27
	v_or_b32_e32 v38, 0x800000, v29
	s_mov_b32 s4, 0xfe5163ab
	v_mad_u64_u32 v[29:30], s[4:5], v38, s4, 0
	v_mov_b32_e32 v31, 0
	s_mov_b32 s4, 0x3c439041
	v_mad_u64_u32 v[32:33], s[4:5], v38, s4, v[30:31]
	s_mov_b32 s4, 0xdb629599
	v_not_b32_e32 v37, 63
	v_mov_b32_e32 v30, v33
	v_mad_u64_u32 v[33:34], s[4:5], v38, s4, v[30:31]
	s_mov_b32 s4, 0xf534ddc0
	v_not_b32_e32 v40, 31
	v_mov_b32_e32 v30, v34
	v_mad_u64_u32 v[34:35], s[4:5], v38, s4, v[30:31]
	v_lshrrev_b32_e32 v30, 23, v27
	v_add_u32_e32 v39, 0xffffff88, v30
	v_mov_b32_e32 v30, v35
	s_mov_b32 s4, 0xfc2757d1
	v_mad_u64_u32 v[35:36], s[4:5], v38, s4, v[30:31]
	v_cmp_lt_u32_e32 vcc, 63, v39
	v_cndmask_b32_e32 v30, 0, v37, vcc
	v_add_u32_e32 v39, v30, v39
	v_mov_b32_e32 v30, v36
	s_mov_b32 s4, 0x4e441529
	v_mad_u64_u32 v[36:37], s[4:5], v38, s4, v[30:31]
	v_cmp_lt_u32_e64 s[4:5], 31, v39
	v_cndmask_b32_e64 v30, 0, v40, s[4:5]
	v_add_u32_e32 v39, v30, v39
	v_mov_b32_e32 v30, v37
	s_mov_b32 s8, 0xa2f9836e
	v_mad_u64_u32 v[30:31], s[8:9], v38, s8, v[30:31]
	v_cmp_lt_u32_e64 s[8:9], 31, v39
	v_cndmask_b32_e64 v37, 0, v40, s[8:9]
	v_cndmask_b32_e32 v38, v36, v34, vcc
	v_cndmask_b32_e32 v30, v30, v35, vcc
	;; [unrolled: 1-line block ×3, first 2 shown]
	v_add_u32_e32 v37, v37, v39
	v_cndmask_b32_e64 v39, v30, v38, s[4:5]
	v_cndmask_b32_e64 v30, v31, v30, s[4:5]
	v_cndmask_b32_e32 v31, v35, v33, vcc
	v_cndmask_b32_e64 v35, v38, v31, s[4:5]
	v_cndmask_b32_e64 v30, v30, v39, s[8:9]
	;; [unrolled: 1-line block ×3, first 2 shown]
	v_sub_u32_e32 v38, 32, v37
	v_alignbit_b32 v39, v30, v36, v38
	v_cmp_eq_u32_e64 s[10:11], 0, v37
	v_cndmask_b32_e64 v37, v39, v30, s[10:11]
	v_cndmask_b32_e32 v30, v34, v32, vcc
	v_cndmask_b32_e64 v31, v31, v30, s[4:5]
	v_cndmask_b32_e64 v32, v35, v31, s[8:9]
	v_alignbit_b32 v34, v36, v32, v38
	v_cndmask_b32_e32 v29, v33, v29, vcc
	v_cndmask_b32_e64 v34, v34, v36, s[10:11]
	v_bfe_u32 v39, v37, 29, 1
	v_cndmask_b32_e64 v29, v30, v29, s[4:5]
	v_alignbit_b32 v35, v37, v34, 30
	v_sub_u32_e32 v40, 0, v39
	v_cndmask_b32_e64 v29, v31, v29, s[8:9]
	v_xor_b32_e32 v35, v35, v40
	v_alignbit_b32 v30, v32, v29, v38
	v_cndmask_b32_e64 v30, v30, v32, s[10:11]
	v_ffbh_u32_e32 v32, v35
	v_alignbit_b32 v31, v34, v30, 30
	v_min_u32_e32 v32, 32, v32
	v_alignbit_b32 v29, v30, v29, 30
	v_xor_b32_e32 v31, v31, v40
	v_sub_u32_e32 v33, 31, v32
	v_xor_b32_e32 v29, v29, v40
	v_alignbit_b32 v34, v35, v31, v33
	v_alignbit_b32 v29, v31, v29, v33
	;; [unrolled: 1-line block ×3, first 2 shown]
	v_ffbh_u32_e32 v31, v30
	v_min_u32_e32 v31, 32, v31
	v_lshrrev_b32_e32 v36, 29, v37
	v_not_b32_e32 v33, v31
	v_alignbit_b32 v29, v30, v29, v33
	v_lshlrev_b32_e32 v30, 31, v36
	v_or_b32_e32 v33, 0x33000000, v30
	v_add_lshl_u32 v31, v31, v32, 23
	v_lshrrev_b32_e32 v29, 9, v29
	v_sub_u32_e32 v31, v33, v31
	v_or_b32_e32 v30, 0.5, v30
	v_lshlrev_b32_e32 v32, 23, v32
	v_or_b32_e32 v29, v31, v29
	v_lshrrev_b32_e32 v31, 9, v34
	v_sub_u32_e32 v30, v30, v32
	v_or_b32_e32 v30, v31, v30
	s_mov_b32 s4, 0x3fc90fda
	v_mul_f32_e32 v31, 0x3fc90fda, v30
	v_fma_f32 v32, v30, s4, -v31
	v_fmac_f32_e32 v32, 0x33a22168, v30
	v_fmac_f32_e32 v32, 0x3fc90fda, v29
	v_lshrrev_b32_e32 v29, 30, v37
	v_add_f32_e32 v30, v31, v32
	v_add_u32_e32 v31, v39, v29
.LBB30_29:
	s_andn2_saveexec_b64 s[4:5], s[14:15]
	s_cbranch_execz .LBB30_31
; %bb.30:
	s_mov_b32 s8, 0x3f22f983
	v_mul_f32_e64 v29, |v26|, s8
	v_rndne_f32_e32 v29, v29
	s_mov_b32 s8, 0xbfc90fda
	v_cvt_i32_f32_e32 v31, v29
	v_fma_f32 v30, v29, s8, |v26|
	v_fmac_f32_e32 v30, 0xb3a22168, v29
	v_fmac_f32_e32 v30, 0xa7c234c4, v29
.LBB30_31:
	s_or_b64 exec, exec, s[4:5]
	v_and_b32_e32 v2, 0xffff0000, v2
	s_brev_b32 s4, 18
	v_and_b32_e32 v29, 0x7fffffff, v2
	v_cmp_nlt_f32_e64 s[4:5], |v2|, s4
                                        ; implicit-def: $vgpr32
                                        ; implicit-def: $vgpr33
	s_and_saveexec_b64 s[8:9], s[4:5]
	s_xor_b64 s[14:15], exec, s[8:9]
	s_cbranch_execz .LBB30_33
; %bb.32:
	v_and_b32_e32 v32, 0x7fffff, v29
	v_or_b32_e32 v41, 0x800000, v32
	s_mov_b32 s4, 0xfe5163ab
	v_mad_u64_u32 v[32:33], s[4:5], v41, s4, 0
	v_mov_b32_e32 v34, 0
	s_mov_b32 s4, 0x3c439041
	v_mad_u64_u32 v[35:36], s[4:5], v41, s4, v[33:34]
	s_mov_b32 s4, 0xdb629599
	v_not_b32_e32 v40, 63
	v_mov_b32_e32 v33, v36
	v_mad_u64_u32 v[36:37], s[4:5], v41, s4, v[33:34]
	s_mov_b32 s4, 0xf534ddc0
	v_not_b32_e32 v43, 31
	v_mov_b32_e32 v33, v37
	v_mad_u64_u32 v[37:38], s[4:5], v41, s4, v[33:34]
	v_lshrrev_b32_e32 v33, 23, v29
	v_add_u32_e32 v42, 0xffffff88, v33
	v_mov_b32_e32 v33, v38
	s_mov_b32 s4, 0xfc2757d1
	v_mad_u64_u32 v[38:39], s[4:5], v41, s4, v[33:34]
	v_cmp_lt_u32_e32 vcc, 63, v42
	v_cndmask_b32_e32 v33, 0, v40, vcc
	v_add_u32_e32 v42, v33, v42
	v_mov_b32_e32 v33, v39
	s_mov_b32 s4, 0x4e441529
	v_mad_u64_u32 v[39:40], s[4:5], v41, s4, v[33:34]
	v_cmp_lt_u32_e64 s[4:5], 31, v42
	v_cndmask_b32_e64 v33, 0, v43, s[4:5]
	v_add_u32_e32 v42, v33, v42
	v_mov_b32_e32 v33, v40
	s_mov_b32 s8, 0xa2f9836e
	v_mad_u64_u32 v[33:34], s[8:9], v41, s8, v[33:34]
	v_cmp_lt_u32_e64 s[8:9], 31, v42
	v_cndmask_b32_e64 v40, 0, v43, s[8:9]
	v_cndmask_b32_e32 v41, v39, v37, vcc
	v_cndmask_b32_e32 v33, v33, v38, vcc
	;; [unrolled: 1-line block ×3, first 2 shown]
	v_add_u32_e32 v40, v40, v42
	v_cndmask_b32_e64 v42, v33, v41, s[4:5]
	v_cndmask_b32_e64 v33, v34, v33, s[4:5]
	v_cndmask_b32_e32 v34, v38, v36, vcc
	v_cndmask_b32_e64 v38, v41, v34, s[4:5]
	v_cndmask_b32_e64 v33, v33, v42, s[8:9]
	v_cndmask_b32_e64 v39, v42, v38, s[8:9]
	v_sub_u32_e32 v41, 32, v40
	v_alignbit_b32 v42, v33, v39, v41
	v_cmp_eq_u32_e64 s[10:11], 0, v40
	v_cndmask_b32_e64 v40, v42, v33, s[10:11]
	v_cndmask_b32_e32 v33, v37, v35, vcc
	v_cndmask_b32_e64 v34, v34, v33, s[4:5]
	v_cndmask_b32_e64 v35, v38, v34, s[8:9]
	v_alignbit_b32 v37, v39, v35, v41
	v_cndmask_b32_e32 v32, v36, v32, vcc
	v_cndmask_b32_e64 v37, v37, v39, s[10:11]
	v_bfe_u32 v42, v40, 29, 1
	v_cndmask_b32_e64 v32, v33, v32, s[4:5]
	v_alignbit_b32 v38, v40, v37, 30
	v_sub_u32_e32 v43, 0, v42
	v_cndmask_b32_e64 v32, v34, v32, s[8:9]
	v_xor_b32_e32 v38, v38, v43
	v_alignbit_b32 v33, v35, v32, v41
	v_cndmask_b32_e64 v33, v33, v35, s[10:11]
	v_ffbh_u32_e32 v35, v38
	v_alignbit_b32 v34, v37, v33, 30
	v_min_u32_e32 v35, 32, v35
	v_alignbit_b32 v32, v33, v32, 30
	v_xor_b32_e32 v34, v34, v43
	v_sub_u32_e32 v36, 31, v35
	v_xor_b32_e32 v32, v32, v43
	v_alignbit_b32 v37, v38, v34, v36
	v_alignbit_b32 v32, v34, v32, v36
	;; [unrolled: 1-line block ×3, first 2 shown]
	v_ffbh_u32_e32 v34, v33
	v_min_u32_e32 v34, 32, v34
	v_lshrrev_b32_e32 v39, 29, v40
	v_not_b32_e32 v36, v34
	v_alignbit_b32 v32, v33, v32, v36
	v_lshlrev_b32_e32 v33, 31, v39
	v_or_b32_e32 v36, 0x33000000, v33
	v_add_lshl_u32 v34, v34, v35, 23
	v_lshrrev_b32_e32 v32, 9, v32
	v_sub_u32_e32 v34, v36, v34
	v_or_b32_e32 v33, 0.5, v33
	v_lshlrev_b32_e32 v35, 23, v35
	v_or_b32_e32 v32, v34, v32
	v_lshrrev_b32_e32 v34, 9, v37
	v_sub_u32_e32 v33, v33, v35
	v_or_b32_e32 v33, v34, v33
	s_mov_b32 s4, 0x3fc90fda
	v_mul_f32_e32 v34, 0x3fc90fda, v33
	v_fma_f32 v35, v33, s4, -v34
	v_fmac_f32_e32 v35, 0x33a22168, v33
	v_fmac_f32_e32 v35, 0x3fc90fda, v32
	v_lshrrev_b32_e32 v32, 30, v40
	v_add_f32_e32 v33, v34, v35
	v_add_u32_e32 v32, v42, v32
.LBB30_33:
	s_andn2_saveexec_b64 s[4:5], s[14:15]
	s_cbranch_execz .LBB30_35
; %bb.34:
	s_mov_b32 s8, 0x3f22f983
	v_mul_f32_e64 v32, |v2|, s8
	v_rndne_f32_e32 v34, v32
	s_mov_b32 s8, 0xbfc90fda
	v_cvt_i32_f32_e32 v32, v34
	v_fma_f32 v33, v34, s8, |v2|
	v_fmac_f32_e32 v33, 0xb3a22168, v34
	v_fmac_f32_e32 v33, 0xa7c234c4, v34
.LBB30_35:
	s_or_b64 exec, exec, s[4:5]
	v_mul_f32_e32 v35, v22, v22
	v_mov_b32_e32 v37, 0x3c0881c4
	v_mov_b32_e32 v39, 0xbab64f3b
	v_fmac_f32_e32 v37, 0xb94c1982, v35
	v_mov_b32_e32 v38, 0xbe2aaa9d
	v_fmac_f32_e32 v39, 0x37d75334, v35
	v_mov_b32_e32 v40, 0x3d2aabf7
	v_fma_f32 v37, v35, v37, v38
	v_fma_f32 v39, v35, v39, v40
	v_mov_b32_e32 v41, 0xbf000004
	v_lshlrev_b32_e32 v34, 30, v24
	v_and_b32_e32 v24, 1, v24
	v_mul_f32_e32 v37, v35, v37
	v_fma_f32 v39, v35, v39, v41
	v_and_b32_e32 v34, 0x80000000, v34
	v_fmac_f32_e32 v22, v22, v37
	v_fma_f32 v35, v35, v39, 1.0
	v_cmp_eq_u32_e32 vcc, 0, v24
	v_cndmask_b32_e32 v22, v35, v22, vcc
	v_xor_b32_e32 v21, v21, v34
	v_mul_f32_e32 v34, v25, v25
	v_mov_b32_e32 v35, 0x3c0881c4
	s_movk_i32 s4, 0x1f8
	v_xor_b32_e32 v21, v21, v22
	v_fmac_f32_e32 v35, 0xb94c1982, v34
	v_xor_b32_e32 v21, v21, v20
	v_mov_b32_e32 v22, 0x7fc00000
	v_cmp_class_f32_e64 vcc, v20, s4
	v_fma_f32 v35, v34, v35, v38
	v_cndmask_b32_e32 v20, v22, v21, vcc
	v_mul_f32_e32 v35, v34, v35
	v_bfe_u32 v21, v20, 16, 1
	s_movk_i32 s5, 0x7fff
	v_fmac_f32_e32 v25, v25, v35
	v_mov_b32_e32 v35, 0xbab64f3b
	v_add3_u32 v21, v20, v21, s5
	v_fmac_f32_e32 v35, 0x37d75334, v34
	v_lshrrev_b32_e32 v21, 16, v21
	v_mov_b32_e32 v24, 0x7fc0
	v_cmp_o_f32_e32 vcc, v20, v20
	v_fma_f32 v35, v34, v35, v40
	v_cndmask_b32_e32 v20, v24, v21, vcc
	v_lshlrev_b32_e32 v21, 30, v28
	v_and_b32_e32 v28, 1, v28
	v_fma_f32 v35, v34, v35, v41
	v_and_b32_e32 v21, 0x80000000, v21
	v_fma_f32 v34, v34, v35, 1.0
	v_cmp_eq_u32_e32 vcc, 0, v28
	v_cndmask_b32_e32 v25, v34, v25, vcc
	v_xor_b32_e32 v21, v23, v21
	v_xor_b32_e32 v21, v21, v25
	v_mul_f32_e32 v23, v30, v30
	v_mov_b32_e32 v25, 0x3c0881c4
	v_xor_b32_e32 v21, v21, v1
	v_cmp_class_f32_e64 vcc, v1, s4
	v_fmac_f32_e32 v25, 0xb94c1982, v23
	v_cndmask_b32_e32 v1, v22, v21, vcc
	v_fma_f32 v25, v23, v25, v38
	v_bfe_u32 v21, v1, 16, 1
	v_mul_f32_e32 v25, v23, v25
	v_add3_u32 v21, v1, v21, s5
	v_fmac_f32_e32 v30, v30, v25
	v_mov_b32_e32 v25, 0xbab64f3b
	v_and_b32_e32 v21, 0xffff0000, v21
	v_cmp_o_f32_e32 vcc, v1, v1
	v_fmac_f32_e32 v25, 0x37d75334, v23
	v_cndmask_b32_e32 v1, v22, v21, vcc
	v_fma_f32 v25, v23, v25, v40
	v_or_b32_e32 v1, v1, v20
	v_lshlrev_b32_e32 v20, 30, v31
	v_and_b32_e32 v21, 1, v31
	v_fma_f32 v25, v23, v25, v41
	v_and_b32_e32 v20, 0x80000000, v20
	v_fma_f32 v23, v23, v25, 1.0
	v_cmp_eq_u32_e32 vcc, 0, v21
	v_cndmask_b32_e32 v21, v23, v30, vcc
	v_xor_b32_e32 v20, v27, v20
	v_mul_f32_e32 v23, v5, v5
	v_mov_b32_e32 v25, 0x3c0881c4
	v_xor_b32_e32 v20, v20, v21
	v_fmac_f32_e32 v25, 0xb94c1982, v23
	v_xor_b32_e32 v20, v20, v26
	v_cmp_class_f32_e64 vcc, v26, s4
	v_fma_f32 v25, v23, v25, v38
	v_cndmask_b32_e32 v20, v22, v20, vcc
	v_mul_f32_e32 v25, v23, v25
	v_bfe_u32 v21, v20, 16, 1
	v_fmac_f32_e32 v5, v5, v25
	v_mov_b32_e32 v25, 0xbab64f3b
	v_add3_u32 v21, v20, v21, s5
	v_fmac_f32_e32 v25, 0x37d75334, v23
	v_lshrrev_b32_e32 v21, 16, v21
	v_cmp_o_f32_e32 vcc, v20, v20
	v_fma_f32 v25, v23, v25, v40
	v_cndmask_b32_e32 v20, v24, v21, vcc
	v_lshlrev_b32_e32 v21, 30, v10
	v_and_b32_e32 v10, 1, v10
	v_fma_f32 v25, v23, v25, v41
	v_and_b32_e32 v21, 0x80000000, v21
	v_fma_f32 v23, v23, v25, 1.0
	v_cmp_eq_u32_e32 vcc, 0, v10
	v_cndmask_b32_e32 v5, v23, v5, vcc
	v_xor_b32_e32 v9, v9, v21
	v_xor_b32_e32 v5, v9, v5
	v_xor_b32_e32 v5, v5, v8
	v_cmp_class_f32_e64 vcc, v8, s4
	v_cndmask_b32_e32 v5, v22, v5, vcc
	v_bfe_u32 v8, v5, 16, 1
	v_add3_u32 v8, v5, v8, s5
	v_lshrrev_b32_e32 v8, 16, v8
	v_cmp_o_f32_e32 vcc, v5, v5
	v_cndmask_b32_e32 v5, v24, v8, vcc
	v_lshlrev_b32_e32 v8, 30, v14
	v_and_b32_e32 v9, 1, v14
	v_mul_f32_e32 v10, v11, v11
	v_mov_b32_e32 v14, 0x3c0881c4
	v_fmac_f32_e32 v14, 0xb94c1982, v10
	v_fma_f32 v14, v10, v14, v38
	v_mul_f32_e32 v14, v10, v14
	v_fmac_f32_e32 v11, v11, v14
	v_mov_b32_e32 v14, 0xbab64f3b
	v_fmac_f32_e32 v14, 0x37d75334, v10
	v_fma_f32 v14, v10, v14, v40
	v_fma_f32 v14, v10, v14, v41
	v_and_b32_e32 v8, 0x80000000, v8
	v_fma_f32 v10, v10, v14, 1.0
	v_cmp_eq_u32_e32 vcc, 0, v9
	v_cndmask_b32_e32 v9, v10, v11, vcc
	v_xor_b32_e32 v6, v6, v8
	v_xor_b32_e32 v6, v6, v9
	v_mul_f32_e32 v8, v15, v15
	v_mov_b32_e32 v9, 0x3c0881c4
	v_xor_b32_e32 v6, v6, v3
	v_cmp_class_f32_e64 vcc, v3, s4
	v_fmac_f32_e32 v9, 0xb94c1982, v8
	v_cndmask_b32_e32 v3, v22, v6, vcc
	v_fma_f32 v9, v8, v9, v38
	v_bfe_u32 v6, v3, 16, 1
	v_mul_f32_e32 v9, v8, v9
	v_add3_u32 v6, v3, v6, s5
	v_fmac_f32_e32 v15, v15, v9
	v_mov_b32_e32 v9, 0xbab64f3b
	v_and_b32_e32 v6, 0xffff0000, v6
	v_cmp_o_f32_e32 vcc, v3, v3
	v_fmac_f32_e32 v9, 0x37d75334, v8
	v_cndmask_b32_e32 v3, v22, v6, vcc
	v_fma_f32 v9, v8, v9, v40
	v_or_b32_e32 v3, v3, v5
	v_lshlrev_b32_e32 v5, 30, v17
	v_and_b32_e32 v6, 1, v17
	v_fma_f32 v9, v8, v9, v41
	v_and_b32_e32 v5, 0x80000000, v5
	v_fma_f32 v8, v8, v9, 1.0
	v_cmp_eq_u32_e32 vcc, 0, v6
	v_cndmask_b32_e32 v6, v8, v15, vcc
	v_xor_b32_e32 v5, v13, v5
	v_mul_f32_e32 v9, v18, v18
	v_mov_b32_e32 v10, 0x3c0881c4
	v_xor_b32_e32 v5, v5, v6
	v_fmac_f32_e32 v10, 0xb94c1982, v9
	v_xor_b32_e32 v5, v5, v12
	v_cmp_class_f32_e64 vcc, v12, s4
	v_fma_f32 v10, v9, v10, v38
	v_cndmask_b32_e32 v5, v22, v5, vcc
	v_mul_f32_e32 v10, v9, v10
	v_bfe_u32 v6, v5, 16, 1
	v_fmac_f32_e32 v18, v18, v10
	v_mov_b32_e32 v10, 0xbab64f3b
	v_add3_u32 v6, v5, v6, s5
	v_fmac_f32_e32 v10, 0x37d75334, v9
	v_lshrrev_b32_e32 v6, 16, v6
	v_cmp_o_f32_e32 vcc, v5, v5
	v_fma_f32 v10, v9, v10, v40
	v_cndmask_b32_e32 v5, v24, v6, vcc
	v_lshlrev_b32_e32 v6, 30, v19
	v_and_b32_e32 v8, 1, v19
	v_fma_f32 v10, v9, v10, v41
	v_and_b32_e32 v6, 0x80000000, v6
	v_fma_f32 v9, v9, v10, 1.0
	v_cmp_eq_u32_e32 vcc, 0, v8
	v_cndmask_b32_e32 v8, v9, v18, vcc
	v_xor_b32_e32 v6, v16, v6
	v_xor_b32_e32 v6, v6, v8
	;; [unrolled: 1-line block ×3, first 2 shown]
	v_cmp_class_f32_e64 vcc, v4, s4
	v_cndmask_b32_e32 v4, v22, v6, vcc
	v_bfe_u32 v6, v4, 16, 1
	v_add3_u32 v6, v4, v6, s5
	v_and_b32_e32 v6, 0xffff0000, v6
	v_cmp_o_f32_e32 vcc, v4, v4
	v_cndmask_b32_e32 v4, v22, v6, vcc
	v_mov_b32_e32 v36, 0x3c0881c4
	v_or3_b32 v4, 0, v5, v4
	v_mul_f32_e32 v5, v33, v33
	v_fmac_f32_e32 v36, 0xb94c1982, v5
	v_mov_b32_e32 v37, 0xbab64f3b
	v_fmac_f32_e32 v38, v5, v36
	v_mul_f32_e32 v6, v5, v38
	v_fmac_f32_e32 v37, 0x37d75334, v5
	v_fmac_f32_e32 v33, v33, v6
	;; [unrolled: 1-line block ×3, first 2 shown]
	v_and_b32_e32 v6, 1, v32
	v_fmac_f32_e32 v41, v5, v40
	v_cmp_eq_u32_e32 vcc, 0, v6
	v_lshlrev_b32_e32 v6, 30, v32
	v_fma_f32 v5, v5, v41, 1.0
	v_and_b32_e32 v6, 0x80000000, v6
	v_cndmask_b32_e32 v5, v5, v33, vcc
	v_xor_b32_e32 v6, v29, v6
	v_xor_b32_e32 v5, v6, v5
	;; [unrolled: 1-line block ×3, first 2 shown]
	v_cmp_class_f32_e64 vcc, v2, s4
	v_cndmask_b32_e32 v2, v22, v5, vcc
	v_bfe_u32 v5, v2, 16, 1
	v_add3_u32 v5, v2, v5, s5
	v_and_b32_e32 v5, 0xffff0000, v5
	v_cmp_o_f32_e32 vcc, v2, v2
	s_add_u32 s4, s16, s12
	v_or3_b32 v3, v3, 0, 0
	v_cndmask_b32_e32 v2, v22, v5, vcc
	s_addc_u32 s5, s17, s13
	v_or3_b32 v2, 0, v20, v2
	v_or3_b32 v1, v1, 0, 0
	global_store_dwordx2 v7, v[3:4], s[4:5]
	global_store_dwordx2 v7, v[1:2], s[4:5] offset:2048
	s_branch .LBB30_2
.LBB30_36:
	s_getpc_b64 s[4:5]
	s_add_u32 s4, s4, _ZN2at6native25elementwise_kernel_helperILb0EZZZNS0_15sin_kernel_cudaERNS_18TensorIteratorBaseEENKUlvE0_clEvENKUlvE2_clEvEUlN3c108BFloat16EE_NS0_6memory8policies11unroll_baseILi256ESt5arrayIPcLm2EE23TrivialOffsetCalculatorILi1EjESG_NS9_15LoadWithoutCastENS9_16StoreWithoutCastELi8ELi1EEEEEvT0_T1_@rel32@lo+4
	s_addc_u32 s5, s5, _ZN2at6native25elementwise_kernel_helperILb0EZZZNS0_15sin_kernel_cudaERNS_18TensorIteratorBaseEENKUlvE0_clEvENKUlvE2_clEvEUlN3c108BFloat16EE_NS0_6memory8policies11unroll_baseILi256ESt5arrayIPcLm2EE23TrivialOffsetCalculatorILi1EjESG_NS9_15LoadWithoutCastENS9_16StoreWithoutCastELi8ELi1EEEEEvT0_T1_@rel32@hi+12
	s_mov_b32 s12, s6
	v_mov_b32_e32 v31, v0
	v_mov_b32_e32 v0, s16
	;; [unrolled: 1-line block ×6, first 2 shown]
	s_swappc_b64 s[30:31], s[4:5]
	s_endpgm
	.section	.rodata,"a",@progbits
	.p2align	6, 0x0
	.amdhsa_kernel _ZN2at6native29vectorized_elementwise_kernelILi4EZZZNS0_15sin_kernel_cudaERNS_18TensorIteratorBaseEENKUlvE0_clEvENKUlvE2_clEvEUlN3c108BFloat16EE_St5arrayIPcLm2EEEEviT0_T1_
		.amdhsa_group_segment_fixed_size 0
		.amdhsa_private_segment_fixed_size 0
		.amdhsa_kernarg_size 24
		.amdhsa_user_sgpr_count 6
		.amdhsa_user_sgpr_private_segment_buffer 1
		.amdhsa_user_sgpr_dispatch_ptr 0
		.amdhsa_user_sgpr_queue_ptr 0
		.amdhsa_user_sgpr_kernarg_segment_ptr 1
		.amdhsa_user_sgpr_dispatch_id 0
		.amdhsa_user_sgpr_flat_scratch_init 0
		.amdhsa_user_sgpr_private_segment_size 0
		.amdhsa_uses_dynamic_stack 0
		.amdhsa_system_sgpr_private_segment_wavefront_offset 0
		.amdhsa_system_sgpr_workgroup_id_x 1
		.amdhsa_system_sgpr_workgroup_id_y 0
		.amdhsa_system_sgpr_workgroup_id_z 0
		.amdhsa_system_sgpr_workgroup_info 0
		.amdhsa_system_vgpr_workitem_id 0
		.amdhsa_next_free_vgpr 44
		.amdhsa_next_free_sgpr 33
		.amdhsa_reserve_vcc 1
		.amdhsa_reserve_flat_scratch 0
		.amdhsa_float_round_mode_32 0
		.amdhsa_float_round_mode_16_64 0
		.amdhsa_float_denorm_mode_32 3
		.amdhsa_float_denorm_mode_16_64 3
		.amdhsa_dx10_clamp 1
		.amdhsa_ieee_mode 1
		.amdhsa_fp16_overflow 0
		.amdhsa_exception_fp_ieee_invalid_op 0
		.amdhsa_exception_fp_denorm_src 0
		.amdhsa_exception_fp_ieee_div_zero 0
		.amdhsa_exception_fp_ieee_overflow 0
		.amdhsa_exception_fp_ieee_underflow 0
		.amdhsa_exception_fp_ieee_inexact 0
		.amdhsa_exception_int_div_zero 0
	.end_amdhsa_kernel
	.section	.text._ZN2at6native29vectorized_elementwise_kernelILi4EZZZNS0_15sin_kernel_cudaERNS_18TensorIteratorBaseEENKUlvE0_clEvENKUlvE2_clEvEUlN3c108BFloat16EE_St5arrayIPcLm2EEEEviT0_T1_,"axG",@progbits,_ZN2at6native29vectorized_elementwise_kernelILi4EZZZNS0_15sin_kernel_cudaERNS_18TensorIteratorBaseEENKUlvE0_clEvENKUlvE2_clEvEUlN3c108BFloat16EE_St5arrayIPcLm2EEEEviT0_T1_,comdat
.Lfunc_end30:
	.size	_ZN2at6native29vectorized_elementwise_kernelILi4EZZZNS0_15sin_kernel_cudaERNS_18TensorIteratorBaseEENKUlvE0_clEvENKUlvE2_clEvEUlN3c108BFloat16EE_St5arrayIPcLm2EEEEviT0_T1_, .Lfunc_end30-_ZN2at6native29vectorized_elementwise_kernelILi4EZZZNS0_15sin_kernel_cudaERNS_18TensorIteratorBaseEENKUlvE0_clEvENKUlvE2_clEvEUlN3c108BFloat16EE_St5arrayIPcLm2EEEEviT0_T1_
                                        ; -- End function
	.set _ZN2at6native29vectorized_elementwise_kernelILi4EZZZNS0_15sin_kernel_cudaERNS_18TensorIteratorBaseEENKUlvE0_clEvENKUlvE2_clEvEUlN3c108BFloat16EE_St5arrayIPcLm2EEEEviT0_T1_.num_vgpr, max(44, .L_ZN2at6native25elementwise_kernel_helperILb0EZZZNS0_15sin_kernel_cudaERNS_18TensorIteratorBaseEENKUlvE0_clEvENKUlvE2_clEvEUlN3c108BFloat16EE_NS0_6memory8policies11unroll_baseILi256ESt5arrayIPcLm2EE23TrivialOffsetCalculatorILi1EjESG_NS9_15LoadWithoutCastENS9_16StoreWithoutCastELi8ELi1EEEEEvT0_T1_.num_vgpr)
	.set _ZN2at6native29vectorized_elementwise_kernelILi4EZZZNS0_15sin_kernel_cudaERNS_18TensorIteratorBaseEENKUlvE0_clEvENKUlvE2_clEvEUlN3c108BFloat16EE_St5arrayIPcLm2EEEEviT0_T1_.num_agpr, max(0, .L_ZN2at6native25elementwise_kernel_helperILb0EZZZNS0_15sin_kernel_cudaERNS_18TensorIteratorBaseEENKUlvE0_clEvENKUlvE2_clEvEUlN3c108BFloat16EE_NS0_6memory8policies11unroll_baseILi256ESt5arrayIPcLm2EE23TrivialOffsetCalculatorILi1EjESG_NS9_15LoadWithoutCastENS9_16StoreWithoutCastELi8ELi1EEEEEvT0_T1_.num_agpr)
	.set _ZN2at6native29vectorized_elementwise_kernelILi4EZZZNS0_15sin_kernel_cudaERNS_18TensorIteratorBaseEENKUlvE0_clEvENKUlvE2_clEvEUlN3c108BFloat16EE_St5arrayIPcLm2EEEEviT0_T1_.numbered_sgpr, max(33, .L_ZN2at6native25elementwise_kernel_helperILb0EZZZNS0_15sin_kernel_cudaERNS_18TensorIteratorBaseEENKUlvE0_clEvENKUlvE2_clEvEUlN3c108BFloat16EE_NS0_6memory8policies11unroll_baseILi256ESt5arrayIPcLm2EE23TrivialOffsetCalculatorILi1EjESG_NS9_15LoadWithoutCastENS9_16StoreWithoutCastELi8ELi1EEEEEvT0_T1_.numbered_sgpr)
	.set _ZN2at6native29vectorized_elementwise_kernelILi4EZZZNS0_15sin_kernel_cudaERNS_18TensorIteratorBaseEENKUlvE0_clEvENKUlvE2_clEvEUlN3c108BFloat16EE_St5arrayIPcLm2EEEEviT0_T1_.num_named_barrier, max(0, .L_ZN2at6native25elementwise_kernel_helperILb0EZZZNS0_15sin_kernel_cudaERNS_18TensorIteratorBaseEENKUlvE0_clEvENKUlvE2_clEvEUlN3c108BFloat16EE_NS0_6memory8policies11unroll_baseILi256ESt5arrayIPcLm2EE23TrivialOffsetCalculatorILi1EjESG_NS9_15LoadWithoutCastENS9_16StoreWithoutCastELi8ELi1EEEEEvT0_T1_.num_named_barrier)
	.set _ZN2at6native29vectorized_elementwise_kernelILi4EZZZNS0_15sin_kernel_cudaERNS_18TensorIteratorBaseEENKUlvE0_clEvENKUlvE2_clEvEUlN3c108BFloat16EE_St5arrayIPcLm2EEEEviT0_T1_.private_seg_size, 0+max(.L_ZN2at6native25elementwise_kernel_helperILb0EZZZNS0_15sin_kernel_cudaERNS_18TensorIteratorBaseEENKUlvE0_clEvENKUlvE2_clEvEUlN3c108BFloat16EE_NS0_6memory8policies11unroll_baseILi256ESt5arrayIPcLm2EE23TrivialOffsetCalculatorILi1EjESG_NS9_15LoadWithoutCastENS9_16StoreWithoutCastELi8ELi1EEEEEvT0_T1_.private_seg_size)
	.set _ZN2at6native29vectorized_elementwise_kernelILi4EZZZNS0_15sin_kernel_cudaERNS_18TensorIteratorBaseEENKUlvE0_clEvENKUlvE2_clEvEUlN3c108BFloat16EE_St5arrayIPcLm2EEEEviT0_T1_.uses_vcc, or(1, .L_ZN2at6native25elementwise_kernel_helperILb0EZZZNS0_15sin_kernel_cudaERNS_18TensorIteratorBaseEENKUlvE0_clEvENKUlvE2_clEvEUlN3c108BFloat16EE_NS0_6memory8policies11unroll_baseILi256ESt5arrayIPcLm2EE23TrivialOffsetCalculatorILi1EjESG_NS9_15LoadWithoutCastENS9_16StoreWithoutCastELi8ELi1EEEEEvT0_T1_.uses_vcc)
	.set _ZN2at6native29vectorized_elementwise_kernelILi4EZZZNS0_15sin_kernel_cudaERNS_18TensorIteratorBaseEENKUlvE0_clEvENKUlvE2_clEvEUlN3c108BFloat16EE_St5arrayIPcLm2EEEEviT0_T1_.uses_flat_scratch, or(0, .L_ZN2at6native25elementwise_kernel_helperILb0EZZZNS0_15sin_kernel_cudaERNS_18TensorIteratorBaseEENKUlvE0_clEvENKUlvE2_clEvEUlN3c108BFloat16EE_NS0_6memory8policies11unroll_baseILi256ESt5arrayIPcLm2EE23TrivialOffsetCalculatorILi1EjESG_NS9_15LoadWithoutCastENS9_16StoreWithoutCastELi8ELi1EEEEEvT0_T1_.uses_flat_scratch)
	.set _ZN2at6native29vectorized_elementwise_kernelILi4EZZZNS0_15sin_kernel_cudaERNS_18TensorIteratorBaseEENKUlvE0_clEvENKUlvE2_clEvEUlN3c108BFloat16EE_St5arrayIPcLm2EEEEviT0_T1_.has_dyn_sized_stack, or(0, .L_ZN2at6native25elementwise_kernel_helperILb0EZZZNS0_15sin_kernel_cudaERNS_18TensorIteratorBaseEENKUlvE0_clEvENKUlvE2_clEvEUlN3c108BFloat16EE_NS0_6memory8policies11unroll_baseILi256ESt5arrayIPcLm2EE23TrivialOffsetCalculatorILi1EjESG_NS9_15LoadWithoutCastENS9_16StoreWithoutCastELi8ELi1EEEEEvT0_T1_.has_dyn_sized_stack)
	.set _ZN2at6native29vectorized_elementwise_kernelILi4EZZZNS0_15sin_kernel_cudaERNS_18TensorIteratorBaseEENKUlvE0_clEvENKUlvE2_clEvEUlN3c108BFloat16EE_St5arrayIPcLm2EEEEviT0_T1_.has_recursion, or(0, .L_ZN2at6native25elementwise_kernel_helperILb0EZZZNS0_15sin_kernel_cudaERNS_18TensorIteratorBaseEENKUlvE0_clEvENKUlvE2_clEvEUlN3c108BFloat16EE_NS0_6memory8policies11unroll_baseILi256ESt5arrayIPcLm2EE23TrivialOffsetCalculatorILi1EjESG_NS9_15LoadWithoutCastENS9_16StoreWithoutCastELi8ELi1EEEEEvT0_T1_.has_recursion)
	.set _ZN2at6native29vectorized_elementwise_kernelILi4EZZZNS0_15sin_kernel_cudaERNS_18TensorIteratorBaseEENKUlvE0_clEvENKUlvE2_clEvEUlN3c108BFloat16EE_St5arrayIPcLm2EEEEviT0_T1_.has_indirect_call, or(0, .L_ZN2at6native25elementwise_kernel_helperILb0EZZZNS0_15sin_kernel_cudaERNS_18TensorIteratorBaseEENKUlvE0_clEvENKUlvE2_clEvEUlN3c108BFloat16EE_NS0_6memory8policies11unroll_baseILi256ESt5arrayIPcLm2EE23TrivialOffsetCalculatorILi1EjESG_NS9_15LoadWithoutCastENS9_16StoreWithoutCastELi8ELi1EEEEEvT0_T1_.has_indirect_call)
	.section	.AMDGPU.csdata,"",@progbits
; Kernel info:
; codeLenInByte = 7088
; TotalNumSgprs: 37
; NumVgprs: 44
; ScratchSize: 0
; MemoryBound: 0
; FloatMode: 240
; IeeeMode: 1
; LDSByteSize: 0 bytes/workgroup (compile time only)
; SGPRBlocks: 4
; VGPRBlocks: 10
; NumSGPRsForWavesPerEU: 37
; NumVGPRsForWavesPerEU: 44
; Occupancy: 5
; WaveLimiterHint : 1
; COMPUTE_PGM_RSRC2:SCRATCH_EN: 0
; COMPUTE_PGM_RSRC2:USER_SGPR: 6
; COMPUTE_PGM_RSRC2:TRAP_HANDLER: 0
; COMPUTE_PGM_RSRC2:TGID_X_EN: 1
; COMPUTE_PGM_RSRC2:TGID_Y_EN: 0
; COMPUTE_PGM_RSRC2:TGID_Z_EN: 0
; COMPUTE_PGM_RSRC2:TIDIG_COMP_CNT: 0
	.section	.text._ZN2at6native29vectorized_elementwise_kernelILi2EZZZNS0_15sin_kernel_cudaERNS_18TensorIteratorBaseEENKUlvE0_clEvENKUlvE2_clEvEUlN3c108BFloat16EE_St5arrayIPcLm2EEEEviT0_T1_,"axG",@progbits,_ZN2at6native29vectorized_elementwise_kernelILi2EZZZNS0_15sin_kernel_cudaERNS_18TensorIteratorBaseEENKUlvE0_clEvENKUlvE2_clEvEUlN3c108BFloat16EE_St5arrayIPcLm2EEEEviT0_T1_,comdat
	.globl	_ZN2at6native29vectorized_elementwise_kernelILi2EZZZNS0_15sin_kernel_cudaERNS_18TensorIteratorBaseEENKUlvE0_clEvENKUlvE2_clEvEUlN3c108BFloat16EE_St5arrayIPcLm2EEEEviT0_T1_ ; -- Begin function _ZN2at6native29vectorized_elementwise_kernelILi2EZZZNS0_15sin_kernel_cudaERNS_18TensorIteratorBaseEENKUlvE0_clEvENKUlvE2_clEvEUlN3c108BFloat16EE_St5arrayIPcLm2EEEEviT0_T1_
	.p2align	8
	.type	_ZN2at6native29vectorized_elementwise_kernelILi2EZZZNS0_15sin_kernel_cudaERNS_18TensorIteratorBaseEENKUlvE0_clEvENKUlvE2_clEvEUlN3c108BFloat16EE_St5arrayIPcLm2EEEEviT0_T1_,@function
_ZN2at6native29vectorized_elementwise_kernelILi2EZZZNS0_15sin_kernel_cudaERNS_18TensorIteratorBaseEENKUlvE0_clEvENKUlvE2_clEvEUlN3c108BFloat16EE_St5arrayIPcLm2EEEEviT0_T1_: ; @_ZN2at6native29vectorized_elementwise_kernelILi2EZZZNS0_15sin_kernel_cudaERNS_18TensorIteratorBaseEENKUlvE0_clEvENKUlvE2_clEvEUlN3c108BFloat16EE_St5arrayIPcLm2EEEEviT0_T1_
; %bb.0:
	s_add_u32 s0, s0, s7
	s_load_dword s7, s[4:5], 0x0
	s_load_dwordx4 s[16:19], s[4:5], 0x8
	s_addc_u32 s1, s1, 0
	s_lshl_b32 s4, s6, 11
	s_mov_b64 s[8:9], -1
	s_waitcnt lgkmcnt(0)
	s_sub_i32 s7, s7, s4
	s_cmpk_gt_i32 s7, 0x7ff
	s_mov_b32 s32, 0
	s_cbranch_scc1 .LBB31_3
; %bb.1:
	s_and_b64 vcc, exec, s[8:9]
	s_cbranch_vccnz .LBB31_36
.LBB31_2:
	s_endpgm
.LBB31_3:
	s_ashr_i32 s5, s4, 31
	s_lshl_b64 s[12:13], s[4:5], 1
	s_add_u32 s4, s18, s12
	s_addc_u32 s5, s19, s13
	v_lshlrev_b32_e32 v3, 2, v0
	global_load_dword v6, v3, s[4:5]
	global_load_dword v14, v3, s[4:5] offset:1024
	global_load_dword v17, v3, s[4:5] offset:2048
	;; [unrolled: 1-line block ×3, first 2 shown]
	s_brev_b32 s4, 18
	v_mov_b32_e32 v2, 0
                                        ; implicit-def: $vgpr7
                                        ; implicit-def: $vgpr1
	s_waitcnt vmcnt(3)
	v_lshlrev_b32_e32 v4, 16, v6
	v_and_b32_e32 v5, 0x7fffffff, v4
	v_cmp_nlt_f32_e64 s[4:5], |v4|, s4
	s_and_saveexec_b64 s[8:9], s[4:5]
	s_xor_b64 s[14:15], exec, s[8:9]
	s_cbranch_execz .LBB31_5
; %bb.4:
	v_and_b32_e32 v1, 0x7fffff, v5
	v_or_b32_e32 v20, 0x800000, v1
	s_mov_b32 s4, 0xfe5163ab
	v_mad_u64_u32 v[7:8], s[4:5], v20, s4, 0
	s_mov_b32 s4, 0x3c439041
	v_not_b32_e32 v18, 63
	v_mov_b32_e32 v1, v8
	v_mad_u64_u32 v[8:9], s[4:5], v20, s4, v[1:2]
	s_mov_b32 s4, 0xdb629599
	s_mov_b32 s8, 0xa2f9836e
	v_mov_b32_e32 v1, v9
	v_mad_u64_u32 v[11:12], s[4:5], v20, s4, v[1:2]
	s_mov_b32 s4, 0xf534ddc0
	v_lshrrev_b32_e32 v9, 23, v5
	v_mov_b32_e32 v1, v12
	v_mad_u64_u32 v[12:13], s[4:5], v20, s4, v[1:2]
	s_mov_b32 s4, 0xfc2757d1
	v_add_u32_e32 v9, 0xffffff88, v9
	v_mov_b32_e32 v1, v13
	v_mad_u64_u32 v[15:16], s[4:5], v20, s4, v[1:2]
	v_cmp_lt_u32_e32 vcc, 63, v9
	v_cndmask_b32_e32 v1, 0, v18, vcc
	v_add_u32_e32 v9, v1, v9
	v_mov_b32_e32 v1, v16
	s_mov_b32 s4, 0x4e441529
	v_mad_u64_u32 v[18:19], s[4:5], v20, s4, v[1:2]
	v_not_b32_e32 v13, 31
	v_cmp_lt_u32_e64 s[4:5], 31, v9
	v_cndmask_b32_e64 v1, 0, v13, s[4:5]
	v_add_u32_e32 v9, v1, v9
	v_mov_b32_e32 v1, v19
	v_mad_u64_u32 v[1:2], s[8:9], v20, s8, v[1:2]
	v_cmp_lt_u32_e64 s[8:9], 31, v9
	v_cndmask_b32_e64 v13, 0, v13, s[8:9]
	v_add_u32_e32 v9, v13, v9
	v_cndmask_b32_e32 v13, v18, v12, vcc
	v_cndmask_b32_e32 v1, v1, v15, vcc
	;; [unrolled: 1-line block ×3, first 2 shown]
	v_cndmask_b32_e64 v16, v1, v13, s[4:5]
	v_cndmask_b32_e64 v1, v2, v1, s[4:5]
	v_cndmask_b32_e32 v2, v15, v11, vcc
	v_cndmask_b32_e64 v13, v13, v2, s[4:5]
	v_cndmask_b32_e64 v1, v1, v16, s[8:9]
	;; [unrolled: 1-line block ×3, first 2 shown]
	v_sub_u32_e32 v16, 32, v9
	v_alignbit_b32 v18, v1, v15, v16
	v_cmp_eq_u32_e64 s[10:11], 0, v9
	v_cndmask_b32_e64 v9, v18, v1, s[10:11]
	v_cndmask_b32_e32 v1, v12, v8, vcc
	v_cndmask_b32_e64 v2, v2, v1, s[4:5]
	v_cndmask_b32_e64 v8, v13, v2, s[8:9]
	v_alignbit_b32 v12, v15, v8, v16
	v_cndmask_b32_e32 v7, v11, v7, vcc
	v_cndmask_b32_e64 v12, v12, v15, s[10:11]
	v_bfe_u32 v18, v9, 29, 1
	v_cndmask_b32_e64 v1, v1, v7, s[4:5]
	v_alignbit_b32 v13, v9, v12, 30
	v_sub_u32_e32 v19, 0, v18
	v_cndmask_b32_e64 v1, v2, v1, s[8:9]
	v_xor_b32_e32 v13, v13, v19
	v_alignbit_b32 v2, v8, v1, v16
	v_cndmask_b32_e64 v2, v2, v8, s[10:11]
	v_ffbh_u32_e32 v8, v13
	v_alignbit_b32 v7, v12, v2, 30
	v_min_u32_e32 v8, 32, v8
	v_alignbit_b32 v1, v2, v1, 30
	v_xor_b32_e32 v7, v7, v19
	v_sub_u32_e32 v11, 31, v8
	v_xor_b32_e32 v1, v1, v19
	v_alignbit_b32 v12, v13, v7, v11
	v_alignbit_b32 v1, v7, v1, v11
	;; [unrolled: 1-line block ×3, first 2 shown]
	v_ffbh_u32_e32 v7, v2
	v_min_u32_e32 v7, 32, v7
	v_lshrrev_b32_e32 v15, 29, v9
	v_not_b32_e32 v11, v7
	v_alignbit_b32 v1, v2, v1, v11
	v_lshlrev_b32_e32 v2, 31, v15
	v_or_b32_e32 v11, 0x33000000, v2
	v_add_lshl_u32 v7, v7, v8, 23
	v_lshrrev_b32_e32 v1, 9, v1
	v_sub_u32_e32 v7, v11, v7
	v_or_b32_e32 v2, 0.5, v2
	v_lshlrev_b32_e32 v8, 23, v8
	v_or_b32_e32 v1, v7, v1
	v_lshrrev_b32_e32 v7, 9, v12
	v_sub_u32_e32 v2, v2, v8
	v_or_b32_e32 v2, v7, v2
	s_mov_b32 s4, 0x3fc90fda
	v_mul_f32_e32 v7, 0x3fc90fda, v2
	v_fma_f32 v8, v2, s4, -v7
	v_fmac_f32_e32 v8, 0x33a22168, v2
	v_fmac_f32_e32 v8, 0x3fc90fda, v1
	v_lshrrev_b32_e32 v2, 30, v9
	v_add_f32_e32 v1, v7, v8
	v_add_u32_e32 v7, v18, v2
.LBB31_5:
	s_andn2_saveexec_b64 s[4:5], s[14:15]
	s_cbranch_execz .LBB31_7
; %bb.6:
	s_mov_b32 s8, 0x3f22f983
	v_mul_f32_e64 v1, |v4|, s8
	v_rndne_f32_e32 v2, v1
	s_mov_b32 s8, 0xbfc90fda
	v_cvt_i32_f32_e32 v7, v2
	v_fma_f32 v1, v2, s8, |v4|
	v_fmac_f32_e32 v1, 0xb3a22168, v2
	v_fmac_f32_e32 v1, 0xa7c234c4, v2
.LBB31_7:
	s_or_b64 exec, exec, s[4:5]
	v_and_b32_e32 v2, 0xffff0000, v6
	s_brev_b32 s4, 18
	v_and_b32_e32 v6, 0x7fffffff, v2
	v_cmp_nlt_f32_e64 s[4:5], |v2|, s4
                                        ; implicit-def: $vgpr9
                                        ; implicit-def: $vgpr8
	s_and_saveexec_b64 s[8:9], s[4:5]
	s_xor_b64 s[14:15], exec, s[8:9]
	s_cbranch_execz .LBB31_9
; %bb.8:
	v_and_b32_e32 v8, 0x7fffff, v6
	v_or_b32_e32 v13, 0x800000, v8
	s_mov_b32 s4, 0xfe5163ab
	v_mad_u64_u32 v[8:9], s[4:5], v13, s4, 0
	v_mov_b32_e32 v12, 0
	s_mov_b32 s4, 0x3c439041
	v_mov_b32_e32 v11, v9
	v_mad_u64_u32 v[15:16], s[4:5], v13, s4, v[11:12]
	s_mov_b32 s4, 0xdb629599
	v_lshrrev_b32_e32 v9, 23, v6
	v_mov_b32_e32 v11, v16
	v_mad_u64_u32 v[18:19], s[4:5], v13, s4, v[11:12]
	s_mov_b32 s4, 0xf534ddc0
	v_add_u32_e32 v9, 0xffffff88, v9
	v_mov_b32_e32 v11, v19
	v_mad_u64_u32 v[19:20], s[4:5], v13, s4, v[11:12]
	s_mov_b32 s4, 0xfc2757d1
	v_not_b32_e32 v16, 63
	v_mov_b32_e32 v11, v20
	v_mad_u64_u32 v[20:21], s[4:5], v13, s4, v[11:12]
	v_cmp_lt_u32_e32 vcc, 63, v9
	v_cndmask_b32_e32 v11, 0, v16, vcc
	v_add_u32_e32 v9, v11, v9
	v_mov_b32_e32 v11, v21
	s_mov_b32 s4, 0x4e441529
	v_mad_u64_u32 v[21:22], s[4:5], v13, s4, v[11:12]
	v_not_b32_e32 v16, 31
	v_cmp_lt_u32_e64 s[4:5], 31, v9
	v_cndmask_b32_e64 v11, 0, v16, s[4:5]
	v_add_u32_e32 v9, v11, v9
	v_mov_b32_e32 v11, v22
	s_mov_b32 s8, 0xa2f9836e
	v_mad_u64_u32 v[11:12], s[8:9], v13, s8, v[11:12]
	v_cmp_lt_u32_e64 s[8:9], 31, v9
	v_cndmask_b32_e64 v13, 0, v16, s[8:9]
	v_add_u32_e32 v9, v13, v9
	v_cndmask_b32_e32 v13, v21, v19, vcc
	v_cndmask_b32_e32 v11, v11, v20, vcc
	;; [unrolled: 1-line block ×3, first 2 shown]
	v_cndmask_b32_e64 v16, v11, v13, s[4:5]
	v_cndmask_b32_e64 v11, v12, v11, s[4:5]
	v_cndmask_b32_e32 v12, v20, v18, vcc
	v_cndmask_b32_e64 v13, v13, v12, s[4:5]
	v_cndmask_b32_e64 v11, v11, v16, s[8:9]
	;; [unrolled: 1-line block ×3, first 2 shown]
	v_sub_u32_e32 v20, 32, v9
	v_alignbit_b32 v21, v11, v16, v20
	v_cmp_eq_u32_e64 s[10:11], 0, v9
	v_cndmask_b32_e64 v9, v21, v11, s[10:11]
	v_cndmask_b32_e32 v11, v19, v15, vcc
	v_cndmask_b32_e64 v12, v12, v11, s[4:5]
	v_cndmask_b32_e64 v13, v13, v12, s[8:9]
	v_alignbit_b32 v15, v16, v13, v20
	v_cndmask_b32_e32 v8, v18, v8, vcc
	v_cndmask_b32_e64 v15, v15, v16, s[10:11]
	v_bfe_u32 v21, v9, 29, 1
	v_cndmask_b32_e64 v8, v11, v8, s[4:5]
	v_alignbit_b32 v16, v9, v15, 30
	v_sub_u32_e32 v22, 0, v21
	v_cndmask_b32_e64 v8, v12, v8, s[8:9]
	v_xor_b32_e32 v16, v16, v22
	v_alignbit_b32 v11, v13, v8, v20
	v_cndmask_b32_e64 v11, v11, v13, s[10:11]
	v_ffbh_u32_e32 v13, v16
	v_alignbit_b32 v12, v15, v11, 30
	v_min_u32_e32 v13, 32, v13
	v_alignbit_b32 v8, v11, v8, 30
	v_xor_b32_e32 v12, v12, v22
	v_sub_u32_e32 v15, 31, v13
	v_xor_b32_e32 v8, v8, v22
	v_alignbit_b32 v16, v16, v12, v15
	v_alignbit_b32 v8, v12, v8, v15
	;; [unrolled: 1-line block ×3, first 2 shown]
	v_ffbh_u32_e32 v12, v11
	v_min_u32_e32 v12, 32, v12
	v_lshrrev_b32_e32 v19, 29, v9
	v_not_b32_e32 v15, v12
	v_alignbit_b32 v8, v11, v8, v15
	v_lshlrev_b32_e32 v11, 31, v19
	v_or_b32_e32 v15, 0x33000000, v11
	v_add_lshl_u32 v12, v12, v13, 23
	v_lshrrev_b32_e32 v8, 9, v8
	v_sub_u32_e32 v12, v15, v12
	v_or_b32_e32 v11, 0.5, v11
	v_lshlrev_b32_e32 v13, 23, v13
	v_or_b32_e32 v8, v12, v8
	v_lshrrev_b32_e32 v12, 9, v16
	v_sub_u32_e32 v11, v11, v13
	v_or_b32_e32 v11, v12, v11
	s_mov_b32 s4, 0x3fc90fda
	v_mul_f32_e32 v12, 0x3fc90fda, v11
	v_fma_f32 v13, v11, s4, -v12
	v_fmac_f32_e32 v13, 0x33a22168, v11
	v_fmac_f32_e32 v13, 0x3fc90fda, v8
	v_lshrrev_b32_e32 v9, 30, v9
	v_add_f32_e32 v8, v12, v13
	v_add_u32_e32 v9, v21, v9
.LBB31_9:
	s_andn2_saveexec_b64 s[4:5], s[14:15]
	s_cbranch_execz .LBB31_11
; %bb.10:
	s_mov_b32 s8, 0x3f22f983
	v_mul_f32_e64 v8, |v2|, s8
	v_rndne_f32_e32 v11, v8
	s_mov_b32 s8, 0xbfc90fda
	v_cvt_i32_f32_e32 v9, v11
	v_fma_f32 v8, v11, s8, |v2|
	v_fmac_f32_e32 v8, 0xb3a22168, v11
	v_fmac_f32_e32 v8, 0xa7c234c4, v11
.LBB31_11:
	s_or_b64 exec, exec, s[4:5]
	s_waitcnt vmcnt(2)
	v_lshlrev_b32_e32 v11, 16, v14
	s_brev_b32 s4, 18
	v_and_b32_e32 v12, 0x7fffffff, v11
	v_cmp_nlt_f32_e64 s[4:5], |v11|, s4
                                        ; implicit-def: $vgpr16
                                        ; implicit-def: $vgpr13
	s_and_saveexec_b64 s[8:9], s[4:5]
	s_xor_b64 s[14:15], exec, s[8:9]
	s_cbranch_execz .LBB31_13
; %bb.12:
	v_and_b32_e32 v13, 0x7fffff, v12
	v_or_b32_e32 v13, 0x800000, v13
	s_mov_b32 s4, 0xfe5163ab
	v_mad_u64_u32 v[15:16], s[4:5], v13, s4, 0
	v_mov_b32_e32 v19, 0
	s_mov_b32 s4, 0x3c439041
	v_mov_b32_e32 v18, v16
	v_mad_u64_u32 v[20:21], s[4:5], v13, s4, v[18:19]
	s_mov_b32 s4, 0xdb629599
	v_lshrrev_b32_e32 v16, 23, v12
	v_mov_b32_e32 v18, v21
	v_mad_u64_u32 v[21:22], s[4:5], v13, s4, v[18:19]
	s_mov_b32 s4, 0xf534ddc0
	v_add_u32_e32 v16, 0xffffff88, v16
	v_mov_b32_e32 v18, v22
	v_mad_u64_u32 v[22:23], s[4:5], v13, s4, v[18:19]
	s_mov_b32 s4, 0xfc2757d1
	v_not_b32_e32 v25, 63
	v_mov_b32_e32 v18, v23
	v_mad_u64_u32 v[23:24], s[4:5], v13, s4, v[18:19]
	v_cmp_lt_u32_e32 vcc, 63, v16
	v_cndmask_b32_e32 v18, 0, v25, vcc
	v_add_u32_e32 v16, v18, v16
	v_mov_b32_e32 v18, v24
	s_mov_b32 s4, 0x4e441529
	v_mad_u64_u32 v[24:25], s[4:5], v13, s4, v[18:19]
	v_not_b32_e32 v26, 31
	v_cmp_lt_u32_e64 s[4:5], 31, v16
	v_cndmask_b32_e64 v18, 0, v26, s[4:5]
	v_add_u32_e32 v16, v18, v16
	v_mov_b32_e32 v18, v25
	s_mov_b32 s8, 0xa2f9836e
	v_mad_u64_u32 v[18:19], s[8:9], v13, s8, v[18:19]
	v_cmp_lt_u32_e64 s[8:9], 31, v16
	v_cndmask_b32_e64 v13, 0, v26, s[8:9]
	v_add_u32_e32 v13, v13, v16
	v_cndmask_b32_e32 v16, v24, v22, vcc
	v_cndmask_b32_e32 v18, v18, v23, vcc
	;; [unrolled: 1-line block ×3, first 2 shown]
	v_cndmask_b32_e64 v25, v18, v16, s[4:5]
	v_cndmask_b32_e64 v18, v19, v18, s[4:5]
	v_cndmask_b32_e32 v19, v23, v21, vcc
	v_cndmask_b32_e64 v16, v16, v19, s[4:5]
	v_sub_u32_e32 v24, 32, v13
	v_cmp_eq_u32_e64 s[10:11], 0, v13
	v_cndmask_b32_e32 v13, v22, v20, vcc
	v_cndmask_b32_e64 v18, v18, v25, s[8:9]
	v_cndmask_b32_e64 v23, v25, v16, s[8:9]
	;; [unrolled: 1-line block ×3, first 2 shown]
	v_alignbit_b32 v25, v18, v23, v24
	v_cndmask_b32_e64 v16, v16, v19, s[8:9]
	v_cndmask_b32_e64 v18, v25, v18, s[10:11]
	v_alignbit_b32 v20, v23, v16, v24
	v_cndmask_b32_e32 v15, v21, v15, vcc
	v_cndmask_b32_e64 v20, v20, v23, s[10:11]
	v_bfe_u32 v25, v18, 29, 1
	v_cndmask_b32_e64 v13, v13, v15, s[4:5]
	v_alignbit_b32 v22, v18, v20, 30
	v_sub_u32_e32 v26, 0, v25
	v_cndmask_b32_e64 v13, v19, v13, s[8:9]
	v_xor_b32_e32 v22, v22, v26
	v_alignbit_b32 v15, v16, v13, v24
	v_cndmask_b32_e64 v15, v15, v16, s[10:11]
	v_ffbh_u32_e32 v19, v22
	v_alignbit_b32 v16, v20, v15, 30
	v_min_u32_e32 v19, 32, v19
	v_alignbit_b32 v13, v15, v13, 30
	v_xor_b32_e32 v16, v16, v26
	v_sub_u32_e32 v20, 31, v19
	v_xor_b32_e32 v13, v13, v26
	v_alignbit_b32 v21, v22, v16, v20
	v_alignbit_b32 v13, v16, v13, v20
	;; [unrolled: 1-line block ×3, first 2 shown]
	v_ffbh_u32_e32 v16, v15
	v_min_u32_e32 v16, 32, v16
	v_lshrrev_b32_e32 v23, 29, v18
	v_not_b32_e32 v20, v16
	v_alignbit_b32 v13, v15, v13, v20
	v_lshlrev_b32_e32 v15, 31, v23
	v_or_b32_e32 v20, 0x33000000, v15
	v_add_lshl_u32 v16, v16, v19, 23
	v_lshrrev_b32_e32 v13, 9, v13
	v_sub_u32_e32 v16, v20, v16
	v_or_b32_e32 v15, 0.5, v15
	v_lshlrev_b32_e32 v19, 23, v19
	v_or_b32_e32 v13, v16, v13
	v_lshrrev_b32_e32 v16, 9, v21
	v_sub_u32_e32 v15, v15, v19
	v_or_b32_e32 v15, v16, v15
	s_mov_b32 s4, 0x3fc90fda
	v_mul_f32_e32 v16, 0x3fc90fda, v15
	v_fma_f32 v19, v15, s4, -v16
	v_fmac_f32_e32 v19, 0x33a22168, v15
	v_fmac_f32_e32 v19, 0x3fc90fda, v13
	v_lshrrev_b32_e32 v15, 30, v18
	v_add_f32_e32 v13, v16, v19
	v_add_u32_e32 v16, v25, v15
.LBB31_13:
	s_andn2_saveexec_b64 s[4:5], s[14:15]
	s_cbranch_execz .LBB31_15
; %bb.14:
	s_mov_b32 s8, 0x3f22f983
	v_mul_f32_e64 v13, |v11|, s8
	v_rndne_f32_e32 v15, v13
	s_mov_b32 s8, 0xbfc90fda
	v_cvt_i32_f32_e32 v16, v15
	v_fma_f32 v13, v15, s8, |v11|
	v_fmac_f32_e32 v13, 0xb3a22168, v15
	v_fmac_f32_e32 v13, 0xa7c234c4, v15
.LBB31_15:
	s_or_b64 exec, exec, s[4:5]
	v_and_b32_e32 v14, 0xffff0000, v14
	s_brev_b32 s4, 18
	v_and_b32_e32 v15, 0x7fffffff, v14
	v_cmp_nlt_f32_e64 s[4:5], |v14|, s4
                                        ; implicit-def: $vgpr19
                                        ; implicit-def: $vgpr18
	s_and_saveexec_b64 s[8:9], s[4:5]
	s_xor_b64 s[14:15], exec, s[8:9]
	s_cbranch_execz .LBB31_17
; %bb.16:
	v_and_b32_e32 v18, 0x7fffff, v15
	v_or_b32_e32 v27, 0x800000, v18
	s_mov_b32 s4, 0xfe5163ab
	v_mad_u64_u32 v[18:19], s[4:5], v27, s4, 0
	v_mov_b32_e32 v20, 0
	s_mov_b32 s4, 0x3c439041
	v_mad_u64_u32 v[21:22], s[4:5], v27, s4, v[19:20]
	s_mov_b32 s4, 0xdb629599
	v_not_b32_e32 v26, 63
	v_mov_b32_e32 v19, v22
	v_mad_u64_u32 v[22:23], s[4:5], v27, s4, v[19:20]
	s_mov_b32 s4, 0xf534ddc0
	v_not_b32_e32 v29, 31
	v_mov_b32_e32 v19, v23
	v_mad_u64_u32 v[23:24], s[4:5], v27, s4, v[19:20]
	v_lshrrev_b32_e32 v19, 23, v15
	v_add_u32_e32 v28, 0xffffff88, v19
	v_mov_b32_e32 v19, v24
	s_mov_b32 s4, 0xfc2757d1
	v_mad_u64_u32 v[24:25], s[4:5], v27, s4, v[19:20]
	v_cmp_lt_u32_e32 vcc, 63, v28
	v_cndmask_b32_e32 v19, 0, v26, vcc
	v_add_u32_e32 v28, v19, v28
	v_mov_b32_e32 v19, v25
	s_mov_b32 s4, 0x4e441529
	v_mad_u64_u32 v[25:26], s[4:5], v27, s4, v[19:20]
	v_cmp_lt_u32_e64 s[4:5], 31, v28
	v_cndmask_b32_e64 v19, 0, v29, s[4:5]
	v_add_u32_e32 v28, v19, v28
	v_mov_b32_e32 v19, v26
	s_mov_b32 s8, 0xa2f9836e
	v_mad_u64_u32 v[19:20], s[8:9], v27, s8, v[19:20]
	v_cmp_lt_u32_e64 s[8:9], 31, v28
	v_cndmask_b32_e64 v26, 0, v29, s[8:9]
	v_cndmask_b32_e32 v27, v25, v23, vcc
	v_cndmask_b32_e32 v19, v19, v24, vcc
	;; [unrolled: 1-line block ×3, first 2 shown]
	v_add_u32_e32 v26, v26, v28
	v_cndmask_b32_e64 v28, v19, v27, s[4:5]
	v_cndmask_b32_e64 v19, v20, v19, s[4:5]
	v_cndmask_b32_e32 v20, v24, v22, vcc
	v_cndmask_b32_e64 v24, v27, v20, s[4:5]
	v_cndmask_b32_e32 v21, v23, v21, vcc
	v_cndmask_b32_e64 v19, v19, v28, s[8:9]
	v_cndmask_b32_e64 v25, v28, v24, s[8:9]
	v_sub_u32_e32 v27, 32, v26
	v_cndmask_b32_e64 v20, v20, v21, s[4:5]
	v_alignbit_b32 v28, v19, v25, v27
	v_cmp_eq_u32_e64 s[10:11], 0, v26
	v_cndmask_b32_e64 v23, v24, v20, s[8:9]
	v_cndmask_b32_e64 v19, v28, v19, s[10:11]
	v_alignbit_b32 v24, v25, v23, v27
	v_cndmask_b32_e32 v18, v22, v18, vcc
	v_cndmask_b32_e64 v24, v24, v25, s[10:11]
	v_bfe_u32 v28, v19, 29, 1
	v_cndmask_b32_e64 v18, v21, v18, s[4:5]
	v_alignbit_b32 v25, v19, v24, 30
	v_sub_u32_e32 v29, 0, v28
	v_cndmask_b32_e64 v18, v20, v18, s[8:9]
	v_xor_b32_e32 v25, v25, v29
	v_alignbit_b32 v20, v23, v18, v27
	v_cndmask_b32_e64 v20, v20, v23, s[10:11]
	v_ffbh_u32_e32 v22, v25
	v_alignbit_b32 v21, v24, v20, 30
	v_min_u32_e32 v22, 32, v22
	v_alignbit_b32 v18, v20, v18, 30
	v_xor_b32_e32 v21, v21, v29
	v_sub_u32_e32 v23, 31, v22
	v_xor_b32_e32 v18, v18, v29
	v_alignbit_b32 v24, v25, v21, v23
	v_alignbit_b32 v18, v21, v18, v23
	;; [unrolled: 1-line block ×3, first 2 shown]
	v_ffbh_u32_e32 v21, v20
	v_min_u32_e32 v21, 32, v21
	v_lshrrev_b32_e32 v26, 29, v19
	v_not_b32_e32 v23, v21
	v_alignbit_b32 v18, v20, v18, v23
	v_lshlrev_b32_e32 v20, 31, v26
	v_or_b32_e32 v23, 0x33000000, v20
	v_add_lshl_u32 v21, v21, v22, 23
	v_lshrrev_b32_e32 v18, 9, v18
	v_sub_u32_e32 v21, v23, v21
	v_or_b32_e32 v20, 0.5, v20
	v_lshlrev_b32_e32 v22, 23, v22
	v_or_b32_e32 v18, v21, v18
	v_lshrrev_b32_e32 v21, 9, v24
	v_sub_u32_e32 v20, v20, v22
	v_or_b32_e32 v20, v21, v20
	s_mov_b32 s4, 0x3fc90fda
	v_mul_f32_e32 v21, 0x3fc90fda, v20
	v_fma_f32 v22, v20, s4, -v21
	v_fmac_f32_e32 v22, 0x33a22168, v20
	v_fmac_f32_e32 v22, 0x3fc90fda, v18
	v_lshrrev_b32_e32 v19, 30, v19
	v_add_f32_e32 v18, v21, v22
	v_add_u32_e32 v19, v28, v19
.LBB31_17:
	s_andn2_saveexec_b64 s[4:5], s[14:15]
	s_cbranch_execz .LBB31_19
; %bb.18:
	s_mov_b32 s8, 0x3f22f983
	v_mul_f32_e64 v18, |v14|, s8
	v_rndne_f32_e32 v20, v18
	s_mov_b32 s8, 0xbfc90fda
	v_cvt_i32_f32_e32 v19, v20
	v_fma_f32 v18, v20, s8, |v14|
	v_fmac_f32_e32 v18, 0xb3a22168, v20
	v_fmac_f32_e32 v18, 0xa7c234c4, v20
.LBB31_19:
	s_or_b64 exec, exec, s[4:5]
	s_waitcnt vmcnt(1)
	v_lshlrev_b32_e32 v20, 16, v17
	s_brev_b32 s4, 18
	v_and_b32_e32 v21, 0x7fffffff, v20
	v_cmp_nlt_f32_e64 s[4:5], |v20|, s4
                                        ; implicit-def: $vgpr24
                                        ; implicit-def: $vgpr22
	s_and_saveexec_b64 s[8:9], s[4:5]
	s_xor_b64 s[14:15], exec, s[8:9]
	s_cbranch_execz .LBB31_21
; %bb.20:
	v_and_b32_e32 v22, 0x7fffff, v21
	v_or_b32_e32 v31, 0x800000, v22
	s_mov_b32 s4, 0xfe5163ab
	v_mad_u64_u32 v[22:23], s[4:5], v31, s4, 0
	v_mov_b32_e32 v24, 0
	s_mov_b32 s4, 0x3c439041
	v_mad_u64_u32 v[25:26], s[4:5], v31, s4, v[23:24]
	s_mov_b32 s4, 0xdb629599
	v_not_b32_e32 v30, 63
	v_mov_b32_e32 v23, v26
	v_mad_u64_u32 v[26:27], s[4:5], v31, s4, v[23:24]
	s_mov_b32 s4, 0xf534ddc0
	v_not_b32_e32 v33, 31
	v_mov_b32_e32 v23, v27
	v_mad_u64_u32 v[27:28], s[4:5], v31, s4, v[23:24]
	v_lshrrev_b32_e32 v23, 23, v21
	v_add_u32_e32 v32, 0xffffff88, v23
	v_mov_b32_e32 v23, v28
	s_mov_b32 s4, 0xfc2757d1
	v_mad_u64_u32 v[28:29], s[4:5], v31, s4, v[23:24]
	v_cmp_lt_u32_e32 vcc, 63, v32
	v_cndmask_b32_e32 v23, 0, v30, vcc
	v_add_u32_e32 v32, v23, v32
	v_mov_b32_e32 v23, v29
	s_mov_b32 s4, 0x4e441529
	v_mad_u64_u32 v[29:30], s[4:5], v31, s4, v[23:24]
	v_cmp_lt_u32_e64 s[4:5], 31, v32
	v_cndmask_b32_e64 v23, 0, v33, s[4:5]
	v_add_u32_e32 v32, v23, v32
	v_mov_b32_e32 v23, v30
	s_mov_b32 s8, 0xa2f9836e
	v_mad_u64_u32 v[23:24], s[8:9], v31, s8, v[23:24]
	v_cmp_lt_u32_e64 s[8:9], 31, v32
	v_cndmask_b32_e64 v30, 0, v33, s[8:9]
	v_cndmask_b32_e32 v31, v29, v27, vcc
	v_cndmask_b32_e32 v23, v23, v28, vcc
	v_cndmask_b32_e32 v24, v24, v29, vcc
	v_add_u32_e32 v30, v30, v32
	v_cndmask_b32_e64 v32, v23, v31, s[4:5]
	v_cndmask_b32_e64 v23, v24, v23, s[4:5]
	v_cndmask_b32_e32 v24, v28, v26, vcc
	v_cndmask_b32_e64 v28, v31, v24, s[4:5]
	v_cndmask_b32_e32 v25, v27, v25, vcc
	v_cndmask_b32_e64 v23, v23, v32, s[8:9]
	v_cndmask_b32_e64 v29, v32, v28, s[8:9]
	v_sub_u32_e32 v31, 32, v30
	v_cndmask_b32_e64 v24, v24, v25, s[4:5]
	v_alignbit_b32 v32, v23, v29, v31
	v_cmp_eq_u32_e64 s[10:11], 0, v30
	v_cndmask_b32_e64 v27, v28, v24, s[8:9]
	v_cndmask_b32_e64 v23, v32, v23, s[10:11]
	v_alignbit_b32 v28, v29, v27, v31
	v_cndmask_b32_e32 v22, v26, v22, vcc
	v_cndmask_b32_e64 v28, v28, v29, s[10:11]
	v_bfe_u32 v32, v23, 29, 1
	v_cndmask_b32_e64 v22, v25, v22, s[4:5]
	v_alignbit_b32 v29, v23, v28, 30
	v_sub_u32_e32 v33, 0, v32
	v_cndmask_b32_e64 v22, v24, v22, s[8:9]
	v_xor_b32_e32 v29, v29, v33
	v_alignbit_b32 v24, v27, v22, v31
	v_cndmask_b32_e64 v24, v24, v27, s[10:11]
	v_ffbh_u32_e32 v26, v29
	v_alignbit_b32 v25, v28, v24, 30
	v_min_u32_e32 v26, 32, v26
	v_alignbit_b32 v22, v24, v22, 30
	v_xor_b32_e32 v25, v25, v33
	v_sub_u32_e32 v27, 31, v26
	v_xor_b32_e32 v22, v22, v33
	v_alignbit_b32 v28, v29, v25, v27
	v_alignbit_b32 v22, v25, v22, v27
	;; [unrolled: 1-line block ×3, first 2 shown]
	v_ffbh_u32_e32 v25, v24
	v_min_u32_e32 v25, 32, v25
	v_lshrrev_b32_e32 v30, 29, v23
	v_not_b32_e32 v27, v25
	v_alignbit_b32 v22, v24, v22, v27
	v_lshlrev_b32_e32 v24, 31, v30
	v_or_b32_e32 v27, 0x33000000, v24
	v_add_lshl_u32 v25, v25, v26, 23
	v_lshrrev_b32_e32 v22, 9, v22
	v_sub_u32_e32 v25, v27, v25
	v_or_b32_e32 v24, 0.5, v24
	v_lshlrev_b32_e32 v26, 23, v26
	v_or_b32_e32 v22, v25, v22
	v_lshrrev_b32_e32 v25, 9, v28
	v_sub_u32_e32 v24, v24, v26
	v_or_b32_e32 v24, v25, v24
	s_mov_b32 s4, 0x3fc90fda
	v_mul_f32_e32 v25, 0x3fc90fda, v24
	v_fma_f32 v26, v24, s4, -v25
	v_fmac_f32_e32 v26, 0x33a22168, v24
	v_fmac_f32_e32 v26, 0x3fc90fda, v22
	v_lshrrev_b32_e32 v23, 30, v23
	v_add_f32_e32 v22, v25, v26
	v_add_u32_e32 v24, v32, v23
.LBB31_21:
	s_andn2_saveexec_b64 s[4:5], s[14:15]
	s_cbranch_execz .LBB31_23
; %bb.22:
	s_mov_b32 s8, 0x3f22f983
	v_mul_f32_e64 v22, |v20|, s8
	v_rndne_f32_e32 v23, v22
	s_mov_b32 s8, 0xbfc90fda
	v_cvt_i32_f32_e32 v24, v23
	v_fma_f32 v22, v23, s8, |v20|
	v_fmac_f32_e32 v22, 0xb3a22168, v23
	v_fmac_f32_e32 v22, 0xa7c234c4, v23
.LBB31_23:
	s_or_b64 exec, exec, s[4:5]
	v_and_b32_e32 v17, 0xffff0000, v17
	s_brev_b32 s4, 18
	v_and_b32_e32 v23, 0x7fffffff, v17
	v_cmp_nlt_f32_e64 s[4:5], |v17|, s4
                                        ; implicit-def: $vgpr26
                                        ; implicit-def: $vgpr25
	s_and_saveexec_b64 s[8:9], s[4:5]
	s_xor_b64 s[14:15], exec, s[8:9]
	s_cbranch_execz .LBB31_25
; %bb.24:
	v_and_b32_e32 v25, 0x7fffff, v23
	v_or_b32_e32 v34, 0x800000, v25
	s_mov_b32 s4, 0xfe5163ab
	v_mad_u64_u32 v[25:26], s[4:5], v34, s4, 0
	v_mov_b32_e32 v27, 0
	s_mov_b32 s4, 0x3c439041
	v_mad_u64_u32 v[28:29], s[4:5], v34, s4, v[26:27]
	s_mov_b32 s4, 0xdb629599
	v_not_b32_e32 v33, 63
	v_mov_b32_e32 v26, v29
	v_mad_u64_u32 v[29:30], s[4:5], v34, s4, v[26:27]
	s_mov_b32 s4, 0xf534ddc0
	v_not_b32_e32 v36, 31
	v_mov_b32_e32 v26, v30
	v_mad_u64_u32 v[30:31], s[4:5], v34, s4, v[26:27]
	v_lshrrev_b32_e32 v26, 23, v23
	v_add_u32_e32 v35, 0xffffff88, v26
	v_mov_b32_e32 v26, v31
	s_mov_b32 s4, 0xfc2757d1
	v_mad_u64_u32 v[31:32], s[4:5], v34, s4, v[26:27]
	v_cmp_lt_u32_e32 vcc, 63, v35
	v_cndmask_b32_e32 v26, 0, v33, vcc
	v_add_u32_e32 v35, v26, v35
	v_mov_b32_e32 v26, v32
	s_mov_b32 s4, 0x4e441529
	v_mad_u64_u32 v[32:33], s[4:5], v34, s4, v[26:27]
	v_cmp_lt_u32_e64 s[4:5], 31, v35
	v_cndmask_b32_e64 v26, 0, v36, s[4:5]
	v_add_u32_e32 v35, v26, v35
	v_mov_b32_e32 v26, v33
	s_mov_b32 s8, 0xa2f9836e
	v_mad_u64_u32 v[26:27], s[8:9], v34, s8, v[26:27]
	v_cmp_lt_u32_e64 s[8:9], 31, v35
	v_cndmask_b32_e64 v33, 0, v36, s[8:9]
	v_cndmask_b32_e32 v34, v32, v30, vcc
	v_cndmask_b32_e32 v26, v26, v31, vcc
	v_cndmask_b32_e32 v27, v27, v32, vcc
	v_add_u32_e32 v33, v33, v35
	v_cndmask_b32_e64 v35, v26, v34, s[4:5]
	v_cndmask_b32_e64 v26, v27, v26, s[4:5]
	v_cndmask_b32_e32 v27, v31, v29, vcc
	v_cndmask_b32_e64 v31, v34, v27, s[4:5]
	v_cndmask_b32_e32 v28, v30, v28, vcc
	v_cndmask_b32_e64 v26, v26, v35, s[8:9]
	v_cndmask_b32_e64 v32, v35, v31, s[8:9]
	v_sub_u32_e32 v34, 32, v33
	v_cndmask_b32_e64 v27, v27, v28, s[4:5]
	v_alignbit_b32 v35, v26, v32, v34
	v_cmp_eq_u32_e64 s[10:11], 0, v33
	v_cndmask_b32_e64 v30, v31, v27, s[8:9]
	v_cndmask_b32_e64 v26, v35, v26, s[10:11]
	v_alignbit_b32 v31, v32, v30, v34
	v_cndmask_b32_e32 v25, v29, v25, vcc
	v_cndmask_b32_e64 v31, v31, v32, s[10:11]
	v_bfe_u32 v35, v26, 29, 1
	v_cndmask_b32_e64 v25, v28, v25, s[4:5]
	v_alignbit_b32 v32, v26, v31, 30
	v_sub_u32_e32 v36, 0, v35
	v_cndmask_b32_e64 v25, v27, v25, s[8:9]
	v_xor_b32_e32 v32, v32, v36
	v_alignbit_b32 v27, v30, v25, v34
	v_cndmask_b32_e64 v27, v27, v30, s[10:11]
	v_ffbh_u32_e32 v29, v32
	v_alignbit_b32 v28, v31, v27, 30
	v_min_u32_e32 v29, 32, v29
	v_alignbit_b32 v25, v27, v25, 30
	v_xor_b32_e32 v28, v28, v36
	v_sub_u32_e32 v30, 31, v29
	v_xor_b32_e32 v25, v25, v36
	v_alignbit_b32 v31, v32, v28, v30
	v_alignbit_b32 v25, v28, v25, v30
	v_alignbit_b32 v27, v31, v25, 9
	v_ffbh_u32_e32 v28, v27
	v_min_u32_e32 v28, 32, v28
	v_lshrrev_b32_e32 v33, 29, v26
	v_not_b32_e32 v30, v28
	v_alignbit_b32 v25, v27, v25, v30
	v_lshlrev_b32_e32 v27, 31, v33
	v_or_b32_e32 v30, 0x33000000, v27
	v_add_lshl_u32 v28, v28, v29, 23
	v_lshrrev_b32_e32 v25, 9, v25
	v_sub_u32_e32 v28, v30, v28
	v_or_b32_e32 v27, 0.5, v27
	v_lshlrev_b32_e32 v29, 23, v29
	v_or_b32_e32 v25, v28, v25
	v_lshrrev_b32_e32 v28, 9, v31
	v_sub_u32_e32 v27, v27, v29
	v_or_b32_e32 v27, v28, v27
	s_mov_b32 s4, 0x3fc90fda
	v_mul_f32_e32 v28, 0x3fc90fda, v27
	v_fma_f32 v29, v27, s4, -v28
	v_fmac_f32_e32 v29, 0x33a22168, v27
	v_fmac_f32_e32 v29, 0x3fc90fda, v25
	v_lshrrev_b32_e32 v26, 30, v26
	v_add_f32_e32 v25, v28, v29
	v_add_u32_e32 v26, v35, v26
.LBB31_25:
	s_andn2_saveexec_b64 s[4:5], s[14:15]
	s_cbranch_execz .LBB31_27
; %bb.26:
	s_mov_b32 s8, 0x3f22f983
	v_mul_f32_e64 v25, |v17|, s8
	v_rndne_f32_e32 v27, v25
	s_mov_b32 s8, 0xbfc90fda
	v_cvt_i32_f32_e32 v26, v27
	v_fma_f32 v25, v27, s8, |v17|
	v_fmac_f32_e32 v25, 0xb3a22168, v27
	v_fmac_f32_e32 v25, 0xa7c234c4, v27
.LBB31_27:
	s_or_b64 exec, exec, s[4:5]
	s_waitcnt vmcnt(0)
	v_lshlrev_b32_e32 v28, 16, v10
	s_brev_b32 s4, 18
	v_and_b32_e32 v29, 0x7fffffff, v28
	v_cmp_nlt_f32_e64 s[4:5], |v28|, s4
                                        ; implicit-def: $vgpr33
                                        ; implicit-def: $vgpr32
	s_and_saveexec_b64 s[8:9], s[4:5]
	s_xor_b64 s[14:15], exec, s[8:9]
	s_cbranch_execz .LBB31_29
; %bb.28:
	v_and_b32_e32 v27, 0x7fffff, v29
	v_or_b32_e32 v27, 0x800000, v27
	s_mov_b32 s4, 0xfe5163ab
	v_mad_u64_u32 v[30:31], s[4:5], v27, s4, 0
	v_mov_b32_e32 v32, 0
	s_mov_b32 s4, 0x3c439041
	v_mad_u64_u32 v[33:34], s[4:5], v27, s4, v[31:32]
	s_mov_b32 s4, 0xdb629599
	v_not_b32_e32 v38, 63
	v_mov_b32_e32 v31, v34
	v_mad_u64_u32 v[34:35], s[4:5], v27, s4, v[31:32]
	s_mov_b32 s4, 0xf534ddc0
	v_not_b32_e32 v40, 31
	v_mov_b32_e32 v31, v35
	v_mad_u64_u32 v[35:36], s[4:5], v27, s4, v[31:32]
	v_lshrrev_b32_e32 v31, 23, v29
	v_add_u32_e32 v39, 0xffffff88, v31
	v_mov_b32_e32 v31, v36
	s_mov_b32 s4, 0xfc2757d1
	v_mad_u64_u32 v[36:37], s[4:5], v27, s4, v[31:32]
	v_cmp_lt_u32_e32 vcc, 63, v39
	v_cndmask_b32_e32 v31, 0, v38, vcc
	v_add_u32_e32 v39, v31, v39
	v_mov_b32_e32 v31, v37
	s_mov_b32 s4, 0x4e441529
	v_mad_u64_u32 v[37:38], s[4:5], v27, s4, v[31:32]
	v_cmp_lt_u32_e64 s[4:5], 31, v39
	v_cndmask_b32_e64 v31, 0, v40, s[4:5]
	v_add_u32_e32 v39, v31, v39
	v_mov_b32_e32 v31, v38
	s_mov_b32 s8, 0xa2f9836e
	v_mad_u64_u32 v[31:32], s[8:9], v27, s8, v[31:32]
	v_cmp_lt_u32_e64 s[8:9], 31, v39
	v_cndmask_b32_e64 v27, 0, v40, s[8:9]
	v_cndmask_b32_e32 v38, v37, v35, vcc
	v_cndmask_b32_e32 v31, v31, v36, vcc
	;; [unrolled: 1-line block ×3, first 2 shown]
	v_add_u32_e32 v27, v27, v39
	v_cndmask_b32_e64 v39, v31, v38, s[4:5]
	v_cndmask_b32_e64 v31, v32, v31, s[4:5]
	v_cndmask_b32_e32 v32, v36, v34, vcc
	v_cndmask_b32_e64 v36, v38, v32, s[4:5]
	v_cndmask_b32_e64 v31, v31, v39, s[8:9]
	;; [unrolled: 1-line block ×3, first 2 shown]
	v_sub_u32_e32 v38, 32, v27
	v_alignbit_b32 v39, v31, v37, v38
	v_cmp_eq_u32_e64 s[10:11], 0, v27
	v_cndmask_b32_e64 v27, v39, v31, s[10:11]
	v_cndmask_b32_e32 v31, v35, v33, vcc
	v_cndmask_b32_e64 v32, v32, v31, s[4:5]
	v_cndmask_b32_e64 v33, v36, v32, s[8:9]
	v_alignbit_b32 v35, v37, v33, v38
	v_cndmask_b32_e32 v30, v34, v30, vcc
	v_cndmask_b32_e64 v35, v35, v37, s[10:11]
	v_bfe_u32 v39, v27, 29, 1
	v_cndmask_b32_e64 v30, v31, v30, s[4:5]
	v_alignbit_b32 v36, v27, v35, 30
	v_sub_u32_e32 v40, 0, v39
	v_cndmask_b32_e64 v30, v32, v30, s[8:9]
	v_xor_b32_e32 v36, v36, v40
	v_alignbit_b32 v31, v33, v30, v38
	v_cndmask_b32_e64 v31, v31, v33, s[10:11]
	v_ffbh_u32_e32 v33, v36
	v_alignbit_b32 v32, v35, v31, 30
	v_min_u32_e32 v33, 32, v33
	v_alignbit_b32 v30, v31, v30, 30
	v_xor_b32_e32 v32, v32, v40
	v_sub_u32_e32 v34, 31, v33
	v_xor_b32_e32 v30, v30, v40
	v_alignbit_b32 v35, v36, v32, v34
	v_alignbit_b32 v30, v32, v30, v34
	;; [unrolled: 1-line block ×3, first 2 shown]
	v_ffbh_u32_e32 v32, v31
	v_min_u32_e32 v32, 32, v32
	v_lshrrev_b32_e32 v37, 29, v27
	v_not_b32_e32 v34, v32
	v_alignbit_b32 v30, v31, v30, v34
	v_lshlrev_b32_e32 v31, 31, v37
	v_or_b32_e32 v34, 0x33000000, v31
	v_add_lshl_u32 v32, v32, v33, 23
	v_lshrrev_b32_e32 v30, 9, v30
	v_sub_u32_e32 v32, v34, v32
	v_or_b32_e32 v31, 0.5, v31
	v_lshlrev_b32_e32 v33, 23, v33
	v_or_b32_e32 v30, v32, v30
	v_lshrrev_b32_e32 v32, 9, v35
	v_sub_u32_e32 v31, v31, v33
	v_or_b32_e32 v31, v32, v31
	s_mov_b32 s4, 0x3fc90fda
	v_mul_f32_e32 v32, 0x3fc90fda, v31
	v_fma_f32 v33, v31, s4, -v32
	v_fmac_f32_e32 v33, 0x33a22168, v31
	v_fmac_f32_e32 v33, 0x3fc90fda, v30
	v_lshrrev_b32_e32 v27, 30, v27
	v_add_f32_e32 v32, v32, v33
	v_add_u32_e32 v33, v39, v27
.LBB31_29:
	s_andn2_saveexec_b64 s[4:5], s[14:15]
	s_cbranch_execz .LBB31_31
; %bb.30:
	s_mov_b32 s8, 0x3f22f983
	v_mul_f32_e64 v27, |v28|, s8
	v_rndne_f32_e32 v27, v27
	s_mov_b32 s8, 0xbfc90fda
	v_cvt_i32_f32_e32 v33, v27
	v_fma_f32 v32, v27, s8, |v28|
	v_fmac_f32_e32 v32, 0xb3a22168, v27
	v_fmac_f32_e32 v32, 0xa7c234c4, v27
.LBB31_31:
	s_or_b64 exec, exec, s[4:5]
	v_and_b32_e32 v10, 0xffff0000, v10
	s_brev_b32 s4, 18
	v_and_b32_e32 v27, 0x7fffffff, v10
	v_cmp_nlt_f32_e64 s[4:5], |v10|, s4
                                        ; implicit-def: $vgpr30
                                        ; implicit-def: $vgpr31
	s_and_saveexec_b64 s[8:9], s[4:5]
	s_xor_b64 s[14:15], exec, s[8:9]
	s_cbranch_execz .LBB31_33
; %bb.32:
	v_and_b32_e32 v30, 0x7fffff, v27
	v_or_b32_e32 v42, 0x800000, v30
	s_mov_b32 s4, 0xfe5163ab
	v_mad_u64_u32 v[30:31], s[4:5], v42, s4, 0
	v_mov_b32_e32 v35, 0
	s_mov_b32 s4, 0x3c439041
	v_mov_b32_e32 v34, v31
	v_mad_u64_u32 v[36:37], s[4:5], v42, s4, v[34:35]
	s_mov_b32 s4, 0xdb629599
	v_lshrrev_b32_e32 v31, 23, v27
	v_mov_b32_e32 v34, v37
	v_mad_u64_u32 v[37:38], s[4:5], v42, s4, v[34:35]
	s_mov_b32 s4, 0xf534ddc0
	v_add_u32_e32 v31, 0xffffff88, v31
	v_mov_b32_e32 v34, v38
	v_mad_u64_u32 v[38:39], s[4:5], v42, s4, v[34:35]
	s_mov_b32 s4, 0xfc2757d1
	v_not_b32_e32 v41, 63
	v_mov_b32_e32 v34, v39
	v_mad_u64_u32 v[39:40], s[4:5], v42, s4, v[34:35]
	v_cmp_lt_u32_e32 vcc, 63, v31
	v_cndmask_b32_e32 v34, 0, v41, vcc
	v_add_u32_e32 v31, v34, v31
	v_mov_b32_e32 v34, v40
	s_mov_b32 s4, 0x4e441529
	v_mad_u64_u32 v[40:41], s[4:5], v42, s4, v[34:35]
	v_not_b32_e32 v43, 31
	v_cmp_lt_u32_e64 s[4:5], 31, v31
	v_cndmask_b32_e64 v34, 0, v43, s[4:5]
	v_add_u32_e32 v31, v34, v31
	v_mov_b32_e32 v34, v41
	s_mov_b32 s8, 0xa2f9836e
	v_mad_u64_u32 v[34:35], s[8:9], v42, s8, v[34:35]
	v_cmp_lt_u32_e64 s[8:9], 31, v31
	v_cndmask_b32_e64 v41, 0, v43, s[8:9]
	v_add_u32_e32 v31, v41, v31
	v_cndmask_b32_e32 v41, v40, v38, vcc
	v_cndmask_b32_e32 v34, v34, v39, vcc
	;; [unrolled: 1-line block ×3, first 2 shown]
	v_cndmask_b32_e64 v42, v34, v41, s[4:5]
	v_cndmask_b32_e64 v34, v35, v34, s[4:5]
	v_cndmask_b32_e32 v35, v39, v37, vcc
	v_cndmask_b32_e64 v39, v41, v35, s[4:5]
	v_sub_u32_e32 v41, 32, v31
	v_cmp_eq_u32_e64 s[10:11], 0, v31
	v_cndmask_b32_e32 v31, v38, v36, vcc
	v_cndmask_b32_e64 v34, v34, v42, s[8:9]
	v_cndmask_b32_e64 v40, v42, v39, s[8:9]
	v_cndmask_b32_e64 v35, v35, v31, s[4:5]
	v_alignbit_b32 v42, v34, v40, v41
	v_cndmask_b32_e64 v36, v39, v35, s[8:9]
	v_cndmask_b32_e64 v34, v42, v34, s[10:11]
	v_alignbit_b32 v38, v40, v36, v41
	v_cndmask_b32_e32 v30, v37, v30, vcc
	v_cndmask_b32_e64 v38, v38, v40, s[10:11]
	v_bfe_u32 v42, v34, 29, 1
	v_cndmask_b32_e64 v30, v31, v30, s[4:5]
	v_alignbit_b32 v39, v34, v38, 30
	v_sub_u32_e32 v43, 0, v42
	v_cndmask_b32_e64 v30, v35, v30, s[8:9]
	v_xor_b32_e32 v39, v39, v43
	v_alignbit_b32 v31, v36, v30, v41
	v_cndmask_b32_e64 v31, v31, v36, s[10:11]
	v_ffbh_u32_e32 v36, v39
	v_alignbit_b32 v35, v38, v31, 30
	v_min_u32_e32 v36, 32, v36
	v_alignbit_b32 v30, v31, v30, 30
	v_xor_b32_e32 v35, v35, v43
	v_sub_u32_e32 v37, 31, v36
	v_xor_b32_e32 v30, v30, v43
	v_alignbit_b32 v38, v39, v35, v37
	v_alignbit_b32 v30, v35, v30, v37
	;; [unrolled: 1-line block ×3, first 2 shown]
	v_ffbh_u32_e32 v35, v31
	v_min_u32_e32 v35, 32, v35
	v_lshrrev_b32_e32 v40, 29, v34
	v_not_b32_e32 v37, v35
	v_alignbit_b32 v30, v31, v30, v37
	v_lshlrev_b32_e32 v31, 31, v40
	v_or_b32_e32 v37, 0x33000000, v31
	v_add_lshl_u32 v35, v35, v36, 23
	v_lshrrev_b32_e32 v30, 9, v30
	v_sub_u32_e32 v35, v37, v35
	v_or_b32_e32 v31, 0.5, v31
	v_lshlrev_b32_e32 v36, 23, v36
	v_or_b32_e32 v30, v35, v30
	v_lshrrev_b32_e32 v35, 9, v38
	v_sub_u32_e32 v31, v31, v36
	v_or_b32_e32 v31, v35, v31
	s_mov_b32 s4, 0x3fc90fda
	v_mul_f32_e32 v35, 0x3fc90fda, v31
	v_fma_f32 v36, v31, s4, -v35
	v_fmac_f32_e32 v36, 0x33a22168, v31
	v_fmac_f32_e32 v36, 0x3fc90fda, v30
	v_lshrrev_b32_e32 v30, 30, v34
	v_add_f32_e32 v31, v35, v36
	v_add_u32_e32 v30, v42, v30
.LBB31_33:
	s_andn2_saveexec_b64 s[4:5], s[14:15]
	s_cbranch_execz .LBB31_35
; %bb.34:
	s_mov_b32 s8, 0x3f22f983
	v_mul_f32_e64 v30, |v10|, s8
	v_rndne_f32_e32 v34, v30
	s_mov_b32 s8, 0xbfc90fda
	v_cvt_i32_f32_e32 v30, v34
	v_fma_f32 v31, v34, s8, |v10|
	v_fmac_f32_e32 v31, 0xb3a22168, v34
	v_fmac_f32_e32 v31, 0xa7c234c4, v34
.LBB31_35:
	s_or_b64 exec, exec, s[4:5]
	v_mul_f32_e32 v35, v32, v32
	v_mov_b32_e32 v37, 0x3c0881c4
	v_mov_b32_e32 v39, 0xbab64f3b
	v_fmac_f32_e32 v37, 0xb94c1982, v35
	v_mov_b32_e32 v38, 0xbe2aaa9d
	v_fmac_f32_e32 v39, 0x37d75334, v35
	v_mov_b32_e32 v40, 0x3d2aabf7
	v_fma_f32 v37, v35, v37, v38
	v_fma_f32 v39, v35, v39, v40
	v_mov_b32_e32 v41, 0xbf000004
	v_lshlrev_b32_e32 v34, 30, v33
	v_and_b32_e32 v33, 1, v33
	v_mul_f32_e32 v37, v35, v37
	v_fma_f32 v39, v35, v39, v41
	v_and_b32_e32 v34, 0x80000000, v34
	v_fmac_f32_e32 v32, v32, v37
	v_fma_f32 v35, v35, v39, 1.0
	v_cmp_eq_u32_e32 vcc, 0, v33
	v_cndmask_b32_e32 v32, v35, v32, vcc
	v_xor_b32_e32 v29, v29, v34
	v_mul_f32_e32 v34, v22, v22
	v_mov_b32_e32 v35, 0x3c0881c4
	s_movk_i32 s4, 0x1f8
	v_xor_b32_e32 v29, v29, v32
	v_fmac_f32_e32 v35, 0xb94c1982, v34
	v_xor_b32_e32 v29, v29, v28
	v_mov_b32_e32 v32, 0x7fc00000
	v_cmp_class_f32_e64 vcc, v28, s4
	v_fma_f32 v35, v34, v35, v38
	v_cndmask_b32_e32 v28, v32, v29, vcc
	v_mul_f32_e32 v35, v34, v35
	v_bfe_u32 v29, v28, 16, 1
	s_movk_i32 s5, 0x7fff
	v_fmac_f32_e32 v22, v22, v35
	v_mov_b32_e32 v35, 0xbab64f3b
	v_add3_u32 v29, v28, v29, s5
	v_fmac_f32_e32 v35, 0x37d75334, v34
	v_lshrrev_b32_e32 v29, 16, v29
	v_mov_b32_e32 v33, 0x7fc0
	v_cmp_o_f32_e32 vcc, v28, v28
	v_fma_f32 v35, v34, v35, v40
	v_cndmask_b32_e32 v28, v33, v29, vcc
	v_lshlrev_b32_e32 v29, 30, v24
	v_and_b32_e32 v24, 1, v24
	v_fma_f32 v35, v34, v35, v41
	v_and_b32_e32 v29, 0x80000000, v29
	v_fma_f32 v34, v34, v35, 1.0
	v_cmp_eq_u32_e32 vcc, 0, v24
	v_cndmask_b32_e32 v22, v34, v22, vcc
	v_xor_b32_e32 v21, v21, v29
	v_xor_b32_e32 v21, v21, v22
	v_xor_b32_e32 v21, v21, v20
	v_cmp_class_f32_e64 vcc, v20, s4
	v_cndmask_b32_e32 v20, v32, v21, vcc
	v_bfe_u32 v21, v20, 16, 1
	v_add3_u32 v21, v20, v21, s5
	v_lshrrev_b32_e32 v21, 16, v21
	v_cmp_o_f32_e32 vcc, v20, v20
	v_cndmask_b32_e32 v20, v33, v21, vcc
	v_lshlrev_b32_e32 v21, 30, v26
	v_and_b32_e32 v22, 1, v26
	v_mul_f32_e32 v24, v25, v25
	v_mov_b32_e32 v26, 0x3c0881c4
	v_fmac_f32_e32 v26, 0xb94c1982, v24
	v_fma_f32 v26, v24, v26, v38
	v_mul_f32_e32 v26, v24, v26
	v_fmac_f32_e32 v25, v25, v26
	v_mov_b32_e32 v26, 0xbab64f3b
	v_fmac_f32_e32 v26, 0x37d75334, v24
	v_fma_f32 v26, v24, v26, v40
	v_fma_f32 v26, v24, v26, v41
	v_and_b32_e32 v21, 0x80000000, v21
	v_fma_f32 v24, v24, v26, 1.0
	v_cmp_eq_u32_e32 vcc, 0, v22
	v_cndmask_b32_e32 v22, v24, v25, vcc
	v_xor_b32_e32 v21, v23, v21
	v_xor_b32_e32 v21, v21, v22
	;; [unrolled: 1-line block ×3, first 2 shown]
	v_cmp_class_f32_e64 vcc, v17, s4
	v_cndmask_b32_e32 v17, v32, v21, vcc
	v_bfe_u32 v21, v17, 16, 1
	v_add3_u32 v21, v17, v21, s5
	v_and_b32_e32 v21, 0xffff0000, v21
	v_cmp_o_f32_e32 vcc, v17, v17
	v_cndmask_b32_e32 v17, v32, v21, vcc
	v_mul_f32_e32 v21, v13, v13
	v_mov_b32_e32 v22, 0x3c0881c4
	v_fmac_f32_e32 v22, 0xb94c1982, v21
	v_fma_f32 v22, v21, v22, v38
	v_mul_f32_e32 v22, v21, v22
	v_fmac_f32_e32 v13, v13, v22
	v_mov_b32_e32 v22, 0xbab64f3b
	v_fmac_f32_e32 v22, 0x37d75334, v21
	v_fma_f32 v22, v21, v22, v40
	v_or_b32_e32 v17, v17, v20
	v_lshlrev_b32_e32 v20, 30, v16
	v_and_b32_e32 v16, 1, v16
	v_fma_f32 v22, v21, v22, v41
	v_and_b32_e32 v20, 0x80000000, v20
	v_fma_f32 v21, v21, v22, 1.0
	v_cmp_eq_u32_e32 vcc, 0, v16
	v_cndmask_b32_e32 v13, v21, v13, vcc
	v_xor_b32_e32 v12, v12, v20
	v_xor_b32_e32 v12, v12, v13
	;; [unrolled: 1-line block ×3, first 2 shown]
	v_cmp_class_f32_e64 vcc, v11, s4
	v_cndmask_b32_e32 v11, v32, v12, vcc
	v_bfe_u32 v12, v11, 16, 1
	v_add3_u32 v12, v11, v12, s5
	v_lshrrev_b32_e32 v12, 16, v12
	v_cmp_o_f32_e32 vcc, v11, v11
	v_cndmask_b32_e32 v11, v33, v12, vcc
	v_lshlrev_b32_e32 v12, 30, v19
	v_and_b32_e32 v13, 1, v19
	v_mul_f32_e32 v16, v18, v18
	v_mov_b32_e32 v19, 0x3c0881c4
	v_fmac_f32_e32 v19, 0xb94c1982, v16
	v_fma_f32 v19, v16, v19, v38
	v_mul_f32_e32 v19, v16, v19
	v_fmac_f32_e32 v18, v18, v19
	v_mov_b32_e32 v19, 0xbab64f3b
	v_fmac_f32_e32 v19, 0x37d75334, v16
	v_fma_f32 v19, v16, v19, v40
	v_fma_f32 v19, v16, v19, v41
	v_and_b32_e32 v12, 0x80000000, v12
	v_fma_f32 v16, v16, v19, 1.0
	v_cmp_eq_u32_e32 vcc, 0, v13
	v_cndmask_b32_e32 v13, v16, v18, vcc
	v_xor_b32_e32 v12, v15, v12
	v_xor_b32_e32 v12, v12, v13
	;; [unrolled: 1-line block ×3, first 2 shown]
	v_cmp_class_f32_e64 vcc, v14, s4
	v_cndmask_b32_e32 v12, v32, v12, vcc
	v_bfe_u32 v13, v12, 16, 1
	v_add3_u32 v13, v12, v13, s5
	v_and_b32_e32 v13, 0xffff0000, v13
	v_cmp_o_f32_e32 vcc, v12, v12
	v_cndmask_b32_e32 v12, v32, v13, vcc
	v_mul_f32_e32 v13, v1, v1
	v_mov_b32_e32 v14, 0x3c0881c4
	v_fmac_f32_e32 v14, 0xb94c1982, v13
	v_fma_f32 v14, v13, v14, v38
	v_mul_f32_e32 v14, v13, v14
	v_fmac_f32_e32 v1, v1, v14
	v_mov_b32_e32 v14, 0xbab64f3b
	v_fmac_f32_e32 v14, 0x37d75334, v13
	v_fma_f32 v14, v13, v14, v40
	v_or_b32_e32 v11, v12, v11
	v_lshlrev_b32_e32 v12, 30, v7
	v_and_b32_e32 v7, 1, v7
	v_fma_f32 v14, v13, v14, v41
	v_and_b32_e32 v12, 0x80000000, v12
	v_fma_f32 v13, v13, v14, 1.0
	v_cmp_eq_u32_e32 vcc, 0, v7
	v_cndmask_b32_e32 v1, v13, v1, vcc
	v_xor_b32_e32 v5, v5, v12
	v_xor_b32_e32 v1, v5, v1
	;; [unrolled: 1-line block ×3, first 2 shown]
	v_cmp_class_f32_e64 vcc, v4, s4
	v_cndmask_b32_e32 v1, v32, v1, vcc
	v_bfe_u32 v4, v1, 16, 1
	v_add3_u32 v4, v1, v4, s5
	v_lshrrev_b32_e32 v4, 16, v4
	v_cmp_o_f32_e32 vcc, v1, v1
	v_cndmask_b32_e32 v1, v33, v4, vcc
	v_lshlrev_b32_e32 v4, 30, v9
	v_and_b32_e32 v5, 1, v9
	v_mul_f32_e32 v7, v8, v8
	v_mov_b32_e32 v9, 0x3c0881c4
	v_fmac_f32_e32 v9, 0xb94c1982, v7
	v_fma_f32 v9, v7, v9, v38
	v_mul_f32_e32 v9, v7, v9
	v_fmac_f32_e32 v8, v8, v9
	v_mov_b32_e32 v9, 0xbab64f3b
	v_fmac_f32_e32 v9, 0x37d75334, v7
	v_fma_f32 v9, v7, v9, v40
	v_fma_f32 v9, v7, v9, v41
	v_and_b32_e32 v4, 0x80000000, v4
	v_fma_f32 v7, v7, v9, 1.0
	v_cmp_eq_u32_e32 vcc, 0, v5
	v_cndmask_b32_e32 v5, v7, v8, vcc
	v_xor_b32_e32 v4, v6, v4
	v_xor_b32_e32 v4, v4, v5
	;; [unrolled: 1-line block ×3, first 2 shown]
	v_cmp_class_f32_e64 vcc, v2, s4
	v_cndmask_b32_e32 v2, v32, v4, vcc
	v_bfe_u32 v4, v2, 16, 1
	v_add3_u32 v4, v2, v4, s5
	v_and_b32_e32 v4, 0xffff0000, v4
	v_cmp_o_f32_e32 vcc, v2, v2
	v_cndmask_b32_e32 v2, v32, v4, vcc
	v_mov_b32_e32 v36, 0x3c0881c4
	v_or_b32_e32 v1, v2, v1
	v_mul_f32_e32 v2, v31, v31
	v_fmac_f32_e32 v36, 0xb94c1982, v2
	v_mov_b32_e32 v37, 0xbab64f3b
	v_fmac_f32_e32 v38, v2, v36
	v_mul_f32_e32 v4, v2, v38
	v_fmac_f32_e32 v37, 0x37d75334, v2
	v_fmac_f32_e32 v31, v31, v4
	;; [unrolled: 1-line block ×3, first 2 shown]
	v_and_b32_e32 v4, 1, v30
	v_fmac_f32_e32 v41, v2, v40
	v_cmp_eq_u32_e32 vcc, 0, v4
	v_lshlrev_b32_e32 v4, 30, v30
	v_fma_f32 v2, v2, v41, 1.0
	v_and_b32_e32 v4, 0x80000000, v4
	v_cndmask_b32_e32 v2, v2, v31, vcc
	v_xor_b32_e32 v4, v27, v4
	v_xor_b32_e32 v2, v4, v2
	;; [unrolled: 1-line block ×3, first 2 shown]
	v_cmp_class_f32_e64 vcc, v10, s4
	v_cndmask_b32_e32 v2, v32, v2, vcc
	v_bfe_u32 v4, v2, 16, 1
	v_add3_u32 v4, v2, v4, s5
	v_and_b32_e32 v4, 0xffff0000, v4
	v_cmp_o_f32_e32 vcc, v2, v2
	s_add_u32 s4, s16, s12
	v_cndmask_b32_e32 v2, v32, v4, vcc
	s_addc_u32 s5, s17, s13
	v_or_b32_e32 v2, v2, v28
	global_store_dword v3, v1, s[4:5]
	global_store_dword v3, v11, s[4:5] offset:1024
	global_store_dword v3, v17, s[4:5] offset:2048
	;; [unrolled: 1-line block ×3, first 2 shown]
	s_branch .LBB31_2
.LBB31_36:
	s_getpc_b64 s[4:5]
	s_add_u32 s4, s4, _ZN2at6native25elementwise_kernel_helperILb0EZZZNS0_15sin_kernel_cudaERNS_18TensorIteratorBaseEENKUlvE0_clEvENKUlvE2_clEvEUlN3c108BFloat16EE_NS0_6memory8policies11unroll_baseILi256ESt5arrayIPcLm2EE23TrivialOffsetCalculatorILi1EjESG_NS9_15LoadWithoutCastENS9_16StoreWithoutCastELi8ELi1EEEEEvT0_T1_@rel32@lo+4
	s_addc_u32 s5, s5, _ZN2at6native25elementwise_kernel_helperILb0EZZZNS0_15sin_kernel_cudaERNS_18TensorIteratorBaseEENKUlvE0_clEvENKUlvE2_clEvEUlN3c108BFloat16EE_NS0_6memory8policies11unroll_baseILi256ESt5arrayIPcLm2EE23TrivialOffsetCalculatorILi1EjESG_NS9_15LoadWithoutCastENS9_16StoreWithoutCastELi8ELi1EEEEEvT0_T1_@rel32@hi+12
	s_mov_b32 s12, s6
	v_mov_b32_e32 v31, v0
	v_mov_b32_e32 v0, s16
	v_mov_b32_e32 v1, s17
	v_mov_b32_e32 v2, s18
	v_mov_b32_e32 v3, s19
	v_mov_b32_e32 v4, s7
	s_swappc_b64 s[30:31], s[4:5]
	s_endpgm
	.section	.rodata,"a",@progbits
	.p2align	6, 0x0
	.amdhsa_kernel _ZN2at6native29vectorized_elementwise_kernelILi2EZZZNS0_15sin_kernel_cudaERNS_18TensorIteratorBaseEENKUlvE0_clEvENKUlvE2_clEvEUlN3c108BFloat16EE_St5arrayIPcLm2EEEEviT0_T1_
		.amdhsa_group_segment_fixed_size 0
		.amdhsa_private_segment_fixed_size 0
		.amdhsa_kernarg_size 24
		.amdhsa_user_sgpr_count 6
		.amdhsa_user_sgpr_private_segment_buffer 1
		.amdhsa_user_sgpr_dispatch_ptr 0
		.amdhsa_user_sgpr_queue_ptr 0
		.amdhsa_user_sgpr_kernarg_segment_ptr 1
		.amdhsa_user_sgpr_dispatch_id 0
		.amdhsa_user_sgpr_flat_scratch_init 0
		.amdhsa_user_sgpr_private_segment_size 0
		.amdhsa_uses_dynamic_stack 0
		.amdhsa_system_sgpr_private_segment_wavefront_offset 0
		.amdhsa_system_sgpr_workgroup_id_x 1
		.amdhsa_system_sgpr_workgroup_id_y 0
		.amdhsa_system_sgpr_workgroup_id_z 0
		.amdhsa_system_sgpr_workgroup_info 0
		.amdhsa_system_vgpr_workitem_id 0
		.amdhsa_next_free_vgpr 44
		.amdhsa_next_free_sgpr 33
		.amdhsa_reserve_vcc 1
		.amdhsa_reserve_flat_scratch 0
		.amdhsa_float_round_mode_32 0
		.amdhsa_float_round_mode_16_64 0
		.amdhsa_float_denorm_mode_32 3
		.amdhsa_float_denorm_mode_16_64 3
		.amdhsa_dx10_clamp 1
		.amdhsa_ieee_mode 1
		.amdhsa_fp16_overflow 0
		.amdhsa_exception_fp_ieee_invalid_op 0
		.amdhsa_exception_fp_denorm_src 0
		.amdhsa_exception_fp_ieee_div_zero 0
		.amdhsa_exception_fp_ieee_overflow 0
		.amdhsa_exception_fp_ieee_underflow 0
		.amdhsa_exception_fp_ieee_inexact 0
		.amdhsa_exception_int_div_zero 0
	.end_amdhsa_kernel
	.section	.text._ZN2at6native29vectorized_elementwise_kernelILi2EZZZNS0_15sin_kernel_cudaERNS_18TensorIteratorBaseEENKUlvE0_clEvENKUlvE2_clEvEUlN3c108BFloat16EE_St5arrayIPcLm2EEEEviT0_T1_,"axG",@progbits,_ZN2at6native29vectorized_elementwise_kernelILi2EZZZNS0_15sin_kernel_cudaERNS_18TensorIteratorBaseEENKUlvE0_clEvENKUlvE2_clEvEUlN3c108BFloat16EE_St5arrayIPcLm2EEEEviT0_T1_,comdat
.Lfunc_end31:
	.size	_ZN2at6native29vectorized_elementwise_kernelILi2EZZZNS0_15sin_kernel_cudaERNS_18TensorIteratorBaseEENKUlvE0_clEvENKUlvE2_clEvEUlN3c108BFloat16EE_St5arrayIPcLm2EEEEviT0_T1_, .Lfunc_end31-_ZN2at6native29vectorized_elementwise_kernelILi2EZZZNS0_15sin_kernel_cudaERNS_18TensorIteratorBaseEENKUlvE0_clEvENKUlvE2_clEvEUlN3c108BFloat16EE_St5arrayIPcLm2EEEEviT0_T1_
                                        ; -- End function
	.set _ZN2at6native29vectorized_elementwise_kernelILi2EZZZNS0_15sin_kernel_cudaERNS_18TensorIteratorBaseEENKUlvE0_clEvENKUlvE2_clEvEUlN3c108BFloat16EE_St5arrayIPcLm2EEEEviT0_T1_.num_vgpr, max(44, .L_ZN2at6native25elementwise_kernel_helperILb0EZZZNS0_15sin_kernel_cudaERNS_18TensorIteratorBaseEENKUlvE0_clEvENKUlvE2_clEvEUlN3c108BFloat16EE_NS0_6memory8policies11unroll_baseILi256ESt5arrayIPcLm2EE23TrivialOffsetCalculatorILi1EjESG_NS9_15LoadWithoutCastENS9_16StoreWithoutCastELi8ELi1EEEEEvT0_T1_.num_vgpr)
	.set _ZN2at6native29vectorized_elementwise_kernelILi2EZZZNS0_15sin_kernel_cudaERNS_18TensorIteratorBaseEENKUlvE0_clEvENKUlvE2_clEvEUlN3c108BFloat16EE_St5arrayIPcLm2EEEEviT0_T1_.num_agpr, max(0, .L_ZN2at6native25elementwise_kernel_helperILb0EZZZNS0_15sin_kernel_cudaERNS_18TensorIteratorBaseEENKUlvE0_clEvENKUlvE2_clEvEUlN3c108BFloat16EE_NS0_6memory8policies11unroll_baseILi256ESt5arrayIPcLm2EE23TrivialOffsetCalculatorILi1EjESG_NS9_15LoadWithoutCastENS9_16StoreWithoutCastELi8ELi1EEEEEvT0_T1_.num_agpr)
	.set _ZN2at6native29vectorized_elementwise_kernelILi2EZZZNS0_15sin_kernel_cudaERNS_18TensorIteratorBaseEENKUlvE0_clEvENKUlvE2_clEvEUlN3c108BFloat16EE_St5arrayIPcLm2EEEEviT0_T1_.numbered_sgpr, max(33, .L_ZN2at6native25elementwise_kernel_helperILb0EZZZNS0_15sin_kernel_cudaERNS_18TensorIteratorBaseEENKUlvE0_clEvENKUlvE2_clEvEUlN3c108BFloat16EE_NS0_6memory8policies11unroll_baseILi256ESt5arrayIPcLm2EE23TrivialOffsetCalculatorILi1EjESG_NS9_15LoadWithoutCastENS9_16StoreWithoutCastELi8ELi1EEEEEvT0_T1_.numbered_sgpr)
	.set _ZN2at6native29vectorized_elementwise_kernelILi2EZZZNS0_15sin_kernel_cudaERNS_18TensorIteratorBaseEENKUlvE0_clEvENKUlvE2_clEvEUlN3c108BFloat16EE_St5arrayIPcLm2EEEEviT0_T1_.num_named_barrier, max(0, .L_ZN2at6native25elementwise_kernel_helperILb0EZZZNS0_15sin_kernel_cudaERNS_18TensorIteratorBaseEENKUlvE0_clEvENKUlvE2_clEvEUlN3c108BFloat16EE_NS0_6memory8policies11unroll_baseILi256ESt5arrayIPcLm2EE23TrivialOffsetCalculatorILi1EjESG_NS9_15LoadWithoutCastENS9_16StoreWithoutCastELi8ELi1EEEEEvT0_T1_.num_named_barrier)
	.set _ZN2at6native29vectorized_elementwise_kernelILi2EZZZNS0_15sin_kernel_cudaERNS_18TensorIteratorBaseEENKUlvE0_clEvENKUlvE2_clEvEUlN3c108BFloat16EE_St5arrayIPcLm2EEEEviT0_T1_.private_seg_size, 0+max(.L_ZN2at6native25elementwise_kernel_helperILb0EZZZNS0_15sin_kernel_cudaERNS_18TensorIteratorBaseEENKUlvE0_clEvENKUlvE2_clEvEUlN3c108BFloat16EE_NS0_6memory8policies11unroll_baseILi256ESt5arrayIPcLm2EE23TrivialOffsetCalculatorILi1EjESG_NS9_15LoadWithoutCastENS9_16StoreWithoutCastELi8ELi1EEEEEvT0_T1_.private_seg_size)
	.set _ZN2at6native29vectorized_elementwise_kernelILi2EZZZNS0_15sin_kernel_cudaERNS_18TensorIteratorBaseEENKUlvE0_clEvENKUlvE2_clEvEUlN3c108BFloat16EE_St5arrayIPcLm2EEEEviT0_T1_.uses_vcc, or(1, .L_ZN2at6native25elementwise_kernel_helperILb0EZZZNS0_15sin_kernel_cudaERNS_18TensorIteratorBaseEENKUlvE0_clEvENKUlvE2_clEvEUlN3c108BFloat16EE_NS0_6memory8policies11unroll_baseILi256ESt5arrayIPcLm2EE23TrivialOffsetCalculatorILi1EjESG_NS9_15LoadWithoutCastENS9_16StoreWithoutCastELi8ELi1EEEEEvT0_T1_.uses_vcc)
	.set _ZN2at6native29vectorized_elementwise_kernelILi2EZZZNS0_15sin_kernel_cudaERNS_18TensorIteratorBaseEENKUlvE0_clEvENKUlvE2_clEvEUlN3c108BFloat16EE_St5arrayIPcLm2EEEEviT0_T1_.uses_flat_scratch, or(0, .L_ZN2at6native25elementwise_kernel_helperILb0EZZZNS0_15sin_kernel_cudaERNS_18TensorIteratorBaseEENKUlvE0_clEvENKUlvE2_clEvEUlN3c108BFloat16EE_NS0_6memory8policies11unroll_baseILi256ESt5arrayIPcLm2EE23TrivialOffsetCalculatorILi1EjESG_NS9_15LoadWithoutCastENS9_16StoreWithoutCastELi8ELi1EEEEEvT0_T1_.uses_flat_scratch)
	.set _ZN2at6native29vectorized_elementwise_kernelILi2EZZZNS0_15sin_kernel_cudaERNS_18TensorIteratorBaseEENKUlvE0_clEvENKUlvE2_clEvEUlN3c108BFloat16EE_St5arrayIPcLm2EEEEviT0_T1_.has_dyn_sized_stack, or(0, .L_ZN2at6native25elementwise_kernel_helperILb0EZZZNS0_15sin_kernel_cudaERNS_18TensorIteratorBaseEENKUlvE0_clEvENKUlvE2_clEvEUlN3c108BFloat16EE_NS0_6memory8policies11unroll_baseILi256ESt5arrayIPcLm2EE23TrivialOffsetCalculatorILi1EjESG_NS9_15LoadWithoutCastENS9_16StoreWithoutCastELi8ELi1EEEEEvT0_T1_.has_dyn_sized_stack)
	.set _ZN2at6native29vectorized_elementwise_kernelILi2EZZZNS0_15sin_kernel_cudaERNS_18TensorIteratorBaseEENKUlvE0_clEvENKUlvE2_clEvEUlN3c108BFloat16EE_St5arrayIPcLm2EEEEviT0_T1_.has_recursion, or(0, .L_ZN2at6native25elementwise_kernel_helperILb0EZZZNS0_15sin_kernel_cudaERNS_18TensorIteratorBaseEENKUlvE0_clEvENKUlvE2_clEvEUlN3c108BFloat16EE_NS0_6memory8policies11unroll_baseILi256ESt5arrayIPcLm2EE23TrivialOffsetCalculatorILi1EjESG_NS9_15LoadWithoutCastENS9_16StoreWithoutCastELi8ELi1EEEEEvT0_T1_.has_recursion)
	.set _ZN2at6native29vectorized_elementwise_kernelILi2EZZZNS0_15sin_kernel_cudaERNS_18TensorIteratorBaseEENKUlvE0_clEvENKUlvE2_clEvEUlN3c108BFloat16EE_St5arrayIPcLm2EEEEviT0_T1_.has_indirect_call, or(0, .L_ZN2at6native25elementwise_kernel_helperILb0EZZZNS0_15sin_kernel_cudaERNS_18TensorIteratorBaseEENKUlvE0_clEvENKUlvE2_clEvEUlN3c108BFloat16EE_NS0_6memory8policies11unroll_baseILi256ESt5arrayIPcLm2EE23TrivialOffsetCalculatorILi1EjESG_NS9_15LoadWithoutCastENS9_16StoreWithoutCastELi8ELi1EEEEEvT0_T1_.has_indirect_call)
	.section	.AMDGPU.csdata,"",@progbits
; Kernel info:
; codeLenInByte = 7116
; TotalNumSgprs: 37
; NumVgprs: 44
; ScratchSize: 0
; MemoryBound: 0
; FloatMode: 240
; IeeeMode: 1
; LDSByteSize: 0 bytes/workgroup (compile time only)
; SGPRBlocks: 4
; VGPRBlocks: 10
; NumSGPRsForWavesPerEU: 37
; NumVGPRsForWavesPerEU: 44
; Occupancy: 5
; WaveLimiterHint : 1
; COMPUTE_PGM_RSRC2:SCRATCH_EN: 0
; COMPUTE_PGM_RSRC2:USER_SGPR: 6
; COMPUTE_PGM_RSRC2:TRAP_HANDLER: 0
; COMPUTE_PGM_RSRC2:TGID_X_EN: 1
; COMPUTE_PGM_RSRC2:TGID_Y_EN: 0
; COMPUTE_PGM_RSRC2:TGID_Z_EN: 0
; COMPUTE_PGM_RSRC2:TIDIG_COMP_CNT: 0
	.section	.text._ZN2at6native27unrolled_elementwise_kernelIZZZNS0_15sin_kernel_cudaERNS_18TensorIteratorBaseEENKUlvE0_clEvENKUlvE2_clEvEUlN3c108BFloat16EE_St5arrayIPcLm2EELi4E23TrivialOffsetCalculatorILi1EjESD_NS0_6memory15LoadWithoutCastENSE_16StoreWithoutCastEEEviT_T0_T2_T3_T4_T5_,"axG",@progbits,_ZN2at6native27unrolled_elementwise_kernelIZZZNS0_15sin_kernel_cudaERNS_18TensorIteratorBaseEENKUlvE0_clEvENKUlvE2_clEvEUlN3c108BFloat16EE_St5arrayIPcLm2EELi4E23TrivialOffsetCalculatorILi1EjESD_NS0_6memory15LoadWithoutCastENSE_16StoreWithoutCastEEEviT_T0_T2_T3_T4_T5_,comdat
	.globl	_ZN2at6native27unrolled_elementwise_kernelIZZZNS0_15sin_kernel_cudaERNS_18TensorIteratorBaseEENKUlvE0_clEvENKUlvE2_clEvEUlN3c108BFloat16EE_St5arrayIPcLm2EELi4E23TrivialOffsetCalculatorILi1EjESD_NS0_6memory15LoadWithoutCastENSE_16StoreWithoutCastEEEviT_T0_T2_T3_T4_T5_ ; -- Begin function _ZN2at6native27unrolled_elementwise_kernelIZZZNS0_15sin_kernel_cudaERNS_18TensorIteratorBaseEENKUlvE0_clEvENKUlvE2_clEvEUlN3c108BFloat16EE_St5arrayIPcLm2EELi4E23TrivialOffsetCalculatorILi1EjESD_NS0_6memory15LoadWithoutCastENSE_16StoreWithoutCastEEEviT_T0_T2_T3_T4_T5_
	.p2align	8
	.type	_ZN2at6native27unrolled_elementwise_kernelIZZZNS0_15sin_kernel_cudaERNS_18TensorIteratorBaseEENKUlvE0_clEvENKUlvE2_clEvEUlN3c108BFloat16EE_St5arrayIPcLm2EELi4E23TrivialOffsetCalculatorILi1EjESD_NS0_6memory15LoadWithoutCastENSE_16StoreWithoutCastEEEviT_T0_T2_T3_T4_T5_,@function
_ZN2at6native27unrolled_elementwise_kernelIZZZNS0_15sin_kernel_cudaERNS_18TensorIteratorBaseEENKUlvE0_clEvENKUlvE2_clEvEUlN3c108BFloat16EE_St5arrayIPcLm2EELi4E23TrivialOffsetCalculatorILi1EjESD_NS0_6memory15LoadWithoutCastENSE_16StoreWithoutCastEEEviT_T0_T2_T3_T4_T5_: ; @_ZN2at6native27unrolled_elementwise_kernelIZZZNS0_15sin_kernel_cudaERNS_18TensorIteratorBaseEENKUlvE0_clEvENKUlvE2_clEvEUlN3c108BFloat16EE_St5arrayIPcLm2EELi4E23TrivialOffsetCalculatorILi1EjESD_NS0_6memory15LoadWithoutCastENSE_16StoreWithoutCastEEEviT_T0_T2_T3_T4_T5_
; %bb.0:
	s_load_dword s0, s[4:5], 0x0
	s_load_dwordx4 s[8:11], s[4:5], 0x8
	s_lshl_b32 s14, s6, 10
	v_mov_b32_e32 v6, 0
	v_or_b32_e32 v1, s14, v0
	s_waitcnt lgkmcnt(0)
	s_sub_i32 s15, s0, s14
	v_cmp_gt_i32_e64 s[0:1], s15, v0
	v_mov_b32_e32 v5, 0
	v_mov_b32_e32 v3, v0
	s_and_saveexec_b64 s[2:3], s[0:1]
	s_cbranch_execz .LBB32_2
; %bb.1:
	v_mov_b32_e32 v2, 0
	v_lshlrev_b64 v[2:3], 1, v[1:2]
	v_mov_b32_e32 v4, s11
	v_add_co_u32_e32 v2, vcc, s10, v2
	v_addc_co_u32_e32 v3, vcc, v4, v3, vcc
	global_load_ushort v2, v[2:3], off
	v_or_b32_e32 v3, 0x100, v0
	s_waitcnt vmcnt(0)
	v_lshlrev_b32_e32 v5, 16, v2
.LBB32_2:
	s_or_b64 exec, exec, s[2:3]
	v_cmp_gt_i32_e32 vcc, s15, v3
	s_and_saveexec_b64 s[2:3], vcc
	s_cbranch_execz .LBB32_4
; %bb.3:
	v_add_u32_e32 v6, s14, v3
	v_mov_b32_e32 v7, 0
	v_lshlrev_b64 v[6:7], 1, v[6:7]
	v_mov_b32_e32 v2, s11
	v_add_co_u32_e32 v6, vcc, s10, v6
	v_addc_co_u32_e32 v7, vcc, v2, v7, vcc
	global_load_ushort v2, v[6:7], off
	v_add_u32_e32 v3, 0x100, v3
	s_waitcnt vmcnt(0)
	v_lshlrev_b32_e32 v6, 16, v2
.LBB32_4:
	s_or_b64 exec, exec, s[2:3]
	v_cmp_gt_i32_e32 vcc, s15, v3
	v_mov_b32_e32 v2, 0
	v_mov_b32_e32 v4, 0
	s_and_saveexec_b64 s[2:3], vcc
	s_cbranch_execnz .LBB32_7
; %bb.5:
	s_or_b64 exec, exec, s[2:3]
	v_cmp_gt_i32_e32 vcc, s15, v3
	s_and_saveexec_b64 s[2:3], vcc
	s_cbranch_execnz .LBB32_8
.LBB32_6:
	s_or_b64 exec, exec, s[2:3]
                                        ; implicit-def: $vgpr3
	s_and_saveexec_b64 s[10:11], s[0:1]
	s_cbranch_execnz .LBB32_9
	s_branch .LBB32_14
.LBB32_7:
	v_add_u32_e32 v7, s14, v3
	v_mov_b32_e32 v8, 0
	v_lshlrev_b64 v[7:8], 1, v[7:8]
	v_mov_b32_e32 v4, s11
	v_add_co_u32_e32 v7, vcc, s10, v7
	v_addc_co_u32_e32 v8, vcc, v4, v8, vcc
	global_load_ushort v4, v[7:8], off
	v_add_u32_e32 v3, 0x100, v3
	s_waitcnt vmcnt(0)
	v_lshlrev_b32_e32 v4, 16, v4
	s_or_b64 exec, exec, s[2:3]
	v_cmp_gt_i32_e32 vcc, s15, v3
	s_and_saveexec_b64 s[2:3], vcc
	s_cbranch_execz .LBB32_6
.LBB32_8:
	v_add_u32_e32 v2, s14, v3
	v_mov_b32_e32 v3, 0
	v_lshlrev_b64 v[2:3], 1, v[2:3]
	v_mov_b32_e32 v7, s11
	v_add_co_u32_e32 v2, vcc, s10, v2
	v_addc_co_u32_e32 v3, vcc, v7, v3, vcc
	global_load_ushort v2, v[2:3], off
	s_waitcnt vmcnt(0)
	v_lshlrev_b32_e32 v2, 16, v2
	s_or_b64 exec, exec, s[2:3]
                                        ; implicit-def: $vgpr3
	s_and_saveexec_b64 s[10:11], s[0:1]
	s_cbranch_execz .LBB32_14
.LBB32_9:
	s_brev_b32 s2, 18
	v_and_b32_e32 v3, 0x7fffffff, v5
	v_cmp_nlt_f32_e64 s[2:3], |v5|, s2
                                        ; implicit-def: $vgpr7
                                        ; implicit-def: $vgpr8
	s_and_saveexec_b64 s[4:5], s[2:3]
	s_xor_b64 s[12:13], exec, s[4:5]
	s_cbranch_execz .LBB32_11
; %bb.10:
	v_and_b32_e32 v7, 0x7fffff, v3
	v_or_b32_e32 v16, 0x800000, v7
	s_mov_b32 s2, 0xfe5163ab
	v_mad_u64_u32 v[7:8], s[2:3], v16, s2, 0
	v_mov_b32_e32 v9, 0
	s_mov_b32 s2, 0x3c439041
	v_mad_u64_u32 v[10:11], s[2:3], v16, s2, v[8:9]
	s_mov_b32 s2, 0xdb629599
	v_not_b32_e32 v15, 63
	v_mov_b32_e32 v8, v11
	v_mad_u64_u32 v[11:12], s[2:3], v16, s2, v[8:9]
	s_mov_b32 s2, 0xf534ddc0
	v_not_b32_e32 v18, 31
	v_mov_b32_e32 v8, v12
	v_mad_u64_u32 v[12:13], s[2:3], v16, s2, v[8:9]
	v_lshrrev_b32_e32 v8, 23, v3
	v_add_u32_e32 v17, 0xffffff88, v8
	v_mov_b32_e32 v8, v13
	s_mov_b32 s2, 0xfc2757d1
	v_mad_u64_u32 v[13:14], s[2:3], v16, s2, v[8:9]
	v_cmp_lt_u32_e32 vcc, 63, v17
	v_cndmask_b32_e32 v8, 0, v15, vcc
	v_add_u32_e32 v17, v8, v17
	v_mov_b32_e32 v8, v14
	s_mov_b32 s2, 0x4e441529
	v_mad_u64_u32 v[14:15], s[2:3], v16, s2, v[8:9]
	v_cmp_lt_u32_e64 s[2:3], 31, v17
	v_cndmask_b32_e64 v8, 0, v18, s[2:3]
	v_add_u32_e32 v17, v8, v17
	v_mov_b32_e32 v8, v15
	s_mov_b32 s4, 0xa2f9836e
	v_mad_u64_u32 v[8:9], s[4:5], v16, s4, v[8:9]
	v_cmp_lt_u32_e64 s[4:5], 31, v17
	v_cndmask_b32_e64 v15, 0, v18, s[4:5]
	v_cndmask_b32_e32 v16, v14, v12, vcc
	v_cndmask_b32_e32 v8, v8, v13, vcc
	;; [unrolled: 1-line block ×3, first 2 shown]
	v_add_u32_e32 v15, v15, v17
	v_cndmask_b32_e64 v17, v8, v16, s[2:3]
	v_cndmask_b32_e64 v8, v9, v8, s[2:3]
	v_cndmask_b32_e32 v9, v13, v11, vcc
	v_cndmask_b32_e64 v13, v16, v9, s[2:3]
	v_cndmask_b32_e64 v8, v8, v17, s[4:5]
	;; [unrolled: 1-line block ×3, first 2 shown]
	v_sub_u32_e32 v16, 32, v15
	v_alignbit_b32 v17, v8, v14, v16
	v_cmp_eq_u32_e64 s[6:7], 0, v15
	v_cndmask_b32_e64 v15, v17, v8, s[6:7]
	v_cndmask_b32_e32 v8, v12, v10, vcc
	v_cndmask_b32_e64 v9, v9, v8, s[2:3]
	v_cndmask_b32_e64 v10, v13, v9, s[4:5]
	v_alignbit_b32 v12, v14, v10, v16
	v_cndmask_b32_e32 v7, v11, v7, vcc
	v_cndmask_b32_e64 v12, v12, v14, s[6:7]
	v_bfe_u32 v17, v15, 29, 1
	v_cndmask_b32_e64 v7, v8, v7, s[2:3]
	v_alignbit_b32 v13, v15, v12, 30
	v_sub_u32_e32 v18, 0, v17
	v_cndmask_b32_e64 v7, v9, v7, s[4:5]
	v_xor_b32_e32 v13, v13, v18
	v_alignbit_b32 v8, v10, v7, v16
	v_cndmask_b32_e64 v8, v8, v10, s[6:7]
	v_ffbh_u32_e32 v10, v13
	v_alignbit_b32 v9, v12, v8, 30
	v_min_u32_e32 v10, 32, v10
	v_alignbit_b32 v7, v8, v7, 30
	v_xor_b32_e32 v9, v9, v18
	v_sub_u32_e32 v11, 31, v10
	v_xor_b32_e32 v7, v7, v18
	v_alignbit_b32 v12, v13, v9, v11
	v_alignbit_b32 v7, v9, v7, v11
	;; [unrolled: 1-line block ×3, first 2 shown]
	v_ffbh_u32_e32 v9, v8
	v_min_u32_e32 v9, 32, v9
	v_lshrrev_b32_e32 v14, 29, v15
	v_not_b32_e32 v11, v9
	v_alignbit_b32 v7, v8, v7, v11
	v_lshlrev_b32_e32 v8, 31, v14
	v_or_b32_e32 v11, 0x33000000, v8
	v_add_lshl_u32 v9, v9, v10, 23
	v_lshrrev_b32_e32 v7, 9, v7
	v_sub_u32_e32 v9, v11, v9
	v_or_b32_e32 v8, 0.5, v8
	v_lshlrev_b32_e32 v10, 23, v10
	v_or_b32_e32 v7, v9, v7
	v_lshrrev_b32_e32 v9, 9, v12
	v_sub_u32_e32 v8, v8, v10
	v_or_b32_e32 v8, v9, v8
	s_mov_b32 s2, 0x3fc90fda
	v_mul_f32_e32 v9, 0x3fc90fda, v8
	v_fma_f32 v10, v8, s2, -v9
	v_fmac_f32_e32 v10, 0x33a22168, v8
	v_fmac_f32_e32 v10, 0x3fc90fda, v7
	v_lshrrev_b32_e32 v7, 30, v15
	v_add_f32_e32 v8, v9, v10
	v_add_u32_e32 v7, v17, v7
.LBB32_11:
	s_andn2_saveexec_b64 s[2:3], s[12:13]
	s_cbranch_execz .LBB32_13
; %bb.12:
	s_mov_b32 s4, 0x3f22f983
	v_mul_f32_e64 v7, |v5|, s4
	v_rndne_f32_e32 v9, v7
	s_mov_b32 s4, 0xbfc90fda
	v_cvt_i32_f32_e32 v7, v9
	v_fma_f32 v8, v9, s4, |v5|
	v_fmac_f32_e32 v8, 0xb3a22168, v9
	v_fmac_f32_e32 v8, 0xa7c234c4, v9
.LBB32_13:
	s_or_b64 exec, exec, s[2:3]
	v_mul_f32_e32 v9, v8, v8
	v_mov_b32_e32 v10, 0x3c0881c4
	v_fmac_f32_e32 v10, 0xb94c1982, v9
	v_mov_b32_e32 v11, 0xbe2aaa9d
	v_fmac_f32_e32 v11, v9, v10
	v_mul_f32_e32 v10, v9, v11
	v_fmac_f32_e32 v8, v8, v10
	v_mov_b32_e32 v10, 0xbab64f3b
	v_fmac_f32_e32 v10, 0x37d75334, v9
	v_mov_b32_e32 v11, 0x3d2aabf7
	;; [unrolled: 2-line block ×3, first 2 shown]
	v_fmac_f32_e32 v10, v9, v11
	v_fma_f32 v9, v9, v10, 1.0
	v_and_b32_e32 v10, 1, v7
	v_lshlrev_b32_e32 v7, 30, v7
	v_cmp_eq_u32_e32 vcc, 0, v10
	v_and_b32_e32 v7, 0x80000000, v7
	v_cndmask_b32_e32 v8, v9, v8, vcc
	v_xor_b32_e32 v3, v3, v7
	v_xor_b32_e32 v3, v3, v8
	s_movk_i32 s2, 0x1f8
	v_xor_b32_e32 v3, v3, v5
	v_mov_b32_e32 v7, 0x7fc00000
	v_cmp_class_f32_e64 vcc, v5, s2
	v_cndmask_b32_e32 v3, v7, v3, vcc
	v_bfe_u32 v5, v3, 16, 1
	s_movk_i32 s2, 0x7fff
	v_add3_u32 v5, v3, v5, s2
	v_cmp_o_f32_e32 vcc, v3, v3
	v_mov_b32_e32 v3, 0x7fc0
	v_cndmask_b32_sdwa v3, v3, v5, vcc dst_sel:DWORD dst_unused:UNUSED_PAD src0_sel:DWORD src1_sel:WORD_1
.LBB32_14:
	s_or_b64 exec, exec, s[10:11]
	v_or_b32_e32 v5, 0x100, v0
	v_cmp_gt_i32_e32 vcc, s15, v5
                                        ; implicit-def: $vgpr7
	s_and_saveexec_b64 s[10:11], vcc
	s_cbranch_execz .LBB32_20
; %bb.15:
	s_brev_b32 s2, 18
	v_and_b32_e32 v7, 0x7fffffff, v6
	v_cmp_nlt_f32_e64 s[2:3], |v6|, s2
                                        ; implicit-def: $vgpr8
                                        ; implicit-def: $vgpr9
	s_and_saveexec_b64 s[4:5], s[2:3]
	s_xor_b64 s[12:13], exec, s[4:5]
	s_cbranch_execz .LBB32_17
; %bb.16:
	v_and_b32_e32 v8, 0x7fffff, v7
	v_or_b32_e32 v17, 0x800000, v8
	s_mov_b32 s2, 0xfe5163ab
	v_mad_u64_u32 v[8:9], s[2:3], v17, s2, 0
	v_mov_b32_e32 v10, 0
	s_mov_b32 s2, 0x3c439041
	v_mad_u64_u32 v[11:12], s[2:3], v17, s2, v[9:10]
	s_mov_b32 s2, 0xdb629599
	v_not_b32_e32 v16, 63
	v_mov_b32_e32 v9, v12
	v_mad_u64_u32 v[12:13], s[2:3], v17, s2, v[9:10]
	s_mov_b32 s2, 0xf534ddc0
	v_not_b32_e32 v19, 31
	v_mov_b32_e32 v9, v13
	v_mad_u64_u32 v[13:14], s[2:3], v17, s2, v[9:10]
	v_lshrrev_b32_e32 v9, 23, v7
	v_add_u32_e32 v18, 0xffffff88, v9
	v_mov_b32_e32 v9, v14
	s_mov_b32 s2, 0xfc2757d1
	v_mad_u64_u32 v[14:15], s[2:3], v17, s2, v[9:10]
	v_cmp_lt_u32_e32 vcc, 63, v18
	v_cndmask_b32_e32 v9, 0, v16, vcc
	v_add_u32_e32 v18, v9, v18
	v_mov_b32_e32 v9, v15
	s_mov_b32 s2, 0x4e441529
	v_mad_u64_u32 v[15:16], s[2:3], v17, s2, v[9:10]
	v_cmp_lt_u32_e64 s[2:3], 31, v18
	v_cndmask_b32_e64 v9, 0, v19, s[2:3]
	v_add_u32_e32 v18, v9, v18
	v_mov_b32_e32 v9, v16
	s_mov_b32 s4, 0xa2f9836e
	v_mad_u64_u32 v[9:10], s[4:5], v17, s4, v[9:10]
	v_cmp_lt_u32_e64 s[4:5], 31, v18
	v_cndmask_b32_e64 v16, 0, v19, s[4:5]
	v_cndmask_b32_e32 v17, v15, v13, vcc
	v_cndmask_b32_e32 v9, v9, v14, vcc
	;; [unrolled: 1-line block ×3, first 2 shown]
	v_add_u32_e32 v16, v16, v18
	v_cndmask_b32_e64 v18, v9, v17, s[2:3]
	v_cndmask_b32_e64 v9, v10, v9, s[2:3]
	v_cndmask_b32_e32 v10, v14, v12, vcc
	v_cndmask_b32_e64 v14, v17, v10, s[2:3]
	v_cndmask_b32_e64 v9, v9, v18, s[4:5]
	;; [unrolled: 1-line block ×3, first 2 shown]
	v_sub_u32_e32 v17, 32, v16
	v_alignbit_b32 v18, v9, v15, v17
	v_cmp_eq_u32_e64 s[6:7], 0, v16
	v_cndmask_b32_e64 v16, v18, v9, s[6:7]
	v_cndmask_b32_e32 v9, v13, v11, vcc
	v_cndmask_b32_e64 v10, v10, v9, s[2:3]
	v_cndmask_b32_e64 v11, v14, v10, s[4:5]
	v_alignbit_b32 v13, v15, v11, v17
	v_cndmask_b32_e32 v8, v12, v8, vcc
	v_cndmask_b32_e64 v13, v13, v15, s[6:7]
	v_bfe_u32 v18, v16, 29, 1
	v_cndmask_b32_e64 v8, v9, v8, s[2:3]
	v_alignbit_b32 v14, v16, v13, 30
	v_sub_u32_e32 v19, 0, v18
	v_cndmask_b32_e64 v8, v10, v8, s[4:5]
	v_xor_b32_e32 v14, v14, v19
	v_alignbit_b32 v9, v11, v8, v17
	v_cndmask_b32_e64 v9, v9, v11, s[6:7]
	v_ffbh_u32_e32 v11, v14
	v_alignbit_b32 v10, v13, v9, 30
	v_min_u32_e32 v11, 32, v11
	v_alignbit_b32 v8, v9, v8, 30
	v_xor_b32_e32 v10, v10, v19
	v_sub_u32_e32 v12, 31, v11
	v_xor_b32_e32 v8, v8, v19
	v_alignbit_b32 v13, v14, v10, v12
	v_alignbit_b32 v8, v10, v8, v12
	;; [unrolled: 1-line block ×3, first 2 shown]
	v_ffbh_u32_e32 v10, v9
	v_min_u32_e32 v10, 32, v10
	v_lshrrev_b32_e32 v15, 29, v16
	v_not_b32_e32 v12, v10
	v_alignbit_b32 v8, v9, v8, v12
	v_lshlrev_b32_e32 v9, 31, v15
	v_or_b32_e32 v12, 0x33000000, v9
	v_add_lshl_u32 v10, v10, v11, 23
	v_lshrrev_b32_e32 v8, 9, v8
	v_sub_u32_e32 v10, v12, v10
	v_or_b32_e32 v9, 0.5, v9
	v_lshlrev_b32_e32 v11, 23, v11
	v_or_b32_e32 v8, v10, v8
	v_lshrrev_b32_e32 v10, 9, v13
	v_sub_u32_e32 v9, v9, v11
	v_or_b32_e32 v9, v10, v9
	s_mov_b32 s2, 0x3fc90fda
	v_mul_f32_e32 v10, 0x3fc90fda, v9
	v_fma_f32 v11, v9, s2, -v10
	v_fmac_f32_e32 v11, 0x33a22168, v9
	v_fmac_f32_e32 v11, 0x3fc90fda, v8
	v_lshrrev_b32_e32 v8, 30, v16
	v_add_f32_e32 v9, v10, v11
	v_add_u32_e32 v8, v18, v8
.LBB32_17:
	s_andn2_saveexec_b64 s[2:3], s[12:13]
	s_cbranch_execz .LBB32_19
; %bb.18:
	s_mov_b32 s4, 0x3f22f983
	v_mul_f32_e64 v8, |v6|, s4
	v_rndne_f32_e32 v10, v8
	s_mov_b32 s4, 0xbfc90fda
	v_cvt_i32_f32_e32 v8, v10
	v_fma_f32 v9, v10, s4, |v6|
	v_fmac_f32_e32 v9, 0xb3a22168, v10
	v_fmac_f32_e32 v9, 0xa7c234c4, v10
.LBB32_19:
	s_or_b64 exec, exec, s[2:3]
	v_mul_f32_e32 v10, v9, v9
	v_mov_b32_e32 v11, 0x3c0881c4
	v_fmac_f32_e32 v11, 0xb94c1982, v10
	v_mov_b32_e32 v12, 0xbe2aaa9d
	v_fmac_f32_e32 v12, v10, v11
	v_mul_f32_e32 v11, v10, v12
	v_fmac_f32_e32 v9, v9, v11
	v_mov_b32_e32 v11, 0xbab64f3b
	v_fmac_f32_e32 v11, 0x37d75334, v10
	v_mov_b32_e32 v12, 0x3d2aabf7
	;; [unrolled: 2-line block ×3, first 2 shown]
	v_fmac_f32_e32 v11, v10, v12
	v_fma_f32 v10, v10, v11, 1.0
	v_and_b32_e32 v11, 1, v8
	v_lshlrev_b32_e32 v8, 30, v8
	v_cmp_eq_u32_e32 vcc, 0, v11
	v_and_b32_e32 v8, 0x80000000, v8
	v_cndmask_b32_e32 v9, v10, v9, vcc
	v_xor_b32_e32 v7, v7, v8
	v_xor_b32_e32 v7, v7, v9
	s_movk_i32 s2, 0x1f8
	v_xor_b32_e32 v7, v7, v6
	v_mov_b32_e32 v8, 0x7fc00000
	v_cmp_class_f32_e64 vcc, v6, s2
	v_cndmask_b32_e32 v6, v8, v7, vcc
	v_bfe_u32 v7, v6, 16, 1
	s_movk_i32 s2, 0x7fff
	v_add3_u32 v7, v6, v7, s2
	v_cmp_o_f32_e32 vcc, v6, v6
	v_mov_b32_e32 v6, 0x7fc0
	v_cndmask_b32_sdwa v7, v6, v7, vcc dst_sel:DWORD dst_unused:UNUSED_PAD src0_sel:DWORD src1_sel:WORD_1
.LBB32_20:
	s_or_b64 exec, exec, s[10:11]
	v_or_b32_e32 v6, 0x200, v0
	v_cmp_gt_i32_e32 vcc, s15, v6
                                        ; implicit-def: $vgpr6
	s_and_saveexec_b64 s[10:11], vcc
	s_cbranch_execz .LBB32_26
; %bb.21:
	s_brev_b32 s2, 18
	v_and_b32_e32 v6, 0x7fffffff, v4
	v_cmp_nlt_f32_e64 s[2:3], |v4|, s2
                                        ; implicit-def: $vgpr8
                                        ; implicit-def: $vgpr9
	s_and_saveexec_b64 s[4:5], s[2:3]
	s_xor_b64 s[12:13], exec, s[4:5]
	s_cbranch_execz .LBB32_23
; %bb.22:
	v_and_b32_e32 v8, 0x7fffff, v6
	v_or_b32_e32 v17, 0x800000, v8
	s_mov_b32 s2, 0xfe5163ab
	v_mad_u64_u32 v[8:9], s[2:3], v17, s2, 0
	v_mov_b32_e32 v10, 0
	s_mov_b32 s2, 0x3c439041
	v_mad_u64_u32 v[11:12], s[2:3], v17, s2, v[9:10]
	s_mov_b32 s2, 0xdb629599
	v_not_b32_e32 v16, 63
	v_mov_b32_e32 v9, v12
	v_mad_u64_u32 v[12:13], s[2:3], v17, s2, v[9:10]
	s_mov_b32 s2, 0xf534ddc0
	v_not_b32_e32 v19, 31
	v_mov_b32_e32 v9, v13
	v_mad_u64_u32 v[13:14], s[2:3], v17, s2, v[9:10]
	v_lshrrev_b32_e32 v9, 23, v6
	v_add_u32_e32 v18, 0xffffff88, v9
	v_mov_b32_e32 v9, v14
	s_mov_b32 s2, 0xfc2757d1
	v_mad_u64_u32 v[14:15], s[2:3], v17, s2, v[9:10]
	v_cmp_lt_u32_e32 vcc, 63, v18
	v_cndmask_b32_e32 v9, 0, v16, vcc
	v_add_u32_e32 v18, v9, v18
	v_mov_b32_e32 v9, v15
	s_mov_b32 s2, 0x4e441529
	v_mad_u64_u32 v[15:16], s[2:3], v17, s2, v[9:10]
	v_cmp_lt_u32_e64 s[2:3], 31, v18
	v_cndmask_b32_e64 v9, 0, v19, s[2:3]
	v_add_u32_e32 v18, v9, v18
	v_mov_b32_e32 v9, v16
	s_mov_b32 s4, 0xa2f9836e
	v_mad_u64_u32 v[9:10], s[4:5], v17, s4, v[9:10]
	v_cmp_lt_u32_e64 s[4:5], 31, v18
	v_cndmask_b32_e64 v16, 0, v19, s[4:5]
	v_cndmask_b32_e32 v17, v15, v13, vcc
	v_cndmask_b32_e32 v9, v9, v14, vcc
	;; [unrolled: 1-line block ×3, first 2 shown]
	v_add_u32_e32 v16, v16, v18
	v_cndmask_b32_e64 v18, v9, v17, s[2:3]
	v_cndmask_b32_e64 v9, v10, v9, s[2:3]
	v_cndmask_b32_e32 v10, v14, v12, vcc
	v_cndmask_b32_e64 v14, v17, v10, s[2:3]
	v_cndmask_b32_e64 v9, v9, v18, s[4:5]
	v_cndmask_b32_e64 v15, v18, v14, s[4:5]
	v_sub_u32_e32 v17, 32, v16
	v_alignbit_b32 v18, v9, v15, v17
	v_cmp_eq_u32_e64 s[6:7], 0, v16
	v_cndmask_b32_e64 v16, v18, v9, s[6:7]
	v_cndmask_b32_e32 v9, v13, v11, vcc
	v_cndmask_b32_e64 v10, v10, v9, s[2:3]
	v_cndmask_b32_e64 v11, v14, v10, s[4:5]
	v_alignbit_b32 v13, v15, v11, v17
	v_cndmask_b32_e32 v8, v12, v8, vcc
	v_cndmask_b32_e64 v13, v13, v15, s[6:7]
	v_bfe_u32 v18, v16, 29, 1
	v_cndmask_b32_e64 v8, v9, v8, s[2:3]
	v_alignbit_b32 v14, v16, v13, 30
	v_sub_u32_e32 v19, 0, v18
	v_cndmask_b32_e64 v8, v10, v8, s[4:5]
	v_xor_b32_e32 v14, v14, v19
	v_alignbit_b32 v9, v11, v8, v17
	v_cndmask_b32_e64 v9, v9, v11, s[6:7]
	v_ffbh_u32_e32 v11, v14
	v_alignbit_b32 v10, v13, v9, 30
	v_min_u32_e32 v11, 32, v11
	v_alignbit_b32 v8, v9, v8, 30
	v_xor_b32_e32 v10, v10, v19
	v_sub_u32_e32 v12, 31, v11
	v_xor_b32_e32 v8, v8, v19
	v_alignbit_b32 v13, v14, v10, v12
	v_alignbit_b32 v8, v10, v8, v12
	;; [unrolled: 1-line block ×3, first 2 shown]
	v_ffbh_u32_e32 v10, v9
	v_min_u32_e32 v10, 32, v10
	v_lshrrev_b32_e32 v15, 29, v16
	v_not_b32_e32 v12, v10
	v_alignbit_b32 v8, v9, v8, v12
	v_lshlrev_b32_e32 v9, 31, v15
	v_or_b32_e32 v12, 0x33000000, v9
	v_add_lshl_u32 v10, v10, v11, 23
	v_lshrrev_b32_e32 v8, 9, v8
	v_sub_u32_e32 v10, v12, v10
	v_or_b32_e32 v9, 0.5, v9
	v_lshlrev_b32_e32 v11, 23, v11
	v_or_b32_e32 v8, v10, v8
	v_lshrrev_b32_e32 v10, 9, v13
	v_sub_u32_e32 v9, v9, v11
	v_or_b32_e32 v9, v10, v9
	s_mov_b32 s2, 0x3fc90fda
	v_mul_f32_e32 v10, 0x3fc90fda, v9
	v_fma_f32 v11, v9, s2, -v10
	v_fmac_f32_e32 v11, 0x33a22168, v9
	v_fmac_f32_e32 v11, 0x3fc90fda, v8
	v_lshrrev_b32_e32 v8, 30, v16
	v_add_f32_e32 v9, v10, v11
	v_add_u32_e32 v8, v18, v8
.LBB32_23:
	s_andn2_saveexec_b64 s[2:3], s[12:13]
	s_cbranch_execz .LBB32_25
; %bb.24:
	s_mov_b32 s4, 0x3f22f983
	v_mul_f32_e64 v8, |v4|, s4
	v_rndne_f32_e32 v10, v8
	s_mov_b32 s4, 0xbfc90fda
	v_cvt_i32_f32_e32 v8, v10
	v_fma_f32 v9, v10, s4, |v4|
	v_fmac_f32_e32 v9, 0xb3a22168, v10
	v_fmac_f32_e32 v9, 0xa7c234c4, v10
.LBB32_25:
	s_or_b64 exec, exec, s[2:3]
	v_mul_f32_e32 v10, v9, v9
	v_mov_b32_e32 v11, 0x3c0881c4
	v_fmac_f32_e32 v11, 0xb94c1982, v10
	v_mov_b32_e32 v12, 0xbe2aaa9d
	v_fmac_f32_e32 v12, v10, v11
	v_mul_f32_e32 v11, v10, v12
	v_fmac_f32_e32 v9, v9, v11
	v_mov_b32_e32 v11, 0xbab64f3b
	v_fmac_f32_e32 v11, 0x37d75334, v10
	v_mov_b32_e32 v12, 0x3d2aabf7
	;; [unrolled: 2-line block ×3, first 2 shown]
	v_fmac_f32_e32 v11, v10, v12
	v_fma_f32 v10, v10, v11, 1.0
	v_and_b32_e32 v11, 1, v8
	v_lshlrev_b32_e32 v8, 30, v8
	v_cmp_eq_u32_e32 vcc, 0, v11
	v_and_b32_e32 v8, 0x80000000, v8
	v_cndmask_b32_e32 v9, v10, v9, vcc
	v_xor_b32_e32 v6, v6, v8
	v_xor_b32_e32 v6, v6, v9
	s_movk_i32 s2, 0x1f8
	v_xor_b32_e32 v6, v6, v4
	v_mov_b32_e32 v8, 0x7fc00000
	v_cmp_class_f32_e64 vcc, v4, s2
	v_cndmask_b32_e32 v4, v8, v6, vcc
	v_bfe_u32 v6, v4, 16, 1
	s_movk_i32 s2, 0x7fff
	v_add3_u32 v6, v4, v6, s2
	v_cmp_o_f32_e32 vcc, v4, v4
	v_mov_b32_e32 v4, 0x7fc0
	v_cndmask_b32_sdwa v6, v4, v6, vcc dst_sel:DWORD dst_unused:UNUSED_PAD src0_sel:DWORD src1_sel:WORD_1
.LBB32_26:
	s_or_b64 exec, exec, s[10:11]
	v_or_b32_e32 v4, 0x300, v0
	v_cmp_gt_i32_e32 vcc, s15, v4
                                        ; implicit-def: $vgpr4
	s_and_saveexec_b64 s[10:11], vcc
	s_cbranch_execnz .LBB32_32
; %bb.27:
	s_or_b64 exec, exec, s[10:11]
	s_and_saveexec_b64 s[2:3], s[0:1]
	s_xor_b64 s[0:1], exec, s[2:3]
	s_cbranch_execnz .LBB32_37
.LBB32_28:
	s_or_b64 exec, exec, s[0:1]
	v_cmp_gt_i32_e32 vcc, s15, v0
	s_and_saveexec_b64 s[0:1], vcc
	s_cbranch_execnz .LBB32_38
.LBB32_29:
	s_or_b64 exec, exec, s[0:1]
	v_cmp_gt_i32_e32 vcc, s15, v0
	s_and_saveexec_b64 s[0:1], vcc
	s_cbranch_execnz .LBB32_39
.LBB32_30:
	s_or_b64 exec, exec, s[0:1]
	v_cmp_gt_i32_e32 vcc, s15, v0
	s_and_saveexec_b64 s[0:1], vcc
	s_cbranch_execnz .LBB32_40
.LBB32_31:
	s_endpgm
.LBB32_32:
	s_brev_b32 s2, 18
	v_and_b32_e32 v4, 0x7fffffff, v2
	v_cmp_nlt_f32_e64 s[2:3], |v2|, s2
                                        ; implicit-def: $vgpr8
                                        ; implicit-def: $vgpr9
	s_and_saveexec_b64 s[4:5], s[2:3]
	s_xor_b64 s[12:13], exec, s[4:5]
	s_cbranch_execz .LBB32_34
; %bb.33:
	v_and_b32_e32 v8, 0x7fffff, v4
	v_or_b32_e32 v17, 0x800000, v8
	s_mov_b32 s2, 0xfe5163ab
	v_mad_u64_u32 v[8:9], s[2:3], v17, s2, 0
	v_mov_b32_e32 v10, 0
	s_mov_b32 s2, 0x3c439041
	v_mad_u64_u32 v[11:12], s[2:3], v17, s2, v[9:10]
	s_mov_b32 s2, 0xdb629599
	v_not_b32_e32 v16, 63
	v_mov_b32_e32 v9, v12
	v_mad_u64_u32 v[12:13], s[2:3], v17, s2, v[9:10]
	s_mov_b32 s2, 0xf534ddc0
	v_not_b32_e32 v19, 31
	v_mov_b32_e32 v9, v13
	v_mad_u64_u32 v[13:14], s[2:3], v17, s2, v[9:10]
	v_lshrrev_b32_e32 v9, 23, v4
	v_add_u32_e32 v18, 0xffffff88, v9
	v_mov_b32_e32 v9, v14
	s_mov_b32 s2, 0xfc2757d1
	v_mad_u64_u32 v[14:15], s[2:3], v17, s2, v[9:10]
	v_cmp_lt_u32_e32 vcc, 63, v18
	v_cndmask_b32_e32 v9, 0, v16, vcc
	v_add_u32_e32 v18, v9, v18
	v_mov_b32_e32 v9, v15
	s_mov_b32 s2, 0x4e441529
	v_mad_u64_u32 v[15:16], s[2:3], v17, s2, v[9:10]
	v_cmp_lt_u32_e64 s[2:3], 31, v18
	v_cndmask_b32_e64 v9, 0, v19, s[2:3]
	v_add_u32_e32 v18, v9, v18
	v_mov_b32_e32 v9, v16
	s_mov_b32 s4, 0xa2f9836e
	v_mad_u64_u32 v[9:10], s[4:5], v17, s4, v[9:10]
	v_cmp_lt_u32_e64 s[4:5], 31, v18
	v_cndmask_b32_e64 v16, 0, v19, s[4:5]
	v_cndmask_b32_e32 v17, v15, v13, vcc
	v_cndmask_b32_e32 v9, v9, v14, vcc
	;; [unrolled: 1-line block ×3, first 2 shown]
	v_add_u32_e32 v16, v16, v18
	v_cndmask_b32_e64 v18, v9, v17, s[2:3]
	v_cndmask_b32_e64 v9, v10, v9, s[2:3]
	v_cndmask_b32_e32 v10, v14, v12, vcc
	v_cndmask_b32_e64 v14, v17, v10, s[2:3]
	v_cndmask_b32_e64 v9, v9, v18, s[4:5]
	;; [unrolled: 1-line block ×3, first 2 shown]
	v_sub_u32_e32 v17, 32, v16
	v_alignbit_b32 v18, v9, v15, v17
	v_cmp_eq_u32_e64 s[6:7], 0, v16
	v_cndmask_b32_e64 v16, v18, v9, s[6:7]
	v_cndmask_b32_e32 v9, v13, v11, vcc
	v_cndmask_b32_e64 v10, v10, v9, s[2:3]
	v_cndmask_b32_e64 v11, v14, v10, s[4:5]
	v_alignbit_b32 v13, v15, v11, v17
	v_cndmask_b32_e32 v8, v12, v8, vcc
	v_cndmask_b32_e64 v13, v13, v15, s[6:7]
	v_bfe_u32 v18, v16, 29, 1
	v_cndmask_b32_e64 v8, v9, v8, s[2:3]
	v_alignbit_b32 v14, v16, v13, 30
	v_sub_u32_e32 v19, 0, v18
	v_cndmask_b32_e64 v8, v10, v8, s[4:5]
	v_xor_b32_e32 v14, v14, v19
	v_alignbit_b32 v9, v11, v8, v17
	v_cndmask_b32_e64 v9, v9, v11, s[6:7]
	v_ffbh_u32_e32 v11, v14
	v_alignbit_b32 v10, v13, v9, 30
	v_min_u32_e32 v11, 32, v11
	v_alignbit_b32 v8, v9, v8, 30
	v_xor_b32_e32 v10, v10, v19
	v_sub_u32_e32 v12, 31, v11
	v_xor_b32_e32 v8, v8, v19
	v_alignbit_b32 v13, v14, v10, v12
	v_alignbit_b32 v8, v10, v8, v12
	;; [unrolled: 1-line block ×3, first 2 shown]
	v_ffbh_u32_e32 v10, v9
	v_min_u32_e32 v10, 32, v10
	v_lshrrev_b32_e32 v15, 29, v16
	v_not_b32_e32 v12, v10
	v_alignbit_b32 v8, v9, v8, v12
	v_lshlrev_b32_e32 v9, 31, v15
	v_or_b32_e32 v12, 0x33000000, v9
	v_add_lshl_u32 v10, v10, v11, 23
	v_lshrrev_b32_e32 v8, 9, v8
	v_sub_u32_e32 v10, v12, v10
	v_or_b32_e32 v9, 0.5, v9
	v_lshlrev_b32_e32 v11, 23, v11
	v_or_b32_e32 v8, v10, v8
	v_lshrrev_b32_e32 v10, 9, v13
	v_sub_u32_e32 v9, v9, v11
	v_or_b32_e32 v9, v10, v9
	s_mov_b32 s2, 0x3fc90fda
	v_mul_f32_e32 v10, 0x3fc90fda, v9
	v_fma_f32 v11, v9, s2, -v10
	v_fmac_f32_e32 v11, 0x33a22168, v9
	v_fmac_f32_e32 v11, 0x3fc90fda, v8
	v_lshrrev_b32_e32 v8, 30, v16
	v_add_f32_e32 v9, v10, v11
	v_add_u32_e32 v8, v18, v8
.LBB32_34:
	s_andn2_saveexec_b64 s[2:3], s[12:13]
	s_cbranch_execz .LBB32_36
; %bb.35:
	s_mov_b32 s4, 0x3f22f983
	v_mul_f32_e64 v8, |v2|, s4
	v_rndne_f32_e32 v10, v8
	s_mov_b32 s4, 0xbfc90fda
	v_cvt_i32_f32_e32 v8, v10
	v_fma_f32 v9, v10, s4, |v2|
	v_fmac_f32_e32 v9, 0xb3a22168, v10
	v_fmac_f32_e32 v9, 0xa7c234c4, v10
.LBB32_36:
	s_or_b64 exec, exec, s[2:3]
	v_mul_f32_e32 v10, v9, v9
	v_mov_b32_e32 v11, 0x3c0881c4
	v_fmac_f32_e32 v11, 0xb94c1982, v10
	v_mov_b32_e32 v12, 0xbe2aaa9d
	v_fmac_f32_e32 v12, v10, v11
	v_mul_f32_e32 v11, v10, v12
	v_fmac_f32_e32 v9, v9, v11
	v_mov_b32_e32 v11, 0xbab64f3b
	v_fmac_f32_e32 v11, 0x37d75334, v10
	v_mov_b32_e32 v12, 0x3d2aabf7
	;; [unrolled: 2-line block ×3, first 2 shown]
	v_fmac_f32_e32 v11, v10, v12
	v_fma_f32 v10, v10, v11, 1.0
	v_and_b32_e32 v11, 1, v8
	v_lshlrev_b32_e32 v8, 30, v8
	v_cmp_eq_u32_e32 vcc, 0, v11
	v_and_b32_e32 v8, 0x80000000, v8
	v_cndmask_b32_e32 v9, v10, v9, vcc
	v_xor_b32_e32 v4, v4, v8
	v_xor_b32_e32 v4, v4, v9
	s_movk_i32 s2, 0x1f8
	v_xor_b32_e32 v4, v4, v2
	v_mov_b32_e32 v8, 0x7fc00000
	v_cmp_class_f32_e64 vcc, v2, s2
	v_cndmask_b32_e32 v2, v8, v4, vcc
	v_bfe_u32 v4, v2, 16, 1
	s_movk_i32 s2, 0x7fff
	v_add3_u32 v4, v2, v4, s2
	v_cmp_o_f32_e32 vcc, v2, v2
	v_mov_b32_e32 v2, 0x7fc0
	v_cndmask_b32_sdwa v4, v2, v4, vcc dst_sel:DWORD dst_unused:UNUSED_PAD src0_sel:DWORD src1_sel:WORD_1
	s_or_b64 exec, exec, s[10:11]
	s_and_saveexec_b64 s[2:3], s[0:1]
	s_xor_b64 s[0:1], exec, s[2:3]
	s_cbranch_execz .LBB32_28
.LBB32_37:
	v_mov_b32_e32 v2, 0
	v_lshlrev_b64 v[0:1], 1, v[1:2]
	v_mov_b32_e32 v2, s9
	v_add_co_u32_e32 v0, vcc, s8, v0
	v_addc_co_u32_e32 v1, vcc, v2, v1, vcc
	global_store_short v[0:1], v3, off
	v_mov_b32_e32 v0, v5
	s_or_b64 exec, exec, s[0:1]
	v_cmp_gt_i32_e32 vcc, s15, v0
	s_and_saveexec_b64 s[0:1], vcc
	s_cbranch_execz .LBB32_29
.LBB32_38:
	v_add_u32_e32 v2, 0x100, v0
	v_add_u32_e32 v0, s14, v0
	v_mov_b32_e32 v1, 0
	v_lshlrev_b64 v[0:1], 1, v[0:1]
	v_mov_b32_e32 v3, s9
	v_add_co_u32_e32 v0, vcc, s8, v0
	v_addc_co_u32_e32 v1, vcc, v3, v1, vcc
	global_store_short v[0:1], v7, off
	v_mov_b32_e32 v0, v2
	s_or_b64 exec, exec, s[0:1]
	v_cmp_gt_i32_e32 vcc, s15, v0
	s_and_saveexec_b64 s[0:1], vcc
	s_cbranch_execz .LBB32_30
.LBB32_39:
	v_add_u32_e32 v2, 0x100, v0
	v_add_u32_e32 v0, s14, v0
	v_mov_b32_e32 v1, 0
	v_lshlrev_b64 v[0:1], 1, v[0:1]
	v_mov_b32_e32 v3, s9
	v_add_co_u32_e32 v0, vcc, s8, v0
	v_addc_co_u32_e32 v1, vcc, v3, v1, vcc
	global_store_short v[0:1], v6, off
	v_mov_b32_e32 v0, v2
	s_or_b64 exec, exec, s[0:1]
	v_cmp_gt_i32_e32 vcc, s15, v0
	s_and_saveexec_b64 s[0:1], vcc
	s_cbranch_execz .LBB32_31
.LBB32_40:
	v_add_u32_e32 v0, s14, v0
	v_mov_b32_e32 v1, 0
	v_lshlrev_b64 v[0:1], 1, v[0:1]
	v_mov_b32_e32 v2, s9
	v_add_co_u32_e32 v0, vcc, s8, v0
	v_addc_co_u32_e32 v1, vcc, v2, v1, vcc
	global_store_short v[0:1], v4, off
	s_endpgm
	.section	.rodata,"a",@progbits
	.p2align	6, 0x0
	.amdhsa_kernel _ZN2at6native27unrolled_elementwise_kernelIZZZNS0_15sin_kernel_cudaERNS_18TensorIteratorBaseEENKUlvE0_clEvENKUlvE2_clEvEUlN3c108BFloat16EE_St5arrayIPcLm2EELi4E23TrivialOffsetCalculatorILi1EjESD_NS0_6memory15LoadWithoutCastENSE_16StoreWithoutCastEEEviT_T0_T2_T3_T4_T5_
		.amdhsa_group_segment_fixed_size 0
		.amdhsa_private_segment_fixed_size 0
		.amdhsa_kernarg_size 28
		.amdhsa_user_sgpr_count 6
		.amdhsa_user_sgpr_private_segment_buffer 1
		.amdhsa_user_sgpr_dispatch_ptr 0
		.amdhsa_user_sgpr_queue_ptr 0
		.amdhsa_user_sgpr_kernarg_segment_ptr 1
		.amdhsa_user_sgpr_dispatch_id 0
		.amdhsa_user_sgpr_flat_scratch_init 0
		.amdhsa_user_sgpr_private_segment_size 0
		.amdhsa_uses_dynamic_stack 0
		.amdhsa_system_sgpr_private_segment_wavefront_offset 0
		.amdhsa_system_sgpr_workgroup_id_x 1
		.amdhsa_system_sgpr_workgroup_id_y 0
		.amdhsa_system_sgpr_workgroup_id_z 0
		.amdhsa_system_sgpr_workgroup_info 0
		.amdhsa_system_vgpr_workitem_id 0
		.amdhsa_next_free_vgpr 20
		.amdhsa_next_free_sgpr 16
		.amdhsa_reserve_vcc 1
		.amdhsa_reserve_flat_scratch 0
		.amdhsa_float_round_mode_32 0
		.amdhsa_float_round_mode_16_64 0
		.amdhsa_float_denorm_mode_32 3
		.amdhsa_float_denorm_mode_16_64 3
		.amdhsa_dx10_clamp 1
		.amdhsa_ieee_mode 1
		.amdhsa_fp16_overflow 0
		.amdhsa_exception_fp_ieee_invalid_op 0
		.amdhsa_exception_fp_denorm_src 0
		.amdhsa_exception_fp_ieee_div_zero 0
		.amdhsa_exception_fp_ieee_overflow 0
		.amdhsa_exception_fp_ieee_underflow 0
		.amdhsa_exception_fp_ieee_inexact 0
		.amdhsa_exception_int_div_zero 0
	.end_amdhsa_kernel
	.section	.text._ZN2at6native27unrolled_elementwise_kernelIZZZNS0_15sin_kernel_cudaERNS_18TensorIteratorBaseEENKUlvE0_clEvENKUlvE2_clEvEUlN3c108BFloat16EE_St5arrayIPcLm2EELi4E23TrivialOffsetCalculatorILi1EjESD_NS0_6memory15LoadWithoutCastENSE_16StoreWithoutCastEEEviT_T0_T2_T3_T4_T5_,"axG",@progbits,_ZN2at6native27unrolled_elementwise_kernelIZZZNS0_15sin_kernel_cudaERNS_18TensorIteratorBaseEENKUlvE0_clEvENKUlvE2_clEvEUlN3c108BFloat16EE_St5arrayIPcLm2EELi4E23TrivialOffsetCalculatorILi1EjESD_NS0_6memory15LoadWithoutCastENSE_16StoreWithoutCastEEEviT_T0_T2_T3_T4_T5_,comdat
.Lfunc_end32:
	.size	_ZN2at6native27unrolled_elementwise_kernelIZZZNS0_15sin_kernel_cudaERNS_18TensorIteratorBaseEENKUlvE0_clEvENKUlvE2_clEvEUlN3c108BFloat16EE_St5arrayIPcLm2EELi4E23TrivialOffsetCalculatorILi1EjESD_NS0_6memory15LoadWithoutCastENSE_16StoreWithoutCastEEEviT_T0_T2_T3_T4_T5_, .Lfunc_end32-_ZN2at6native27unrolled_elementwise_kernelIZZZNS0_15sin_kernel_cudaERNS_18TensorIteratorBaseEENKUlvE0_clEvENKUlvE2_clEvEUlN3c108BFloat16EE_St5arrayIPcLm2EELi4E23TrivialOffsetCalculatorILi1EjESD_NS0_6memory15LoadWithoutCastENSE_16StoreWithoutCastEEEviT_T0_T2_T3_T4_T5_
                                        ; -- End function
	.set _ZN2at6native27unrolled_elementwise_kernelIZZZNS0_15sin_kernel_cudaERNS_18TensorIteratorBaseEENKUlvE0_clEvENKUlvE2_clEvEUlN3c108BFloat16EE_St5arrayIPcLm2EELi4E23TrivialOffsetCalculatorILi1EjESD_NS0_6memory15LoadWithoutCastENSE_16StoreWithoutCastEEEviT_T0_T2_T3_T4_T5_.num_vgpr, 20
	.set _ZN2at6native27unrolled_elementwise_kernelIZZZNS0_15sin_kernel_cudaERNS_18TensorIteratorBaseEENKUlvE0_clEvENKUlvE2_clEvEUlN3c108BFloat16EE_St5arrayIPcLm2EELi4E23TrivialOffsetCalculatorILi1EjESD_NS0_6memory15LoadWithoutCastENSE_16StoreWithoutCastEEEviT_T0_T2_T3_T4_T5_.num_agpr, 0
	.set _ZN2at6native27unrolled_elementwise_kernelIZZZNS0_15sin_kernel_cudaERNS_18TensorIteratorBaseEENKUlvE0_clEvENKUlvE2_clEvEUlN3c108BFloat16EE_St5arrayIPcLm2EELi4E23TrivialOffsetCalculatorILi1EjESD_NS0_6memory15LoadWithoutCastENSE_16StoreWithoutCastEEEviT_T0_T2_T3_T4_T5_.numbered_sgpr, 16
	.set _ZN2at6native27unrolled_elementwise_kernelIZZZNS0_15sin_kernel_cudaERNS_18TensorIteratorBaseEENKUlvE0_clEvENKUlvE2_clEvEUlN3c108BFloat16EE_St5arrayIPcLm2EELi4E23TrivialOffsetCalculatorILi1EjESD_NS0_6memory15LoadWithoutCastENSE_16StoreWithoutCastEEEviT_T0_T2_T3_T4_T5_.num_named_barrier, 0
	.set _ZN2at6native27unrolled_elementwise_kernelIZZZNS0_15sin_kernel_cudaERNS_18TensorIteratorBaseEENKUlvE0_clEvENKUlvE2_clEvEUlN3c108BFloat16EE_St5arrayIPcLm2EELi4E23TrivialOffsetCalculatorILi1EjESD_NS0_6memory15LoadWithoutCastENSE_16StoreWithoutCastEEEviT_T0_T2_T3_T4_T5_.private_seg_size, 0
	.set _ZN2at6native27unrolled_elementwise_kernelIZZZNS0_15sin_kernel_cudaERNS_18TensorIteratorBaseEENKUlvE0_clEvENKUlvE2_clEvEUlN3c108BFloat16EE_St5arrayIPcLm2EELi4E23TrivialOffsetCalculatorILi1EjESD_NS0_6memory15LoadWithoutCastENSE_16StoreWithoutCastEEEviT_T0_T2_T3_T4_T5_.uses_vcc, 1
	.set _ZN2at6native27unrolled_elementwise_kernelIZZZNS0_15sin_kernel_cudaERNS_18TensorIteratorBaseEENKUlvE0_clEvENKUlvE2_clEvEUlN3c108BFloat16EE_St5arrayIPcLm2EELi4E23TrivialOffsetCalculatorILi1EjESD_NS0_6memory15LoadWithoutCastENSE_16StoreWithoutCastEEEviT_T0_T2_T3_T4_T5_.uses_flat_scratch, 0
	.set _ZN2at6native27unrolled_elementwise_kernelIZZZNS0_15sin_kernel_cudaERNS_18TensorIteratorBaseEENKUlvE0_clEvENKUlvE2_clEvEUlN3c108BFloat16EE_St5arrayIPcLm2EELi4E23TrivialOffsetCalculatorILi1EjESD_NS0_6memory15LoadWithoutCastENSE_16StoreWithoutCastEEEviT_T0_T2_T3_T4_T5_.has_dyn_sized_stack, 0
	.set _ZN2at6native27unrolled_elementwise_kernelIZZZNS0_15sin_kernel_cudaERNS_18TensorIteratorBaseEENKUlvE0_clEvENKUlvE2_clEvEUlN3c108BFloat16EE_St5arrayIPcLm2EELi4E23TrivialOffsetCalculatorILi1EjESD_NS0_6memory15LoadWithoutCastENSE_16StoreWithoutCastEEEviT_T0_T2_T3_T4_T5_.has_recursion, 0
	.set _ZN2at6native27unrolled_elementwise_kernelIZZZNS0_15sin_kernel_cudaERNS_18TensorIteratorBaseEENKUlvE0_clEvENKUlvE2_clEvEUlN3c108BFloat16EE_St5arrayIPcLm2EELi4E23TrivialOffsetCalculatorILi1EjESD_NS0_6memory15LoadWithoutCastENSE_16StoreWithoutCastEEEviT_T0_T2_T3_T4_T5_.has_indirect_call, 0
	.section	.AMDGPU.csdata,"",@progbits
; Kernel info:
; codeLenInByte = 4252
; TotalNumSgprs: 20
; NumVgprs: 20
; ScratchSize: 0
; MemoryBound: 0
; FloatMode: 240
; IeeeMode: 1
; LDSByteSize: 0 bytes/workgroup (compile time only)
; SGPRBlocks: 2
; VGPRBlocks: 4
; NumSGPRsForWavesPerEU: 20
; NumVGPRsForWavesPerEU: 20
; Occupancy: 10
; WaveLimiterHint : 0
; COMPUTE_PGM_RSRC2:SCRATCH_EN: 0
; COMPUTE_PGM_RSRC2:USER_SGPR: 6
; COMPUTE_PGM_RSRC2:TRAP_HANDLER: 0
; COMPUTE_PGM_RSRC2:TGID_X_EN: 1
; COMPUTE_PGM_RSRC2:TGID_Y_EN: 0
; COMPUTE_PGM_RSRC2:TGID_Z_EN: 0
; COMPUTE_PGM_RSRC2:TIDIG_COMP_CNT: 0
	.section	.text._ZN2at6native32elementwise_kernel_manual_unrollILi128ELi8EZNS0_22gpu_kernel_impl_nocastIZZZNS0_15sin_kernel_cudaERNS_18TensorIteratorBaseEENKUlvE0_clEvENKUlvE2_clEvEUlN3c108BFloat16EE_EEvS4_RKT_EUlibE_EEviT1_,"axG",@progbits,_ZN2at6native32elementwise_kernel_manual_unrollILi128ELi8EZNS0_22gpu_kernel_impl_nocastIZZZNS0_15sin_kernel_cudaERNS_18TensorIteratorBaseEENKUlvE0_clEvENKUlvE2_clEvEUlN3c108BFloat16EE_EEvS4_RKT_EUlibE_EEviT1_,comdat
	.globl	_ZN2at6native32elementwise_kernel_manual_unrollILi128ELi8EZNS0_22gpu_kernel_impl_nocastIZZZNS0_15sin_kernel_cudaERNS_18TensorIteratorBaseEENKUlvE0_clEvENKUlvE2_clEvEUlN3c108BFloat16EE_EEvS4_RKT_EUlibE_EEviT1_ ; -- Begin function _ZN2at6native32elementwise_kernel_manual_unrollILi128ELi8EZNS0_22gpu_kernel_impl_nocastIZZZNS0_15sin_kernel_cudaERNS_18TensorIteratorBaseEENKUlvE0_clEvENKUlvE2_clEvEUlN3c108BFloat16EE_EEvS4_RKT_EUlibE_EEviT1_
	.p2align	8
	.type	_ZN2at6native32elementwise_kernel_manual_unrollILi128ELi8EZNS0_22gpu_kernel_impl_nocastIZZZNS0_15sin_kernel_cudaERNS_18TensorIteratorBaseEENKUlvE0_clEvENKUlvE2_clEvEUlN3c108BFloat16EE_EEvS4_RKT_EUlibE_EEviT1_,@function
_ZN2at6native32elementwise_kernel_manual_unrollILi128ELi8EZNS0_22gpu_kernel_impl_nocastIZZZNS0_15sin_kernel_cudaERNS_18TensorIteratorBaseEENKUlvE0_clEvENKUlvE2_clEvEUlN3c108BFloat16EE_EEvS4_RKT_EUlibE_EEviT1_: ; @_ZN2at6native32elementwise_kernel_manual_unrollILi128ELi8EZNS0_22gpu_kernel_impl_nocastIZZZNS0_15sin_kernel_cudaERNS_18TensorIteratorBaseEENKUlvE0_clEvENKUlvE2_clEvEUlN3c108BFloat16EE_EEvS4_RKT_EUlibE_EEviT1_
; %bb.0:
	s_load_dword s55, s[4:5], 0x0
	s_load_dword s33, s[4:5], 0x8
	s_add_u32 s34, s4, 8
	s_addc_u32 s35, s5, 0
	v_lshl_or_b32 v10, s6, 10, v0
	v_or_b32_e32 v20, 0x380, v10
	s_waitcnt lgkmcnt(0)
	s_add_i32 s54, s33, -1
	s_cmp_gt_u32 s54, 1
	v_cmp_le_i32_e32 vcc, s55, v20
	s_cselect_b64 s[36:37], -1, 0
	s_and_saveexec_b64 s[0:1], vcc
	s_xor_b64 s[38:39], exec, s[0:1]
	s_cbranch_execz .LBB33_7
; %bb.1:
	s_load_dwordx4 s[24:27], s[34:35], 0x4
	s_load_dwordx2 s[40:41], s[34:35], 0x14
	s_load_dwordx4 s[20:23], s[34:35], 0xc4
	s_load_dwordx4 s[16:19], s[34:35], 0x148
	s_cmp_lg_u32 s33, 0
	s_cselect_b64 s[46:47], -1, 0
	s_add_u32 s44, s34, 0xc4
	s_addc_u32 s45, s35, 0
	s_min_u32 s56, s54, 15
	s_cmp_gt_u32 s33, 1
	s_cselect_b64 s[42:43], -1, 0
	v_cmp_gt_i32_e32 vcc, s55, v10
	s_and_saveexec_b64 s[48:49], vcc
	s_cbranch_execz .LBB33_14
; %bb.2:
	s_andn2_b64 vcc, exec, s[36:37]
	s_cbranch_vccnz .LBB33_21
; %bb.3:
	s_andn2_b64 vcc, exec, s[46:47]
	s_cbranch_vccnz .LBB33_161
; %bb.4:
	s_add_i32 s58, s56, 1
	s_cmp_eq_u32 s54, 2
	s_cbranch_scc1 .LBB33_163
; %bb.5:
	s_and_b32 s57, s58, 28
	v_mov_b32_e32 v2, 0
	s_mov_b32 s59, 0
	s_mov_b64 s[50:51], s[34:35]
	s_mov_b64 s[52:53], s[44:45]
	v_mov_b32_e32 v0, 0
	v_mov_b32_e32 v1, v10
.LBB33_6:                               ; =>This Inner Loop Header: Depth=1
	s_load_dwordx8 s[8:15], s[50:51], 0x4
	s_load_dwordx4 s[28:31], s[50:51], 0x24
	s_load_dwordx8 s[0:7], s[52:53], 0x0
	s_add_u32 s50, s50, 48
	s_addc_u32 s51, s51, 0
	s_waitcnt lgkmcnt(0)
	v_mul_hi_u32 v3, s9, v1
	s_add_i32 s59, s59, 4
	s_add_u32 s52, s52, 32
	s_addc_u32 s53, s53, 0
	v_add_u32_e32 v3, v1, v3
	v_lshrrev_b32_e32 v3, s10, v3
	v_mul_lo_u32 v4, v3, s8
	v_mul_hi_u32 v5, s12, v3
	s_cmp_lg_u32 s57, s59
	v_sub_u32_e32 v1, v1, v4
	v_add_u32_e32 v4, v3, v5
	v_mul_lo_u32 v5, v1, s0
	v_mul_lo_u32 v6, v1, s1
	v_lshrrev_b32_e32 v1, s13, v4
	v_mul_lo_u32 v4, v1, s11
	v_mul_hi_u32 v7, s15, v1
	v_sub_u32_e32 v3, v3, v4
	v_add_u32_e32 v4, v1, v7
	v_lshrrev_b32_e32 v4, s28, v4
	v_mul_hi_u32 v8, s30, v4
	v_mul_lo_u32 v9, v4, s14
	v_mul_lo_u32 v7, v3, s2
	;; [unrolled: 1-line block ×3, first 2 shown]
	v_sub_u32_e32 v9, v1, v9
	v_add_u32_e32 v1, v4, v8
	v_lshrrev_b32_e32 v1, s31, v1
	v_mul_lo_u32 v8, v1, s29
	v_mul_lo_u32 v11, v9, s4
	;; [unrolled: 1-line block ×3, first 2 shown]
	v_add3_u32 v0, v5, v0, v7
	v_sub_u32_e32 v4, v4, v8
	v_mul_lo_u32 v8, v4, s6
	v_mul_lo_u32 v4, v4, s7
	v_add3_u32 v2, v6, v2, v3
	v_add3_u32 v0, v11, v0, v8
	;; [unrolled: 1-line block ×3, first 2 shown]
	s_cbranch_scc1 .LBB33_6
	s_branch .LBB33_164
.LBB33_7:
	s_andn2_saveexec_b64 s[0:1], s[38:39]
	s_cbranch_execz .LBB33_277
.LBB33_8:
	v_cndmask_b32_e64 v0, 0, 1, s[36:37]
	v_cmp_ne_u32_e64 s[0:1], 1, v0
	s_andn2_b64 vcc, exec, s[36:37]
	s_cbranch_vccnz .LBB33_20
; %bb.9:
	s_cmp_lg_u32 s33, 0
	s_waitcnt lgkmcnt(0)
	s_mov_b32 s26, 0
	s_cbranch_scc0 .LBB33_23
; %bb.10:
	s_min_u32 s27, s54, 15
	s_add_i32 s27, s27, 1
	s_cmp_eq_u32 s54, 2
	s_cbranch_scc1 .LBB33_24
; %bb.11:
	s_and_b32 s26, s27, 28
	s_add_u32 s2, s34, 0xc4
	s_addc_u32 s3, s35, 0
	v_mov_b32_e32 v7, 0
	s_mov_b32 s28, 0
	s_mov_b64 s[24:25], s[34:35]
	v_mov_b32_e32 v0, 0
	v_mov_b32_e32 v1, v10
.LBB33_12:                              ; =>This Inner Loop Header: Depth=1
	s_load_dwordx8 s[12:19], s[24:25], 0x4
	s_load_dwordx4 s[20:23], s[24:25], 0x24
	s_load_dwordx8 s[4:11], s[2:3], 0x0
	s_add_u32 s24, s24, 48
	s_addc_u32 s25, s25, 0
	s_waitcnt lgkmcnt(0)
	v_mul_hi_u32 v2, s13, v1
	s_add_i32 s28, s28, 4
	s_add_u32 s2, s2, 32
	s_addc_u32 s3, s3, 0
	v_add_u32_e32 v2, v1, v2
	v_lshrrev_b32_e32 v2, s14, v2
	v_mul_lo_u32 v3, v2, s12
	v_mul_hi_u32 v4, s16, v2
	s_cmp_lg_u32 s26, s28
	v_sub_u32_e32 v1, v1, v3
	v_add_u32_e32 v3, v2, v4
	v_mul_lo_u32 v4, v1, s4
	v_mul_lo_u32 v5, v1, s5
	v_lshrrev_b32_e32 v1, s17, v3
	v_mul_lo_u32 v3, v1, s15
	v_mul_hi_u32 v6, s19, v1
	v_sub_u32_e32 v2, v2, v3
	v_add_u32_e32 v3, v1, v6
	v_lshrrev_b32_e32 v3, s20, v3
	v_mul_hi_u32 v8, s22, v3
	v_mul_lo_u32 v9, v3, s18
	v_mul_lo_u32 v6, v2, s6
	;; [unrolled: 1-line block ×3, first 2 shown]
	v_sub_u32_e32 v9, v1, v9
	v_add_u32_e32 v1, v3, v8
	v_lshrrev_b32_e32 v1, s23, v1
	v_mul_lo_u32 v8, v1, s21
	v_mul_lo_u32 v11, v9, s8
	;; [unrolled: 1-line block ×3, first 2 shown]
	v_add3_u32 v0, v4, v0, v6
	v_sub_u32_e32 v3, v3, v8
	v_mul_lo_u32 v8, v3, s10
	v_mul_lo_u32 v3, v3, s11
	v_add3_u32 v2, v5, v7, v2
	v_add3_u32 v0, v11, v0, v8
	;; [unrolled: 1-line block ×3, first 2 shown]
	s_cbranch_scc1 .LBB33_12
; %bb.13:
	s_and_b32 s6, s27, 3
	s_cmp_eq_u32 s6, 0
	s_cbranch_scc0 .LBB33_25
	s_branch .LBB33_27
.LBB33_14:
	s_or_b64 exec, exec, s[48:49]
	v_cmp_gt_i32_e32 vcc, s55, v10
	s_and_saveexec_b64 s[48:49], vcc
	s_cbranch_execz .LBB33_175
.LBB33_15:
	s_andn2_b64 vcc, exec, s[36:37]
	s_cbranch_vccnz .LBB33_22
; %bb.16:
	s_andn2_b64 vcc, exec, s[46:47]
	s_cbranch_vccnz .LBB33_162
; %bb.17:
	s_add_i32 s58, s56, 1
	s_cmp_eq_u32 s54, 2
	s_cbranch_scc1 .LBB33_183
; %bb.18:
	s_and_b32 s57, s58, 28
	v_mov_b32_e32 v2, 0
	s_mov_b32 s59, 0
	s_mov_b64 s[50:51], s[34:35]
	s_mov_b64 s[52:53], s[44:45]
	v_mov_b32_e32 v0, 0
	v_mov_b32_e32 v1, v10
.LBB33_19:                              ; =>This Inner Loop Header: Depth=1
	s_load_dwordx8 s[8:15], s[50:51], 0x4
	s_load_dwordx4 s[28:31], s[50:51], 0x24
	s_load_dwordx8 s[0:7], s[52:53], 0x0
	s_add_u32 s50, s50, 48
	s_addc_u32 s51, s51, 0
	s_waitcnt lgkmcnt(0)
	v_mul_hi_u32 v3, s9, v1
	s_add_i32 s59, s59, 4
	s_add_u32 s52, s52, 32
	s_addc_u32 s53, s53, 0
	v_add_u32_e32 v3, v1, v3
	v_lshrrev_b32_e32 v3, s10, v3
	v_mul_lo_u32 v4, v3, s8
	v_mul_hi_u32 v5, s12, v3
	s_cmp_eq_u32 s57, s59
	v_sub_u32_e32 v1, v1, v4
	v_add_u32_e32 v4, v3, v5
	v_mul_lo_u32 v5, v1, s0
	v_mul_lo_u32 v6, v1, s1
	v_lshrrev_b32_e32 v1, s13, v4
	v_mul_lo_u32 v4, v1, s11
	v_mul_hi_u32 v7, s15, v1
	v_sub_u32_e32 v3, v3, v4
	v_add_u32_e32 v4, v1, v7
	v_lshrrev_b32_e32 v4, s28, v4
	v_mul_hi_u32 v8, s30, v4
	v_mul_lo_u32 v9, v4, s14
	v_mul_lo_u32 v7, v3, s2
	;; [unrolled: 1-line block ×3, first 2 shown]
	v_sub_u32_e32 v9, v1, v9
	v_add_u32_e32 v1, v4, v8
	v_lshrrev_b32_e32 v1, s31, v1
	v_mul_lo_u32 v8, v1, s29
	v_mul_lo_u32 v11, v9, s4
	;; [unrolled: 1-line block ×3, first 2 shown]
	v_add3_u32 v0, v5, v0, v7
	v_sub_u32_e32 v4, v4, v8
	v_mul_lo_u32 v8, v4, s6
	v_mul_lo_u32 v4, v4, s7
	v_add3_u32 v2, v6, v2, v3
	v_add3_u32 v0, v11, v0, v8
	;; [unrolled: 1-line block ×3, first 2 shown]
	s_cbranch_scc0 .LBB33_19
	s_branch .LBB33_184
.LBB33_20:
                                        ; implicit-def: $vgpr0
                                        ; implicit-def: $vgpr7
	s_branch .LBB33_28
.LBB33_21:
                                        ; implicit-def: $vgpr0
                                        ; implicit-def: $vgpr2
	s_branch .LBB33_168
.LBB33_22:
                                        ; implicit-def: $vgpr0
                                        ; implicit-def: $vgpr2
	s_branch .LBB33_188
.LBB33_23:
	v_mov_b32_e32 v0, 0
	v_mov_b32_e32 v7, 0
	s_branch .LBB33_27
.LBB33_24:
	v_mov_b32_e32 v0, 0
	v_mov_b32_e32 v7, 0
	;; [unrolled: 1-line block ×3, first 2 shown]
	s_and_b32 s6, s27, 3
	s_cmp_eq_u32 s6, 0
	s_cbranch_scc1 .LBB33_27
.LBB33_25:
	s_lshl_b32 s2, s26, 3
	s_add_u32 s2, s34, s2
	s_addc_u32 s3, s35, 0
	s_add_u32 s2, s2, 0xc4
	s_addc_u32 s3, s3, 0
	s_mul_i32 s4, s26, 12
	s_add_u32 s4, s34, s4
	s_addc_u32 s5, s35, 0
.LBB33_26:                              ; =>This Inner Loop Header: Depth=1
	s_load_dwordx2 s[8:9], s[4:5], 0x4
	s_load_dword s7, s[4:5], 0xc
	s_load_dwordx2 s[10:11], s[2:3], 0x0
	s_add_u32 s4, s4, 12
	s_addc_u32 s5, s5, 0
	s_waitcnt lgkmcnt(0)
	v_mul_hi_u32 v2, s9, v1
	s_add_u32 s2, s2, 8
	s_addc_u32 s3, s3, 0
	s_add_i32 s6, s6, -1
	v_add_u32_e32 v2, v1, v2
	v_lshrrev_b32_e32 v2, s7, v2
	v_mul_lo_u32 v3, v2, s8
	s_cmp_lg_u32 s6, 0
	v_sub_u32_e32 v3, v1, v3
	v_mad_u64_u32 v[0:1], s[8:9], v3, s10, v[0:1]
	v_mad_u64_u32 v[7:8], s[8:9], v3, s11, v[7:8]
	v_mov_b32_e32 v1, v2
	s_cbranch_scc1 .LBB33_26
.LBB33_27:
	s_cbranch_execnz .LBB33_30
.LBB33_28:
	s_load_dwordx4 s[4:7], s[34:35], 0x4
	s_load_dwordx2 s[2:3], s[34:35], 0xc4
	s_cmp_lt_u32 s33, 2
	s_waitcnt lgkmcnt(0)
	v_mul_hi_u32 v0, s5, v10
	v_add_u32_e32 v0, v10, v0
	v_lshrrev_b32_e32 v1, s6, v0
	v_mul_lo_u32 v0, v1, s4
	v_sub_u32_e32 v2, v10, v0
	v_mul_lo_u32 v0, v2, s2
	v_mul_lo_u32 v7, v2, s3
	s_cbranch_scc1 .LBB33_30
; %bb.29:
	s_load_dwordx4 s[4:7], s[34:35], 0x10
	s_load_dwordx2 s[2:3], s[34:35], 0xcc
	s_waitcnt lgkmcnt(0)
	v_mul_hi_u32 v2, s5, v1
	v_add_u32_e32 v2, v1, v2
	v_lshrrev_b32_e32 v2, s6, v2
	v_mul_lo_u32 v2, v2, s4
	v_sub_u32_e32 v2, v1, v2
	v_mad_u64_u32 v[0:1], s[4:5], v2, s2, v[0:1]
	v_mad_u64_u32 v[7:8], s[2:3], v2, s3, v[7:8]
.LBB33_30:
	s_and_b64 vcc, exec, s[0:1]
	v_add_u32_e32 v3, 0x80, v10
	s_cbranch_vccnz .LBB33_36
; %bb.31:
	s_cmp_lg_u32 s33, 0
	s_waitcnt lgkmcnt(0)
	s_mov_b32 s26, 0
	s_cbranch_scc0 .LBB33_37
; %bb.32:
	s_min_u32 s27, s54, 15
	s_add_i32 s27, s27, 1
	s_cmp_eq_u32 s54, 2
	s_cbranch_scc1 .LBB33_38
; %bb.33:
	s_and_b32 s26, s27, 28
	s_add_u32 s2, s34, 0xc4
	s_addc_u32 s3, s35, 0
	v_mov_b32_e32 v8, 0
	s_mov_b32 s28, 0
	s_mov_b64 s[24:25], s[34:35]
	v_mov_b32_e32 v1, 0
	v_mov_b32_e32 v2, v3
.LBB33_34:                              ; =>This Inner Loop Header: Depth=1
	s_load_dwordx8 s[12:19], s[24:25], 0x4
	s_load_dwordx4 s[20:23], s[24:25], 0x24
	s_load_dwordx8 s[4:11], s[2:3], 0x0
	s_add_u32 s24, s24, 48
	s_addc_u32 s25, s25, 0
	s_waitcnt lgkmcnt(0)
	v_mul_hi_u32 v4, s13, v2
	s_add_i32 s28, s28, 4
	s_add_u32 s2, s2, 32
	s_addc_u32 s3, s3, 0
	v_add_u32_e32 v4, v2, v4
	v_lshrrev_b32_e32 v4, s14, v4
	v_mul_lo_u32 v5, v4, s12
	v_mul_hi_u32 v6, s16, v4
	s_cmp_lg_u32 s26, s28
	v_sub_u32_e32 v2, v2, v5
	v_add_u32_e32 v5, v4, v6
	v_mul_lo_u32 v6, v2, s4
	v_mul_lo_u32 v9, v2, s5
	v_lshrrev_b32_e32 v2, s17, v5
	v_mul_lo_u32 v5, v2, s15
	v_mul_hi_u32 v11, s19, v2
	v_sub_u32_e32 v4, v4, v5
	v_add_u32_e32 v5, v2, v11
	v_lshrrev_b32_e32 v5, s20, v5
	v_mul_hi_u32 v12, s22, v5
	v_mul_lo_u32 v13, v5, s18
	v_mul_lo_u32 v11, v4, s6
	;; [unrolled: 1-line block ×3, first 2 shown]
	v_sub_u32_e32 v13, v2, v13
	v_add_u32_e32 v2, v5, v12
	v_lshrrev_b32_e32 v2, s23, v2
	v_mul_lo_u32 v12, v2, s21
	v_mul_lo_u32 v14, v13, s8
	;; [unrolled: 1-line block ×3, first 2 shown]
	v_add3_u32 v1, v6, v1, v11
	v_sub_u32_e32 v5, v5, v12
	v_mul_lo_u32 v12, v5, s10
	v_mul_lo_u32 v5, v5, s11
	v_add3_u32 v4, v9, v8, v4
	v_add3_u32 v1, v14, v1, v12
	;; [unrolled: 1-line block ×3, first 2 shown]
	s_cbranch_scc1 .LBB33_34
; %bb.35:
	s_and_b32 s6, s27, 3
	s_cmp_eq_u32 s6, 0
	s_cbranch_scc0 .LBB33_39
	s_branch .LBB33_41
.LBB33_36:
                                        ; implicit-def: $vgpr1
                                        ; implicit-def: $vgpr8
	s_branch .LBB33_42
.LBB33_37:
	v_mov_b32_e32 v1, 0
	v_mov_b32_e32 v8, 0
	s_branch .LBB33_41
.LBB33_38:
	v_mov_b32_e32 v1, 0
	v_mov_b32_e32 v8, 0
	;; [unrolled: 1-line block ×3, first 2 shown]
	s_and_b32 s6, s27, 3
	s_cmp_eq_u32 s6, 0
	s_cbranch_scc1 .LBB33_41
.LBB33_39:
	s_lshl_b32 s2, s26, 3
	s_add_u32 s2, s34, s2
	s_addc_u32 s3, s35, 0
	s_add_u32 s2, s2, 0xc4
	s_addc_u32 s3, s3, 0
	s_mul_i32 s4, s26, 12
	s_add_u32 s4, s34, s4
	s_addc_u32 s5, s35, 0
.LBB33_40:                              ; =>This Inner Loop Header: Depth=1
	s_load_dwordx2 s[8:9], s[4:5], 0x4
	s_load_dword s7, s[4:5], 0xc
	s_load_dwordx2 s[10:11], s[2:3], 0x0
	s_add_u32 s4, s4, 12
	s_addc_u32 s5, s5, 0
	s_waitcnt lgkmcnt(0)
	v_mul_hi_u32 v4, s9, v2
	s_add_u32 s2, s2, 8
	s_addc_u32 s3, s3, 0
	s_add_i32 s6, s6, -1
	v_add_u32_e32 v4, v2, v4
	v_lshrrev_b32_e32 v4, s7, v4
	v_mul_lo_u32 v5, v4, s8
	s_cmp_lg_u32 s6, 0
	v_sub_u32_e32 v5, v2, v5
	v_mad_u64_u32 v[1:2], s[8:9], v5, s10, v[1:2]
	v_mad_u64_u32 v[8:9], s[8:9], v5, s11, v[8:9]
	v_mov_b32_e32 v2, v4
	s_cbranch_scc1 .LBB33_40
.LBB33_41:
	s_cbranch_execnz .LBB33_44
.LBB33_42:
	s_load_dwordx4 s[4:7], s[34:35], 0x4
	s_load_dwordx2 s[2:3], s[34:35], 0xc4
	s_cmp_lt_u32 s33, 2
	s_waitcnt lgkmcnt(0)
	v_mul_hi_u32 v1, s5, v3
	v_add_u32_e32 v1, v3, v1
	v_lshrrev_b32_e32 v2, s6, v1
	v_mul_lo_u32 v1, v2, s4
	v_sub_u32_e32 v3, v3, v1
	v_mul_lo_u32 v1, v3, s2
	v_mul_lo_u32 v8, v3, s3
	s_cbranch_scc1 .LBB33_44
; %bb.43:
	s_load_dwordx4 s[4:7], s[34:35], 0x10
	s_load_dwordx2 s[2:3], s[34:35], 0xcc
	s_waitcnt lgkmcnt(0)
	v_mul_hi_u32 v3, s5, v2
	v_add_u32_e32 v3, v2, v3
	v_lshrrev_b32_e32 v3, s6, v3
	v_mul_lo_u32 v3, v3, s4
	v_sub_u32_e32 v3, v2, v3
	v_mad_u64_u32 v[1:2], s[4:5], v3, s2, v[1:2]
	v_mad_u64_u32 v[8:9], s[2:3], v3, s3, v[8:9]
.LBB33_44:
	s_and_b64 vcc, exec, s[0:1]
	v_add_u32_e32 v4, 0x100, v10
	s_cbranch_vccnz .LBB33_50
; %bb.45:
	s_cmp_lg_u32 s33, 0
	s_waitcnt lgkmcnt(0)
	s_mov_b32 s26, 0
	s_cbranch_scc0 .LBB33_51
; %bb.46:
	s_min_u32 s27, s54, 15
	s_add_i32 s27, s27, 1
	s_cmp_eq_u32 s54, 2
	s_cbranch_scc1 .LBB33_52
; %bb.47:
	s_and_b32 s26, s27, 28
	s_add_u32 s2, s34, 0xc4
	s_addc_u32 s3, s35, 0
	v_mov_b32_e32 v11, 0
	s_mov_b32 s28, 0
	s_mov_b64 s[24:25], s[34:35]
	v_mov_b32_e32 v2, 0
	v_mov_b32_e32 v3, v4
.LBB33_48:                              ; =>This Inner Loop Header: Depth=1
	s_load_dwordx8 s[12:19], s[24:25], 0x4
	s_load_dwordx4 s[20:23], s[24:25], 0x24
	s_load_dwordx8 s[4:11], s[2:3], 0x0
	s_add_u32 s24, s24, 48
	s_addc_u32 s25, s25, 0
	s_waitcnt lgkmcnt(0)
	v_mul_hi_u32 v5, s13, v3
	s_add_i32 s28, s28, 4
	s_add_u32 s2, s2, 32
	s_addc_u32 s3, s3, 0
	v_add_u32_e32 v5, v3, v5
	v_lshrrev_b32_e32 v5, s14, v5
	v_mul_lo_u32 v6, v5, s12
	v_mul_hi_u32 v9, s16, v5
	s_cmp_lg_u32 s26, s28
	v_sub_u32_e32 v3, v3, v6
	v_add_u32_e32 v6, v5, v9
	v_mul_lo_u32 v9, v3, s4
	v_mul_lo_u32 v12, v3, s5
	v_lshrrev_b32_e32 v3, s17, v6
	v_mul_lo_u32 v6, v3, s15
	v_mul_hi_u32 v13, s19, v3
	v_sub_u32_e32 v5, v5, v6
	v_add_u32_e32 v6, v3, v13
	v_lshrrev_b32_e32 v6, s20, v6
	v_mul_hi_u32 v14, s22, v6
	v_mul_lo_u32 v15, v6, s18
	v_mul_lo_u32 v13, v5, s6
	;; [unrolled: 1-line block ×3, first 2 shown]
	v_sub_u32_e32 v15, v3, v15
	v_add_u32_e32 v3, v6, v14
	v_lshrrev_b32_e32 v3, s23, v3
	v_mul_lo_u32 v14, v3, s21
	v_mul_lo_u32 v16, v15, s8
	v_mul_lo_u32 v15, v15, s9
	v_add3_u32 v2, v9, v2, v13
	v_sub_u32_e32 v6, v6, v14
	v_mul_lo_u32 v14, v6, s10
	v_mul_lo_u32 v6, v6, s11
	v_add3_u32 v5, v12, v11, v5
	v_add3_u32 v2, v16, v2, v14
	;; [unrolled: 1-line block ×3, first 2 shown]
	s_cbranch_scc1 .LBB33_48
; %bb.49:
	s_and_b32 s6, s27, 3
	s_cmp_eq_u32 s6, 0
	s_cbranch_scc0 .LBB33_53
	s_branch .LBB33_55
.LBB33_50:
                                        ; implicit-def: $vgpr2
                                        ; implicit-def: $vgpr11
	s_branch .LBB33_56
.LBB33_51:
	v_mov_b32_e32 v2, 0
	v_mov_b32_e32 v11, 0
	s_branch .LBB33_55
.LBB33_52:
	v_mov_b32_e32 v2, 0
	v_mov_b32_e32 v11, 0
	;; [unrolled: 1-line block ×3, first 2 shown]
	s_and_b32 s6, s27, 3
	s_cmp_eq_u32 s6, 0
	s_cbranch_scc1 .LBB33_55
.LBB33_53:
	s_lshl_b32 s2, s26, 3
	s_add_u32 s2, s34, s2
	s_addc_u32 s3, s35, 0
	s_add_u32 s2, s2, 0xc4
	s_addc_u32 s3, s3, 0
	s_mul_i32 s4, s26, 12
	s_add_u32 s4, s34, s4
	s_addc_u32 s5, s35, 0
.LBB33_54:                              ; =>This Inner Loop Header: Depth=1
	s_load_dwordx2 s[8:9], s[4:5], 0x4
	s_load_dword s7, s[4:5], 0xc
	s_load_dwordx2 s[10:11], s[2:3], 0x0
	s_add_u32 s4, s4, 12
	s_addc_u32 s5, s5, 0
	s_waitcnt lgkmcnt(0)
	v_mul_hi_u32 v5, s9, v3
	s_add_u32 s2, s2, 8
	s_addc_u32 s3, s3, 0
	s_add_i32 s6, s6, -1
	v_add_u32_e32 v5, v3, v5
	v_lshrrev_b32_e32 v5, s7, v5
	v_mul_lo_u32 v6, v5, s8
	s_cmp_lg_u32 s6, 0
	v_sub_u32_e32 v6, v3, v6
	v_mad_u64_u32 v[2:3], s[8:9], v6, s10, v[2:3]
	v_mad_u64_u32 v[11:12], s[8:9], v6, s11, v[11:12]
	v_mov_b32_e32 v3, v5
	s_cbranch_scc1 .LBB33_54
.LBB33_55:
	s_cbranch_execnz .LBB33_58
.LBB33_56:
	s_load_dwordx4 s[4:7], s[34:35], 0x4
	s_load_dwordx2 s[2:3], s[34:35], 0xc4
	s_cmp_lt_u32 s33, 2
	s_waitcnt lgkmcnt(0)
	v_mul_hi_u32 v2, s5, v4
	v_add_u32_e32 v2, v4, v2
	v_lshrrev_b32_e32 v3, s6, v2
	v_mul_lo_u32 v2, v3, s4
	v_sub_u32_e32 v4, v4, v2
	v_mul_lo_u32 v2, v4, s2
	v_mul_lo_u32 v11, v4, s3
	s_cbranch_scc1 .LBB33_58
; %bb.57:
	s_load_dwordx4 s[4:7], s[34:35], 0x10
	s_load_dwordx2 s[2:3], s[34:35], 0xcc
	s_waitcnt lgkmcnt(0)
	v_mul_hi_u32 v4, s5, v3
	v_add_u32_e32 v4, v3, v4
	v_lshrrev_b32_e32 v4, s6, v4
	v_mul_lo_u32 v4, v4, s4
	v_sub_u32_e32 v4, v3, v4
	v_mad_u64_u32 v[2:3], s[4:5], v4, s2, v[2:3]
	v_mad_u64_u32 v[11:12], s[2:3], v4, s3, v[11:12]
.LBB33_58:
	s_and_b64 vcc, exec, s[0:1]
	v_add_u32_e32 v5, 0x180, v10
	s_cbranch_vccnz .LBB33_64
; %bb.59:
	s_cmp_lg_u32 s33, 0
	s_waitcnt lgkmcnt(0)
	s_mov_b32 s26, 0
	s_cbranch_scc0 .LBB33_65
; %bb.60:
	s_min_u32 s27, s54, 15
	s_add_i32 s27, s27, 1
	s_cmp_eq_u32 s54, 2
	s_cbranch_scc1 .LBB33_66
; %bb.61:
	s_and_b32 s26, s27, 28
	s_add_u32 s2, s34, 0xc4
	s_addc_u32 s3, s35, 0
	v_mov_b32_e32 v12, 0
	s_mov_b32 s28, 0
	s_mov_b64 s[24:25], s[34:35]
	v_mov_b32_e32 v3, 0
	v_mov_b32_e32 v4, v5
.LBB33_62:                              ; =>This Inner Loop Header: Depth=1
	s_load_dwordx8 s[12:19], s[24:25], 0x4
	s_load_dwordx4 s[20:23], s[24:25], 0x24
	s_load_dwordx8 s[4:11], s[2:3], 0x0
	s_add_u32 s24, s24, 48
	s_addc_u32 s25, s25, 0
	s_waitcnt lgkmcnt(0)
	v_mul_hi_u32 v6, s13, v4
	s_add_i32 s28, s28, 4
	s_add_u32 s2, s2, 32
	s_addc_u32 s3, s3, 0
	v_add_u32_e32 v6, v4, v6
	v_lshrrev_b32_e32 v6, s14, v6
	v_mul_lo_u32 v9, v6, s12
	v_mul_hi_u32 v13, s16, v6
	s_cmp_lg_u32 s26, s28
	v_sub_u32_e32 v4, v4, v9
	v_add_u32_e32 v9, v6, v13
	v_mul_lo_u32 v13, v4, s4
	v_mul_lo_u32 v14, v4, s5
	v_lshrrev_b32_e32 v4, s17, v9
	v_mul_lo_u32 v9, v4, s15
	v_mul_hi_u32 v15, s19, v4
	v_sub_u32_e32 v6, v6, v9
	v_add_u32_e32 v9, v4, v15
	v_lshrrev_b32_e32 v9, s20, v9
	v_mul_hi_u32 v16, s22, v9
	v_mul_lo_u32 v17, v9, s18
	v_mul_lo_u32 v15, v6, s6
	;; [unrolled: 1-line block ×3, first 2 shown]
	v_sub_u32_e32 v17, v4, v17
	v_add_u32_e32 v4, v9, v16
	v_lshrrev_b32_e32 v4, s23, v4
	v_mul_lo_u32 v16, v4, s21
	v_mul_lo_u32 v18, v17, s8
	;; [unrolled: 1-line block ×3, first 2 shown]
	v_add3_u32 v3, v13, v3, v15
	v_sub_u32_e32 v9, v9, v16
	v_mul_lo_u32 v16, v9, s10
	v_mul_lo_u32 v9, v9, s11
	v_add3_u32 v6, v14, v12, v6
	v_add3_u32 v3, v18, v3, v16
	v_add3_u32 v12, v17, v6, v9
	s_cbranch_scc1 .LBB33_62
; %bb.63:
	s_and_b32 s6, s27, 3
	s_cmp_eq_u32 s6, 0
	s_cbranch_scc0 .LBB33_67
	s_branch .LBB33_69
.LBB33_64:
                                        ; implicit-def: $vgpr3
                                        ; implicit-def: $vgpr12
	s_branch .LBB33_70
.LBB33_65:
	v_mov_b32_e32 v3, 0
	v_mov_b32_e32 v12, 0
	s_branch .LBB33_69
.LBB33_66:
	v_mov_b32_e32 v3, 0
	v_mov_b32_e32 v12, 0
	v_mov_b32_e32 v4, v5
	s_and_b32 s6, s27, 3
	s_cmp_eq_u32 s6, 0
	s_cbranch_scc1 .LBB33_69
.LBB33_67:
	s_lshl_b32 s2, s26, 3
	s_add_u32 s2, s34, s2
	s_addc_u32 s3, s35, 0
	s_add_u32 s2, s2, 0xc4
	s_addc_u32 s3, s3, 0
	s_mul_i32 s4, s26, 12
	s_add_u32 s4, s34, s4
	s_addc_u32 s5, s35, 0
.LBB33_68:                              ; =>This Inner Loop Header: Depth=1
	s_load_dwordx2 s[8:9], s[4:5], 0x4
	s_load_dword s7, s[4:5], 0xc
	s_load_dwordx2 s[10:11], s[2:3], 0x0
	s_add_u32 s4, s4, 12
	s_addc_u32 s5, s5, 0
	s_waitcnt lgkmcnt(0)
	v_mul_hi_u32 v6, s9, v4
	s_add_u32 s2, s2, 8
	s_addc_u32 s3, s3, 0
	s_add_i32 s6, s6, -1
	v_add_u32_e32 v6, v4, v6
	v_lshrrev_b32_e32 v6, s7, v6
	v_mul_lo_u32 v9, v6, s8
	s_cmp_lg_u32 s6, 0
	v_sub_u32_e32 v9, v4, v9
	v_mad_u64_u32 v[3:4], s[8:9], v9, s10, v[3:4]
	v_mad_u64_u32 v[12:13], s[8:9], v9, s11, v[12:13]
	v_mov_b32_e32 v4, v6
	s_cbranch_scc1 .LBB33_68
.LBB33_69:
	s_cbranch_execnz .LBB33_72
.LBB33_70:
	s_load_dwordx4 s[4:7], s[34:35], 0x4
	s_load_dwordx2 s[2:3], s[34:35], 0xc4
	s_cmp_lt_u32 s33, 2
	s_waitcnt lgkmcnt(0)
	v_mul_hi_u32 v3, s5, v5
	v_add_u32_e32 v3, v5, v3
	v_lshrrev_b32_e32 v4, s6, v3
	v_mul_lo_u32 v3, v4, s4
	v_sub_u32_e32 v5, v5, v3
	v_mul_lo_u32 v3, v5, s2
	v_mul_lo_u32 v12, v5, s3
	s_cbranch_scc1 .LBB33_72
; %bb.71:
	s_load_dwordx4 s[4:7], s[34:35], 0x10
	s_load_dwordx2 s[2:3], s[34:35], 0xcc
	s_waitcnt lgkmcnt(0)
	v_mul_hi_u32 v5, s5, v4
	v_add_u32_e32 v5, v4, v5
	v_lshrrev_b32_e32 v5, s6, v5
	v_mul_lo_u32 v5, v5, s4
	v_sub_u32_e32 v5, v4, v5
	v_mad_u64_u32 v[3:4], s[4:5], v5, s2, v[3:4]
	v_mad_u64_u32 v[12:13], s[2:3], v5, s3, v[12:13]
.LBB33_72:
	s_and_b64 vcc, exec, s[0:1]
	v_add_u32_e32 v6, 0x200, v10
	s_cbranch_vccnz .LBB33_78
; %bb.73:
	s_cmp_lg_u32 s33, 0
	s_waitcnt lgkmcnt(0)
	s_mov_b32 s26, 0
	s_cbranch_scc0 .LBB33_79
; %bb.74:
	s_min_u32 s27, s54, 15
	s_add_i32 s27, s27, 1
	s_cmp_eq_u32 s54, 2
	s_cbranch_scc1 .LBB33_80
; %bb.75:
	s_and_b32 s26, s27, 28
	s_add_u32 s2, s34, 0xc4
	s_addc_u32 s3, s35, 0
	v_mov_b32_e32 v15, 0
	s_mov_b32 s28, 0
	s_mov_b64 s[24:25], s[34:35]
	v_mov_b32_e32 v4, 0
	v_mov_b32_e32 v5, v6
.LBB33_76:                              ; =>This Inner Loop Header: Depth=1
	s_load_dwordx8 s[12:19], s[24:25], 0x4
	s_load_dwordx4 s[20:23], s[24:25], 0x24
	s_load_dwordx8 s[4:11], s[2:3], 0x0
	s_add_u32 s24, s24, 48
	s_addc_u32 s25, s25, 0
	s_waitcnt lgkmcnt(0)
	v_mul_hi_u32 v9, s13, v5
	s_add_i32 s28, s28, 4
	s_add_u32 s2, s2, 32
	s_addc_u32 s3, s3, 0
	v_add_u32_e32 v9, v5, v9
	v_lshrrev_b32_e32 v9, s14, v9
	v_mul_lo_u32 v13, v9, s12
	v_mul_hi_u32 v14, s16, v9
	s_cmp_lg_u32 s26, s28
	v_sub_u32_e32 v5, v5, v13
	v_add_u32_e32 v13, v9, v14
	v_mul_lo_u32 v14, v5, s4
	v_mul_lo_u32 v16, v5, s5
	v_lshrrev_b32_e32 v5, s17, v13
	v_mul_lo_u32 v13, v5, s15
	v_mul_hi_u32 v17, s19, v5
	v_sub_u32_e32 v9, v9, v13
	v_add_u32_e32 v13, v5, v17
	v_lshrrev_b32_e32 v13, s20, v13
	v_mul_hi_u32 v18, s22, v13
	v_mul_lo_u32 v19, v13, s18
	v_mul_lo_u32 v17, v9, s6
	;; [unrolled: 1-line block ×3, first 2 shown]
	v_sub_u32_e32 v19, v5, v19
	v_add_u32_e32 v5, v13, v18
	v_lshrrev_b32_e32 v5, s23, v5
	v_mul_lo_u32 v18, v5, s21
	v_mul_lo_u32 v21, v19, s8
	v_mul_lo_u32 v19, v19, s9
	v_add3_u32 v4, v14, v4, v17
	v_sub_u32_e32 v13, v13, v18
	v_mul_lo_u32 v18, v13, s10
	v_mul_lo_u32 v13, v13, s11
	v_add3_u32 v9, v16, v15, v9
	v_add3_u32 v4, v21, v4, v18
	;; [unrolled: 1-line block ×3, first 2 shown]
	s_cbranch_scc1 .LBB33_76
; %bb.77:
	s_and_b32 s6, s27, 3
	s_cmp_eq_u32 s6, 0
	s_cbranch_scc0 .LBB33_81
	s_branch .LBB33_83
.LBB33_78:
                                        ; implicit-def: $vgpr4
                                        ; implicit-def: $vgpr15
	s_branch .LBB33_84
.LBB33_79:
	v_mov_b32_e32 v4, 0
	v_mov_b32_e32 v15, 0
	s_branch .LBB33_83
.LBB33_80:
	v_mov_b32_e32 v4, 0
	v_mov_b32_e32 v15, 0
	;; [unrolled: 1-line block ×3, first 2 shown]
	s_and_b32 s6, s27, 3
	s_cmp_eq_u32 s6, 0
	s_cbranch_scc1 .LBB33_83
.LBB33_81:
	s_lshl_b32 s2, s26, 3
	s_add_u32 s2, s34, s2
	s_addc_u32 s3, s35, 0
	s_add_u32 s2, s2, 0xc4
	s_addc_u32 s3, s3, 0
	s_mul_i32 s4, s26, 12
	s_add_u32 s4, s34, s4
	s_addc_u32 s5, s35, 0
.LBB33_82:                              ; =>This Inner Loop Header: Depth=1
	s_load_dwordx2 s[8:9], s[4:5], 0x4
	s_load_dword s7, s[4:5], 0xc
	s_load_dwordx2 s[10:11], s[2:3], 0x0
	s_add_u32 s4, s4, 12
	s_addc_u32 s5, s5, 0
	s_waitcnt lgkmcnt(0)
	v_mul_hi_u32 v9, s9, v5
	s_add_u32 s2, s2, 8
	s_addc_u32 s3, s3, 0
	s_add_i32 s6, s6, -1
	v_add_u32_e32 v9, v5, v9
	v_lshrrev_b32_e32 v9, s7, v9
	v_mul_lo_u32 v13, v9, s8
	s_cmp_lg_u32 s6, 0
	v_sub_u32_e32 v13, v5, v13
	v_mad_u64_u32 v[4:5], s[8:9], v13, s10, v[4:5]
	v_mad_u64_u32 v[15:16], s[8:9], v13, s11, v[15:16]
	v_mov_b32_e32 v5, v9
	s_cbranch_scc1 .LBB33_82
.LBB33_83:
	s_cbranch_execnz .LBB33_86
.LBB33_84:
	s_load_dwordx4 s[4:7], s[34:35], 0x4
	s_load_dwordx2 s[2:3], s[34:35], 0xc4
	s_cmp_lt_u32 s33, 2
	s_waitcnt lgkmcnt(0)
	v_mul_hi_u32 v4, s5, v6
	v_add_u32_e32 v4, v6, v4
	v_lshrrev_b32_e32 v5, s6, v4
	v_mul_lo_u32 v4, v5, s4
	v_sub_u32_e32 v6, v6, v4
	v_mul_lo_u32 v4, v6, s2
	v_mul_lo_u32 v15, v6, s3
	s_cbranch_scc1 .LBB33_86
; %bb.85:
	s_load_dwordx4 s[4:7], s[34:35], 0x10
	s_load_dwordx2 s[2:3], s[34:35], 0xcc
	s_waitcnt lgkmcnt(0)
	v_mul_hi_u32 v6, s5, v5
	v_add_u32_e32 v6, v5, v6
	v_lshrrev_b32_e32 v6, s6, v6
	v_mul_lo_u32 v6, v6, s4
	v_sub_u32_e32 v6, v5, v6
	v_mad_u64_u32 v[4:5], s[4:5], v6, s2, v[4:5]
	v_mad_u64_u32 v[15:16], s[2:3], v6, s3, v[15:16]
.LBB33_86:
	s_and_b64 vcc, exec, s[0:1]
	v_add_u32_e32 v9, 0x280, v10
	s_cbranch_vccnz .LBB33_92
; %bb.87:
	s_cmp_lg_u32 s33, 0
	s_waitcnt lgkmcnt(0)
	s_mov_b32 s26, 0
	s_cbranch_scc0 .LBB33_93
; %bb.88:
	s_min_u32 s27, s54, 15
	s_add_i32 s27, s27, 1
	s_cmp_eq_u32 s54, 2
	s_cbranch_scc1 .LBB33_94
; %bb.89:
	s_and_b32 s26, s27, 28
	s_add_u32 s2, s34, 0xc4
	s_addc_u32 s3, s35, 0
	v_mov_b32_e32 v16, 0
	s_mov_b32 s28, 0
	s_mov_b64 s[24:25], s[34:35]
	v_mov_b32_e32 v5, 0
	v_mov_b32_e32 v6, v9
.LBB33_90:                              ; =>This Inner Loop Header: Depth=1
	s_load_dwordx8 s[12:19], s[24:25], 0x4
	s_load_dwordx4 s[20:23], s[24:25], 0x24
	s_load_dwordx8 s[4:11], s[2:3], 0x0
	s_add_u32 s24, s24, 48
	s_addc_u32 s25, s25, 0
	s_waitcnt lgkmcnt(0)
	v_mul_hi_u32 v13, s13, v6
	s_add_i32 s28, s28, 4
	s_add_u32 s2, s2, 32
	s_addc_u32 s3, s3, 0
	v_add_u32_e32 v13, v6, v13
	v_lshrrev_b32_e32 v13, s14, v13
	v_mul_lo_u32 v14, v13, s12
	v_mul_hi_u32 v17, s16, v13
	s_cmp_lg_u32 s26, s28
	v_sub_u32_e32 v6, v6, v14
	v_add_u32_e32 v14, v13, v17
	v_mul_lo_u32 v17, v6, s4
	v_mul_lo_u32 v18, v6, s5
	v_lshrrev_b32_e32 v6, s17, v14
	v_mul_lo_u32 v14, v6, s15
	v_mul_hi_u32 v19, s19, v6
	v_sub_u32_e32 v13, v13, v14
	v_add_u32_e32 v14, v6, v19
	v_lshrrev_b32_e32 v14, s20, v14
	v_mul_hi_u32 v21, s22, v14
	v_mul_lo_u32 v22, v14, s18
	v_mul_lo_u32 v19, v13, s6
	;; [unrolled: 1-line block ×3, first 2 shown]
	v_sub_u32_e32 v22, v6, v22
	v_add_u32_e32 v6, v14, v21
	v_lshrrev_b32_e32 v6, s23, v6
	v_mul_lo_u32 v21, v6, s21
	v_mul_lo_u32 v23, v22, s8
	;; [unrolled: 1-line block ×3, first 2 shown]
	v_add3_u32 v5, v17, v5, v19
	v_sub_u32_e32 v14, v14, v21
	v_mul_lo_u32 v21, v14, s10
	v_mul_lo_u32 v14, v14, s11
	v_add3_u32 v13, v18, v16, v13
	v_add3_u32 v5, v23, v5, v21
	;; [unrolled: 1-line block ×3, first 2 shown]
	s_cbranch_scc1 .LBB33_90
; %bb.91:
	s_and_b32 s6, s27, 3
	s_cmp_eq_u32 s6, 0
	s_cbranch_scc0 .LBB33_95
	s_branch .LBB33_97
.LBB33_92:
                                        ; implicit-def: $vgpr5
                                        ; implicit-def: $vgpr16
	s_branch .LBB33_98
.LBB33_93:
	v_mov_b32_e32 v5, 0
	v_mov_b32_e32 v16, 0
	s_branch .LBB33_97
.LBB33_94:
	v_mov_b32_e32 v5, 0
	v_mov_b32_e32 v16, 0
	;; [unrolled: 1-line block ×3, first 2 shown]
	s_and_b32 s6, s27, 3
	s_cmp_eq_u32 s6, 0
	s_cbranch_scc1 .LBB33_97
.LBB33_95:
	s_lshl_b32 s2, s26, 3
	s_add_u32 s2, s34, s2
	s_addc_u32 s3, s35, 0
	s_add_u32 s2, s2, 0xc4
	s_addc_u32 s3, s3, 0
	s_mul_i32 s4, s26, 12
	s_add_u32 s4, s34, s4
	s_addc_u32 s5, s35, 0
.LBB33_96:                              ; =>This Inner Loop Header: Depth=1
	s_load_dwordx2 s[8:9], s[4:5], 0x4
	s_load_dword s7, s[4:5], 0xc
	s_load_dwordx2 s[10:11], s[2:3], 0x0
	s_add_u32 s4, s4, 12
	s_addc_u32 s5, s5, 0
	s_waitcnt lgkmcnt(0)
	v_mul_hi_u32 v13, s9, v6
	s_add_u32 s2, s2, 8
	s_addc_u32 s3, s3, 0
	s_add_i32 s6, s6, -1
	v_add_u32_e32 v13, v6, v13
	v_lshrrev_b32_e32 v13, s7, v13
	v_mul_lo_u32 v14, v13, s8
	s_cmp_lg_u32 s6, 0
	v_sub_u32_e32 v14, v6, v14
	v_mad_u64_u32 v[5:6], s[8:9], v14, s10, v[5:6]
	v_mad_u64_u32 v[16:17], s[8:9], v14, s11, v[16:17]
	v_mov_b32_e32 v6, v13
	s_cbranch_scc1 .LBB33_96
.LBB33_97:
	s_cbranch_execnz .LBB33_100
.LBB33_98:
	s_load_dwordx4 s[4:7], s[34:35], 0x4
	s_load_dwordx2 s[2:3], s[34:35], 0xc4
	s_cmp_lt_u32 s33, 2
	s_waitcnt lgkmcnt(0)
	v_mul_hi_u32 v5, s5, v9
	v_add_u32_e32 v5, v9, v5
	v_lshrrev_b32_e32 v6, s6, v5
	v_mul_lo_u32 v5, v6, s4
	v_sub_u32_e32 v9, v9, v5
	v_mul_lo_u32 v5, v9, s2
	v_mul_lo_u32 v16, v9, s3
	s_cbranch_scc1 .LBB33_100
; %bb.99:
	s_load_dwordx4 s[4:7], s[34:35], 0x10
	s_load_dwordx2 s[2:3], s[34:35], 0xcc
	s_waitcnt lgkmcnt(0)
	v_mul_hi_u32 v9, s5, v6
	v_add_u32_e32 v9, v6, v9
	v_lshrrev_b32_e32 v9, s6, v9
	v_mul_lo_u32 v9, v9, s4
	v_sub_u32_e32 v9, v6, v9
	v_mad_u64_u32 v[5:6], s[4:5], v9, s2, v[5:6]
	v_mad_u64_u32 v[16:17], s[2:3], v9, s3, v[16:17]
.LBB33_100:
	s_and_b64 vcc, exec, s[0:1]
	v_add_u32_e32 v6, 0x300, v10
	s_cbranch_vccnz .LBB33_106
; %bb.101:
	s_cmp_lg_u32 s33, 0
	s_waitcnt lgkmcnt(0)
	s_mov_b32 s26, 0
	s_cbranch_scc0 .LBB33_107
; %bb.102:
	s_min_u32 s27, s54, 15
	s_add_i32 s27, s27, 1
	s_cmp_eq_u32 s54, 2
	s_cbranch_scc1 .LBB33_108
; %bb.103:
	s_and_b32 s26, s27, 28
	s_add_u32 s2, s34, 0xc4
	s_addc_u32 s3, s35, 0
	v_mov_b32_e32 v17, 0
	s_mov_b32 s28, 0
	s_mov_b64 s[24:25], s[34:35]
	v_mov_b32_e32 v9, 0
	v_mov_b32_e32 v10, v6
.LBB33_104:                             ; =>This Inner Loop Header: Depth=1
	s_load_dwordx8 s[12:19], s[24:25], 0x4
	s_load_dwordx4 s[20:23], s[24:25], 0x24
	s_load_dwordx8 s[4:11], s[2:3], 0x0
	s_add_u32 s24, s24, 48
	s_addc_u32 s25, s25, 0
	s_waitcnt lgkmcnt(0)
	v_mul_hi_u32 v13, s13, v10
	s_add_i32 s28, s28, 4
	s_add_u32 s2, s2, 32
	s_addc_u32 s3, s3, 0
	v_add_u32_e32 v13, v10, v13
	v_lshrrev_b32_e32 v13, s14, v13
	v_mul_lo_u32 v14, v13, s12
	v_mul_hi_u32 v18, s16, v13
	s_cmp_lg_u32 s26, s28
	v_sub_u32_e32 v10, v10, v14
	v_add_u32_e32 v14, v13, v18
	v_mul_lo_u32 v18, v10, s4
	v_mul_lo_u32 v19, v10, s5
	v_lshrrev_b32_e32 v10, s17, v14
	v_mul_lo_u32 v14, v10, s15
	v_mul_hi_u32 v21, s19, v10
	v_sub_u32_e32 v13, v13, v14
	v_add_u32_e32 v14, v10, v21
	v_lshrrev_b32_e32 v14, s20, v14
	v_mul_hi_u32 v22, s22, v14
	v_mul_lo_u32 v23, v14, s18
	v_mul_lo_u32 v21, v13, s6
	;; [unrolled: 1-line block ×3, first 2 shown]
	v_sub_u32_e32 v23, v10, v23
	v_add_u32_e32 v10, v14, v22
	v_lshrrev_b32_e32 v10, s23, v10
	v_mul_lo_u32 v22, v10, s21
	v_mul_lo_u32 v24, v23, s8
	;; [unrolled: 1-line block ×3, first 2 shown]
	v_add3_u32 v9, v18, v9, v21
	v_sub_u32_e32 v14, v14, v22
	v_mul_lo_u32 v22, v14, s10
	v_mul_lo_u32 v14, v14, s11
	v_add3_u32 v13, v19, v17, v13
	v_add3_u32 v9, v24, v9, v22
	;; [unrolled: 1-line block ×3, first 2 shown]
	s_cbranch_scc1 .LBB33_104
; %bb.105:
	s_and_b32 s6, s27, 3
	s_cmp_eq_u32 s6, 0
	s_cbranch_scc0 .LBB33_109
	s_branch .LBB33_111
.LBB33_106:
                                        ; implicit-def: $vgpr9
                                        ; implicit-def: $vgpr17
	s_branch .LBB33_112
.LBB33_107:
	v_mov_b32_e32 v9, 0
	v_mov_b32_e32 v17, 0
	s_branch .LBB33_111
.LBB33_108:
	v_mov_b32_e32 v9, 0
	v_mov_b32_e32 v17, 0
	;; [unrolled: 1-line block ×3, first 2 shown]
	s_and_b32 s6, s27, 3
	s_cmp_eq_u32 s6, 0
	s_cbranch_scc1 .LBB33_111
.LBB33_109:
	s_lshl_b32 s2, s26, 3
	s_add_u32 s2, s34, s2
	s_addc_u32 s3, s35, 0
	s_add_u32 s2, s2, 0xc4
	s_addc_u32 s3, s3, 0
	s_mul_i32 s4, s26, 12
	s_add_u32 s4, s34, s4
	s_addc_u32 s5, s35, 0
.LBB33_110:                             ; =>This Inner Loop Header: Depth=1
	s_load_dwordx2 s[8:9], s[4:5], 0x4
	s_load_dword s7, s[4:5], 0xc
	s_load_dwordx2 s[10:11], s[2:3], 0x0
	s_add_u32 s4, s4, 12
	s_addc_u32 s5, s5, 0
	s_waitcnt lgkmcnt(0)
	v_mul_hi_u32 v13, s9, v10
	s_add_u32 s2, s2, 8
	s_addc_u32 s3, s3, 0
	s_add_i32 s6, s6, -1
	v_add_u32_e32 v13, v10, v13
	v_lshrrev_b32_e32 v13, s7, v13
	v_mul_lo_u32 v14, v13, s8
	s_cmp_lg_u32 s6, 0
	v_sub_u32_e32 v14, v10, v14
	v_mad_u64_u32 v[9:10], s[8:9], v14, s10, v[9:10]
	v_mad_u64_u32 v[17:18], s[8:9], v14, s11, v[17:18]
	v_mov_b32_e32 v10, v13
	s_cbranch_scc1 .LBB33_110
.LBB33_111:
	s_cbranch_execnz .LBB33_114
.LBB33_112:
	s_load_dwordx4 s[4:7], s[34:35], 0x4
	s_load_dwordx2 s[2:3], s[34:35], 0xc4
	s_cmp_lt_u32 s33, 2
	s_waitcnt lgkmcnt(0)
	v_mul_hi_u32 v9, s5, v6
	v_add_u32_e32 v9, v6, v9
	v_lshrrev_b32_e32 v10, s6, v9
	v_mul_lo_u32 v9, v10, s4
	v_sub_u32_e32 v6, v6, v9
	v_mul_lo_u32 v9, v6, s2
	v_mul_lo_u32 v17, v6, s3
	s_cbranch_scc1 .LBB33_114
; %bb.113:
	s_load_dwordx4 s[4:7], s[34:35], 0x10
	s_load_dwordx2 s[2:3], s[34:35], 0xcc
	s_waitcnt lgkmcnt(0)
	v_mul_hi_u32 v6, s5, v10
	v_add_u32_e32 v6, v10, v6
	v_lshrrev_b32_e32 v6, s6, v6
	v_mul_lo_u32 v6, v6, s4
	v_sub_u32_e32 v6, v10, v6
	v_mad_u64_u32 v[9:10], s[4:5], v6, s2, v[9:10]
	v_mad_u64_u32 v[17:18], s[2:3], v6, s3, v[17:18]
.LBB33_114:
	s_and_b64 vcc, exec, s[0:1]
	s_cbranch_vccnz .LBB33_120
; %bb.115:
	s_cmp_lg_u32 s33, 0
	s_waitcnt lgkmcnt(0)
	s_mov_b32 s24, 0
	s_cbranch_scc0 .LBB33_121
; %bb.116:
	s_min_u32 s25, s54, 15
	s_add_i32 s25, s25, 1
	s_cmp_eq_u32 s54, 2
	s_cbranch_scc1 .LBB33_122
; %bb.117:
	s_and_b32 s24, s25, 28
	s_add_u32 s20, s34, 0xc4
	s_addc_u32 s21, s35, 0
	v_mov_b32_e32 v18, 0
	s_mov_b32 s26, 0
	s_mov_b64 s[22:23], s[34:35]
	v_mov_b32_e32 v13, 0
	v_mov_b32_e32 v6, v20
.LBB33_118:                             ; =>This Inner Loop Header: Depth=1
	s_load_dwordx8 s[8:15], s[22:23], 0x4
	s_load_dwordx4 s[16:19], s[22:23], 0x24
	s_load_dwordx8 s[0:7], s[20:21], 0x0
	s_add_u32 s22, s22, 48
	s_addc_u32 s23, s23, 0
	s_waitcnt lgkmcnt(0)
	v_mul_hi_u32 v10, s9, v6
	s_add_i32 s26, s26, 4
	s_add_u32 s20, s20, 32
	s_addc_u32 s21, s21, 0
	v_add_u32_e32 v10, v6, v10
	v_lshrrev_b32_e32 v10, s10, v10
	v_mul_lo_u32 v14, v10, s8
	v_mul_hi_u32 v19, s12, v10
	s_cmp_lg_u32 s24, s26
	v_sub_u32_e32 v6, v6, v14
	v_add_u32_e32 v14, v10, v19
	v_mul_lo_u32 v19, v6, s0
	v_mul_lo_u32 v21, v6, s1
	v_lshrrev_b32_e32 v6, s13, v14
	v_mul_lo_u32 v14, v6, s11
	v_mul_hi_u32 v22, s15, v6
	v_sub_u32_e32 v10, v10, v14
	v_add_u32_e32 v14, v6, v22
	v_lshrrev_b32_e32 v14, s16, v14
	v_mul_hi_u32 v23, s18, v14
	v_mul_lo_u32 v24, v14, s14
	v_mul_lo_u32 v22, v10, s2
	;; [unrolled: 1-line block ×3, first 2 shown]
	v_sub_u32_e32 v24, v6, v24
	v_add_u32_e32 v6, v14, v23
	v_lshrrev_b32_e32 v6, s19, v6
	v_mul_lo_u32 v23, v6, s17
	v_mul_lo_u32 v25, v24, s4
	;; [unrolled: 1-line block ×3, first 2 shown]
	v_add3_u32 v13, v19, v13, v22
	v_sub_u32_e32 v14, v14, v23
	v_mul_lo_u32 v23, v14, s6
	v_mul_lo_u32 v14, v14, s7
	v_add3_u32 v10, v21, v18, v10
	v_add3_u32 v13, v25, v13, v23
	;; [unrolled: 1-line block ×3, first 2 shown]
	s_cbranch_scc1 .LBB33_118
; %bb.119:
	s_and_b32 s4, s25, 3
	s_cmp_eq_u32 s4, 0
	s_cbranch_scc0 .LBB33_123
	s_branch .LBB33_125
.LBB33_120:
                                        ; implicit-def: $vgpr13
                                        ; implicit-def: $vgpr18
	s_branch .LBB33_126
.LBB33_121:
	v_mov_b32_e32 v13, 0
	v_mov_b32_e32 v18, 0
	s_branch .LBB33_125
.LBB33_122:
	v_mov_b32_e32 v13, 0
	v_mov_b32_e32 v18, 0
	;; [unrolled: 1-line block ×3, first 2 shown]
	s_and_b32 s4, s25, 3
	s_cmp_eq_u32 s4, 0
	s_cbranch_scc1 .LBB33_125
.LBB33_123:
	s_lshl_b32 s0, s24, 3
	s_add_u32 s0, s34, s0
	s_addc_u32 s1, s35, 0
	s_add_u32 s0, s0, 0xc4
	s_addc_u32 s1, s1, 0
	s_mul_i32 s2, s24, 12
	s_add_u32 s2, s34, s2
	s_addc_u32 s3, s35, 0
.LBB33_124:                             ; =>This Inner Loop Header: Depth=1
	s_load_dwordx2 s[6:7], s[2:3], 0x4
	s_load_dword s5, s[2:3], 0xc
	s_load_dwordx2 s[8:9], s[0:1], 0x0
	s_add_u32 s2, s2, 12
	s_addc_u32 s3, s3, 0
	s_waitcnt lgkmcnt(0)
	v_mul_hi_u32 v10, s7, v6
	s_add_u32 s0, s0, 8
	s_addc_u32 s1, s1, 0
	s_add_i32 s4, s4, -1
	v_add_u32_e32 v10, v6, v10
	v_lshrrev_b32_e32 v10, s5, v10
	v_mul_lo_u32 v14, v10, s6
	s_cmp_lg_u32 s4, 0
	v_sub_u32_e32 v6, v6, v14
	v_mad_u64_u32 v[13:14], s[6:7], v6, s8, v[13:14]
	v_mad_u64_u32 v[18:19], s[6:7], v6, s9, v[18:19]
	v_mov_b32_e32 v6, v10
	s_cbranch_scc1 .LBB33_124
.LBB33_125:
	s_cbranch_execnz .LBB33_128
.LBB33_126:
	s_load_dwordx4 s[0:3], s[34:35], 0x4
	s_load_dwordx2 s[4:5], s[34:35], 0xc4
	s_cmp_lt_u32 s33, 2
	s_waitcnt lgkmcnt(0)
	v_mul_hi_u32 v6, s1, v20
	v_add_u32_e32 v6, v20, v6
	v_lshrrev_b32_e32 v6, s2, v6
	v_mul_lo_u32 v10, v6, s0
	v_sub_u32_e32 v10, v20, v10
	v_mul_lo_u32 v13, v10, s4
	v_mul_lo_u32 v18, v10, s5
	s_cbranch_scc1 .LBB33_128
; %bb.127:
	s_load_dwordx4 s[0:3], s[34:35], 0x10
	s_load_dwordx2 s[4:5], s[34:35], 0xcc
	s_waitcnt lgkmcnt(0)
	v_mul_hi_u32 v10, s1, v6
	v_add_u32_e32 v10, v6, v10
	v_lshrrev_b32_e32 v10, s2, v10
	v_mul_lo_u32 v10, v10, s0
	v_sub_u32_e32 v6, v6, v10
	v_mad_u64_u32 v[13:14], s[0:1], v6, s4, v[13:14]
	v_mad_u64_u32 v[18:19], s[0:1], v6, s5, v[18:19]
.LBB33_128:
	s_load_dwordx4 s[8:11], s[34:35], 0x148
	s_brev_b32 s0, 18
                                        ; implicit-def: $vgpr10
                                        ; implicit-def: $vgpr14
	s_waitcnt lgkmcnt(0)
	global_load_ushort v6, v7, s[10:11]
	s_waitcnt vmcnt(0)
	v_lshlrev_b32_e32 v6, 16, v6
	v_and_b32_e32 v7, 0x7fffffff, v6
	v_cmp_nlt_f32_e64 s[0:1], |v6|, s0
	s_and_saveexec_b64 s[2:3], s[0:1]
	s_xor_b64 s[6:7], exec, s[2:3]
	s_cbranch_execz .LBB33_130
; %bb.129:
	v_and_b32_e32 v10, 0x7fffff, v7
	v_or_b32_e32 v10, 0x800000, v10
	s_mov_b32 s0, 0xfe5163ab
	v_mad_u64_u32 v[19:20], s[0:1], v10, s0, 0
	v_mov_b32_e32 v21, 0
	s_mov_b32 s0, 0x3c439041
	v_mad_u64_u32 v[22:23], s[0:1], v10, s0, v[20:21]
	s_mov_b32 s0, 0xdb629599
	v_lshrrev_b32_e32 v14, 23, v7
	v_mov_b32_e32 v20, v23
	v_mad_u64_u32 v[23:24], s[0:1], v10, s0, v[20:21]
	s_mov_b32 s0, 0xf534ddc0
	v_add_u32_e32 v14, 0xffffff88, v14
	v_mov_b32_e32 v20, v24
	v_mad_u64_u32 v[24:25], s[0:1], v10, s0, v[20:21]
	s_mov_b32 s0, 0xfc2757d1
	v_not_b32_e32 v27, 63
	v_mov_b32_e32 v20, v25
	v_mad_u64_u32 v[25:26], s[0:1], v10, s0, v[20:21]
	v_cmp_lt_u32_e32 vcc, 63, v14
	v_cndmask_b32_e32 v20, 0, v27, vcc
	v_add_u32_e32 v14, v20, v14
	v_mov_b32_e32 v20, v26
	s_mov_b32 s0, 0x4e441529
	v_mad_u64_u32 v[26:27], s[0:1], v10, s0, v[20:21]
	v_not_b32_e32 v28, 31
	v_cmp_lt_u32_e64 s[0:1], 31, v14
	v_cndmask_b32_e64 v20, 0, v28, s[0:1]
	v_add_u32_e32 v14, v20, v14
	v_mov_b32_e32 v20, v27
	s_mov_b32 s2, 0xa2f9836e
	v_mad_u64_u32 v[20:21], s[2:3], v10, s2, v[20:21]
	v_cmp_lt_u32_e64 s[2:3], 31, v14
	v_cndmask_b32_e64 v10, 0, v28, s[2:3]
	v_add_u32_e32 v10, v10, v14
	v_cndmask_b32_e32 v14, v26, v24, vcc
	v_cndmask_b32_e32 v20, v20, v25, vcc
	;; [unrolled: 1-line block ×3, first 2 shown]
	v_cndmask_b32_e64 v27, v20, v14, s[0:1]
	v_cndmask_b32_e64 v20, v21, v20, s[0:1]
	v_cndmask_b32_e32 v21, v25, v23, vcc
	v_cndmask_b32_e64 v14, v14, v21, s[0:1]
	v_cndmask_b32_e64 v20, v20, v27, s[2:3]
	;; [unrolled: 1-line block ×3, first 2 shown]
	v_sub_u32_e32 v26, 32, v10
	v_alignbit_b32 v27, v20, v25, v26
	v_cmp_eq_u32_e64 s[4:5], 0, v10
	v_cndmask_b32_e64 v10, v27, v20, s[4:5]
	v_cndmask_b32_e32 v20, v24, v22, vcc
	v_cndmask_b32_e64 v21, v21, v20, s[0:1]
	v_cndmask_b32_e64 v14, v14, v21, s[2:3]
	v_alignbit_b32 v22, v25, v14, v26
	v_cndmask_b32_e32 v19, v23, v19, vcc
	v_cndmask_b32_e64 v22, v22, v25, s[4:5]
	v_bfe_u32 v27, v10, 29, 1
	v_cndmask_b32_e64 v19, v20, v19, s[0:1]
	v_alignbit_b32 v24, v10, v22, 30
	v_sub_u32_e32 v28, 0, v27
	v_cndmask_b32_e64 v19, v21, v19, s[2:3]
	v_xor_b32_e32 v24, v24, v28
	v_alignbit_b32 v20, v14, v19, v26
	v_cndmask_b32_e64 v14, v20, v14, s[4:5]
	v_ffbh_u32_e32 v21, v24
	v_alignbit_b32 v20, v22, v14, 30
	v_min_u32_e32 v21, 32, v21
	v_alignbit_b32 v14, v14, v19, 30
	v_xor_b32_e32 v20, v20, v28
	v_sub_u32_e32 v22, 31, v21
	v_xor_b32_e32 v14, v14, v28
	v_alignbit_b32 v23, v24, v20, v22
	v_alignbit_b32 v14, v20, v14, v22
	;; [unrolled: 1-line block ×3, first 2 shown]
	v_ffbh_u32_e32 v20, v19
	v_min_u32_e32 v20, 32, v20
	v_lshrrev_b32_e32 v25, 29, v10
	v_not_b32_e32 v22, v20
	v_alignbit_b32 v14, v19, v14, v22
	v_lshlrev_b32_e32 v19, 31, v25
	v_or_b32_e32 v22, 0x33000000, v19
	v_add_lshl_u32 v20, v20, v21, 23
	v_lshrrev_b32_e32 v14, 9, v14
	v_sub_u32_e32 v20, v22, v20
	v_or_b32_e32 v19, 0.5, v19
	v_lshlrev_b32_e32 v21, 23, v21
	v_or_b32_e32 v14, v20, v14
	v_lshrrev_b32_e32 v20, 9, v23
	v_sub_u32_e32 v19, v19, v21
	v_or_b32_e32 v19, v20, v19
	s_mov_b32 s0, 0x3fc90fda
	v_mul_f32_e32 v20, 0x3fc90fda, v19
	v_fma_f32 v21, v19, s0, -v20
	v_fmac_f32_e32 v21, 0x33a22168, v19
	v_fmac_f32_e32 v21, 0x3fc90fda, v14
	v_lshrrev_b32_e32 v10, 30, v10
	v_add_f32_e32 v14, v20, v21
	v_add_u32_e32 v10, v27, v10
.LBB33_130:
	s_andn2_saveexec_b64 s[0:1], s[6:7]
	s_cbranch_execz .LBB33_132
; %bb.131:
	s_mov_b32 s2, 0x3f22f983
	v_mul_f32_e64 v10, |v6|, s2
	v_rndne_f32_e32 v19, v10
	s_mov_b32 s2, 0xbfc90fda
	v_cvt_i32_f32_e32 v10, v19
	v_fma_f32 v14, v19, s2, |v6|
	v_fmac_f32_e32 v14, 0xb3a22168, v19
	v_fmac_f32_e32 v14, 0xa7c234c4, v19
.LBB33_132:
	s_or_b64 exec, exec, s[0:1]
	global_load_ushort v8, v8, s[10:11]
	s_brev_b32 s0, 18
                                        ; implicit-def: $vgpr20
                                        ; implicit-def: $vgpr21
	s_waitcnt vmcnt(0)
	v_lshlrev_b32_e32 v8, 16, v8
	v_and_b32_e32 v19, 0x7fffffff, v8
	v_cmp_nlt_f32_e64 s[0:1], |v8|, s0
	s_and_saveexec_b64 s[2:3], s[0:1]
	s_xor_b64 s[6:7], exec, s[2:3]
	s_cbranch_execz .LBB33_134
; %bb.133:
	v_and_b32_e32 v20, 0x7fffff, v19
	v_or_b32_e32 v29, 0x800000, v20
	s_mov_b32 s0, 0xfe5163ab
	v_mad_u64_u32 v[20:21], s[0:1], v29, s0, 0
	v_mov_b32_e32 v22, 0
	s_mov_b32 s0, 0x3c439041
	v_mad_u64_u32 v[23:24], s[0:1], v29, s0, v[21:22]
	s_mov_b32 s0, 0xdb629599
	v_not_b32_e32 v28, 63
	v_mov_b32_e32 v21, v24
	v_mad_u64_u32 v[24:25], s[0:1], v29, s0, v[21:22]
	s_mov_b32 s0, 0xf534ddc0
	v_not_b32_e32 v31, 31
	v_mov_b32_e32 v21, v25
	v_mad_u64_u32 v[25:26], s[0:1], v29, s0, v[21:22]
	v_lshrrev_b32_e32 v21, 23, v19
	v_add_u32_e32 v30, 0xffffff88, v21
	v_mov_b32_e32 v21, v26
	s_mov_b32 s0, 0xfc2757d1
	v_mad_u64_u32 v[26:27], s[0:1], v29, s0, v[21:22]
	v_cmp_lt_u32_e32 vcc, 63, v30
	v_cndmask_b32_e32 v21, 0, v28, vcc
	v_add_u32_e32 v30, v21, v30
	v_mov_b32_e32 v21, v27
	s_mov_b32 s0, 0x4e441529
	v_mad_u64_u32 v[27:28], s[0:1], v29, s0, v[21:22]
	v_cmp_lt_u32_e64 s[0:1], 31, v30
	v_cndmask_b32_e64 v21, 0, v31, s[0:1]
	v_add_u32_e32 v30, v21, v30
	v_mov_b32_e32 v21, v28
	s_mov_b32 s2, 0xa2f9836e
	v_mad_u64_u32 v[21:22], s[2:3], v29, s2, v[21:22]
	v_cmp_lt_u32_e64 s[2:3], 31, v30
	v_cndmask_b32_e64 v28, 0, v31, s[2:3]
	v_cndmask_b32_e32 v29, v27, v25, vcc
	v_cndmask_b32_e32 v21, v21, v26, vcc
	;; [unrolled: 1-line block ×3, first 2 shown]
	v_add_u32_e32 v28, v28, v30
	v_cndmask_b32_e64 v30, v21, v29, s[0:1]
	v_cndmask_b32_e64 v21, v22, v21, s[0:1]
	v_cndmask_b32_e32 v22, v26, v24, vcc
	v_cndmask_b32_e64 v26, v29, v22, s[0:1]
	v_cndmask_b32_e64 v21, v21, v30, s[2:3]
	;; [unrolled: 1-line block ×3, first 2 shown]
	v_sub_u32_e32 v29, 32, v28
	v_alignbit_b32 v30, v21, v27, v29
	v_cmp_eq_u32_e64 s[4:5], 0, v28
	v_cndmask_b32_e64 v28, v30, v21, s[4:5]
	v_cndmask_b32_e32 v21, v25, v23, vcc
	v_cndmask_b32_e64 v22, v22, v21, s[0:1]
	v_cndmask_b32_e64 v23, v26, v22, s[2:3]
	v_alignbit_b32 v25, v27, v23, v29
	v_cndmask_b32_e32 v20, v24, v20, vcc
	v_cndmask_b32_e64 v25, v25, v27, s[4:5]
	v_bfe_u32 v30, v28, 29, 1
	v_cndmask_b32_e64 v20, v21, v20, s[0:1]
	v_alignbit_b32 v26, v28, v25, 30
	v_sub_u32_e32 v31, 0, v30
	v_cndmask_b32_e64 v20, v22, v20, s[2:3]
	v_xor_b32_e32 v26, v26, v31
	v_alignbit_b32 v21, v23, v20, v29
	v_cndmask_b32_e64 v21, v21, v23, s[4:5]
	v_ffbh_u32_e32 v23, v26
	v_alignbit_b32 v22, v25, v21, 30
	v_min_u32_e32 v23, 32, v23
	v_alignbit_b32 v20, v21, v20, 30
	v_xor_b32_e32 v22, v22, v31
	v_sub_u32_e32 v24, 31, v23
	v_xor_b32_e32 v20, v20, v31
	v_alignbit_b32 v25, v26, v22, v24
	v_alignbit_b32 v20, v22, v20, v24
	;; [unrolled: 1-line block ×3, first 2 shown]
	v_ffbh_u32_e32 v22, v21
	v_min_u32_e32 v22, 32, v22
	v_lshrrev_b32_e32 v27, 29, v28
	v_not_b32_e32 v24, v22
	v_alignbit_b32 v20, v21, v20, v24
	v_lshlrev_b32_e32 v21, 31, v27
	v_or_b32_e32 v24, 0x33000000, v21
	v_add_lshl_u32 v22, v22, v23, 23
	v_lshrrev_b32_e32 v20, 9, v20
	v_sub_u32_e32 v22, v24, v22
	v_or_b32_e32 v21, 0.5, v21
	v_lshlrev_b32_e32 v23, 23, v23
	v_or_b32_e32 v20, v22, v20
	v_lshrrev_b32_e32 v22, 9, v25
	v_sub_u32_e32 v21, v21, v23
	v_or_b32_e32 v21, v22, v21
	s_mov_b32 s0, 0x3fc90fda
	v_mul_f32_e32 v22, 0x3fc90fda, v21
	v_fma_f32 v23, v21, s0, -v22
	v_fmac_f32_e32 v23, 0x33a22168, v21
	v_fmac_f32_e32 v23, 0x3fc90fda, v20
	v_lshrrev_b32_e32 v20, 30, v28
	v_add_f32_e32 v21, v22, v23
	v_add_u32_e32 v20, v30, v20
.LBB33_134:
	s_andn2_saveexec_b64 s[0:1], s[6:7]
	s_cbranch_execz .LBB33_136
; %bb.135:
	s_mov_b32 s2, 0x3f22f983
	v_mul_f32_e64 v20, |v8|, s2
	v_rndne_f32_e32 v22, v20
	s_mov_b32 s2, 0xbfc90fda
	v_cvt_i32_f32_e32 v20, v22
	v_fma_f32 v21, v22, s2, |v8|
	v_fmac_f32_e32 v21, 0xb3a22168, v22
	v_fmac_f32_e32 v21, 0xa7c234c4, v22
.LBB33_136:
	s_or_b64 exec, exec, s[0:1]
	global_load_ushort v11, v11, s[10:11]
	s_brev_b32 s0, 18
                                        ; implicit-def: $vgpr23
                                        ; implicit-def: $vgpr24
	s_waitcnt vmcnt(0)
	v_lshlrev_b32_e32 v11, 16, v11
	v_and_b32_e32 v22, 0x7fffffff, v11
	v_cmp_nlt_f32_e64 s[0:1], |v11|, s0
	s_and_saveexec_b64 s[2:3], s[0:1]
	s_xor_b64 s[6:7], exec, s[2:3]
	s_cbranch_execz .LBB33_138
; %bb.137:
	v_and_b32_e32 v23, 0x7fffff, v22
	v_or_b32_e32 v32, 0x800000, v23
	s_mov_b32 s0, 0xfe5163ab
	v_mad_u64_u32 v[23:24], s[0:1], v32, s0, 0
	v_mov_b32_e32 v25, 0
	s_mov_b32 s0, 0x3c439041
	v_mad_u64_u32 v[26:27], s[0:1], v32, s0, v[24:25]
	s_mov_b32 s0, 0xdb629599
	v_not_b32_e32 v31, 63
	v_mov_b32_e32 v24, v27
	v_mad_u64_u32 v[27:28], s[0:1], v32, s0, v[24:25]
	s_mov_b32 s0, 0xf534ddc0
	v_not_b32_e32 v34, 31
	v_mov_b32_e32 v24, v28
	v_mad_u64_u32 v[28:29], s[0:1], v32, s0, v[24:25]
	v_lshrrev_b32_e32 v24, 23, v22
	v_add_u32_e32 v33, 0xffffff88, v24
	v_mov_b32_e32 v24, v29
	s_mov_b32 s0, 0xfc2757d1
	v_mad_u64_u32 v[29:30], s[0:1], v32, s0, v[24:25]
	v_cmp_lt_u32_e32 vcc, 63, v33
	v_cndmask_b32_e32 v24, 0, v31, vcc
	v_add_u32_e32 v33, v24, v33
	v_mov_b32_e32 v24, v30
	s_mov_b32 s0, 0x4e441529
	v_mad_u64_u32 v[30:31], s[0:1], v32, s0, v[24:25]
	v_cmp_lt_u32_e64 s[0:1], 31, v33
	v_cndmask_b32_e64 v24, 0, v34, s[0:1]
	v_add_u32_e32 v33, v24, v33
	v_mov_b32_e32 v24, v31
	s_mov_b32 s2, 0xa2f9836e
	v_mad_u64_u32 v[24:25], s[2:3], v32, s2, v[24:25]
	v_cmp_lt_u32_e64 s[2:3], 31, v33
	v_cndmask_b32_e64 v31, 0, v34, s[2:3]
	v_cndmask_b32_e32 v32, v30, v28, vcc
	v_cndmask_b32_e32 v24, v24, v29, vcc
	;; [unrolled: 1-line block ×3, first 2 shown]
	v_add_u32_e32 v31, v31, v33
	v_cndmask_b32_e64 v33, v24, v32, s[0:1]
	v_cndmask_b32_e64 v24, v25, v24, s[0:1]
	v_cndmask_b32_e32 v25, v29, v27, vcc
	v_cndmask_b32_e64 v29, v32, v25, s[0:1]
	v_cndmask_b32_e64 v24, v24, v33, s[2:3]
	;; [unrolled: 1-line block ×3, first 2 shown]
	v_sub_u32_e32 v32, 32, v31
	v_alignbit_b32 v33, v24, v30, v32
	v_cmp_eq_u32_e64 s[4:5], 0, v31
	v_cndmask_b32_e64 v31, v33, v24, s[4:5]
	v_cndmask_b32_e32 v24, v28, v26, vcc
	v_cndmask_b32_e64 v25, v25, v24, s[0:1]
	v_cndmask_b32_e64 v26, v29, v25, s[2:3]
	v_alignbit_b32 v28, v30, v26, v32
	v_cndmask_b32_e32 v23, v27, v23, vcc
	v_cndmask_b32_e64 v28, v28, v30, s[4:5]
	v_bfe_u32 v33, v31, 29, 1
	v_cndmask_b32_e64 v23, v24, v23, s[0:1]
	v_alignbit_b32 v29, v31, v28, 30
	v_sub_u32_e32 v34, 0, v33
	v_cndmask_b32_e64 v23, v25, v23, s[2:3]
	v_xor_b32_e32 v29, v29, v34
	v_alignbit_b32 v24, v26, v23, v32
	v_cndmask_b32_e64 v24, v24, v26, s[4:5]
	v_ffbh_u32_e32 v26, v29
	v_alignbit_b32 v25, v28, v24, 30
	v_min_u32_e32 v26, 32, v26
	v_alignbit_b32 v23, v24, v23, 30
	v_xor_b32_e32 v25, v25, v34
	v_sub_u32_e32 v27, 31, v26
	v_xor_b32_e32 v23, v23, v34
	v_alignbit_b32 v28, v29, v25, v27
	v_alignbit_b32 v23, v25, v23, v27
	;; [unrolled: 1-line block ×3, first 2 shown]
	v_ffbh_u32_e32 v25, v24
	v_min_u32_e32 v25, 32, v25
	v_lshrrev_b32_e32 v30, 29, v31
	v_not_b32_e32 v27, v25
	v_alignbit_b32 v23, v24, v23, v27
	v_lshlrev_b32_e32 v24, 31, v30
	v_or_b32_e32 v27, 0x33000000, v24
	v_add_lshl_u32 v25, v25, v26, 23
	v_lshrrev_b32_e32 v23, 9, v23
	v_sub_u32_e32 v25, v27, v25
	v_or_b32_e32 v24, 0.5, v24
	v_lshlrev_b32_e32 v26, 23, v26
	v_or_b32_e32 v23, v25, v23
	v_lshrrev_b32_e32 v25, 9, v28
	v_sub_u32_e32 v24, v24, v26
	v_or_b32_e32 v24, v25, v24
	s_mov_b32 s0, 0x3fc90fda
	v_mul_f32_e32 v25, 0x3fc90fda, v24
	v_fma_f32 v26, v24, s0, -v25
	v_fmac_f32_e32 v26, 0x33a22168, v24
	v_fmac_f32_e32 v26, 0x3fc90fda, v23
	v_lshrrev_b32_e32 v23, 30, v31
	v_add_f32_e32 v24, v25, v26
	v_add_u32_e32 v23, v33, v23
.LBB33_138:
	s_andn2_saveexec_b64 s[0:1], s[6:7]
	s_cbranch_execz .LBB33_140
; %bb.139:
	s_mov_b32 s2, 0x3f22f983
	v_mul_f32_e64 v23, |v11|, s2
	v_rndne_f32_e32 v25, v23
	s_mov_b32 s2, 0xbfc90fda
	v_cvt_i32_f32_e32 v23, v25
	v_fma_f32 v24, v25, s2, |v11|
	v_fmac_f32_e32 v24, 0xb3a22168, v25
	v_fmac_f32_e32 v24, 0xa7c234c4, v25
.LBB33_140:
	s_or_b64 exec, exec, s[0:1]
	global_load_ushort v12, v12, s[10:11]
	s_brev_b32 s0, 18
                                        ; implicit-def: $vgpr26
                                        ; implicit-def: $vgpr27
	s_waitcnt vmcnt(0)
	v_lshlrev_b32_e32 v12, 16, v12
	v_and_b32_e32 v25, 0x7fffffff, v12
	v_cmp_nlt_f32_e64 s[0:1], |v12|, s0
	s_and_saveexec_b64 s[2:3], s[0:1]
	s_xor_b64 s[6:7], exec, s[2:3]
	s_cbranch_execz .LBB33_142
; %bb.141:
	v_and_b32_e32 v26, 0x7fffff, v25
	v_or_b32_e32 v35, 0x800000, v26
	s_mov_b32 s0, 0xfe5163ab
	v_mad_u64_u32 v[26:27], s[0:1], v35, s0, 0
	v_mov_b32_e32 v28, 0
	s_mov_b32 s0, 0x3c439041
	v_mad_u64_u32 v[29:30], s[0:1], v35, s0, v[27:28]
	s_mov_b32 s0, 0xdb629599
	v_not_b32_e32 v34, 63
	v_mov_b32_e32 v27, v30
	v_mad_u64_u32 v[30:31], s[0:1], v35, s0, v[27:28]
	s_mov_b32 s0, 0xf534ddc0
	v_not_b32_e32 v37, 31
	v_mov_b32_e32 v27, v31
	v_mad_u64_u32 v[31:32], s[0:1], v35, s0, v[27:28]
	v_lshrrev_b32_e32 v27, 23, v25
	v_add_u32_e32 v36, 0xffffff88, v27
	v_mov_b32_e32 v27, v32
	s_mov_b32 s0, 0xfc2757d1
	v_mad_u64_u32 v[32:33], s[0:1], v35, s0, v[27:28]
	v_cmp_lt_u32_e32 vcc, 63, v36
	v_cndmask_b32_e32 v27, 0, v34, vcc
	v_add_u32_e32 v36, v27, v36
	v_mov_b32_e32 v27, v33
	s_mov_b32 s0, 0x4e441529
	v_mad_u64_u32 v[33:34], s[0:1], v35, s0, v[27:28]
	v_cmp_lt_u32_e64 s[0:1], 31, v36
	v_cndmask_b32_e64 v27, 0, v37, s[0:1]
	v_add_u32_e32 v36, v27, v36
	v_mov_b32_e32 v27, v34
	s_mov_b32 s2, 0xa2f9836e
	v_mad_u64_u32 v[27:28], s[2:3], v35, s2, v[27:28]
	v_cmp_lt_u32_e64 s[2:3], 31, v36
	v_cndmask_b32_e64 v34, 0, v37, s[2:3]
	v_cndmask_b32_e32 v35, v33, v31, vcc
	v_cndmask_b32_e32 v27, v27, v32, vcc
	;; [unrolled: 1-line block ×3, first 2 shown]
	v_add_u32_e32 v34, v34, v36
	v_cndmask_b32_e64 v36, v27, v35, s[0:1]
	v_cndmask_b32_e64 v27, v28, v27, s[0:1]
	v_cndmask_b32_e32 v28, v32, v30, vcc
	v_cndmask_b32_e64 v32, v35, v28, s[0:1]
	v_cndmask_b32_e64 v27, v27, v36, s[2:3]
	;; [unrolled: 1-line block ×3, first 2 shown]
	v_sub_u32_e32 v35, 32, v34
	v_alignbit_b32 v36, v27, v33, v35
	v_cmp_eq_u32_e64 s[4:5], 0, v34
	v_cndmask_b32_e64 v34, v36, v27, s[4:5]
	v_cndmask_b32_e32 v27, v31, v29, vcc
	v_cndmask_b32_e64 v28, v28, v27, s[0:1]
	v_cndmask_b32_e64 v29, v32, v28, s[2:3]
	v_alignbit_b32 v31, v33, v29, v35
	v_cndmask_b32_e32 v26, v30, v26, vcc
	v_cndmask_b32_e64 v31, v31, v33, s[4:5]
	v_bfe_u32 v36, v34, 29, 1
	v_cndmask_b32_e64 v26, v27, v26, s[0:1]
	v_alignbit_b32 v32, v34, v31, 30
	v_sub_u32_e32 v37, 0, v36
	v_cndmask_b32_e64 v26, v28, v26, s[2:3]
	v_xor_b32_e32 v32, v32, v37
	v_alignbit_b32 v27, v29, v26, v35
	v_cndmask_b32_e64 v27, v27, v29, s[4:5]
	v_ffbh_u32_e32 v29, v32
	v_alignbit_b32 v28, v31, v27, 30
	v_min_u32_e32 v29, 32, v29
	v_alignbit_b32 v26, v27, v26, 30
	v_xor_b32_e32 v28, v28, v37
	v_sub_u32_e32 v30, 31, v29
	v_xor_b32_e32 v26, v26, v37
	v_alignbit_b32 v31, v32, v28, v30
	v_alignbit_b32 v26, v28, v26, v30
	;; [unrolled: 1-line block ×3, first 2 shown]
	v_ffbh_u32_e32 v28, v27
	v_min_u32_e32 v28, 32, v28
	v_lshrrev_b32_e32 v33, 29, v34
	v_not_b32_e32 v30, v28
	v_alignbit_b32 v26, v27, v26, v30
	v_lshlrev_b32_e32 v27, 31, v33
	v_or_b32_e32 v30, 0x33000000, v27
	v_add_lshl_u32 v28, v28, v29, 23
	v_lshrrev_b32_e32 v26, 9, v26
	v_sub_u32_e32 v28, v30, v28
	v_or_b32_e32 v27, 0.5, v27
	v_lshlrev_b32_e32 v29, 23, v29
	v_or_b32_e32 v26, v28, v26
	v_lshrrev_b32_e32 v28, 9, v31
	v_sub_u32_e32 v27, v27, v29
	v_or_b32_e32 v27, v28, v27
	s_mov_b32 s0, 0x3fc90fda
	v_mul_f32_e32 v28, 0x3fc90fda, v27
	v_fma_f32 v29, v27, s0, -v28
	v_fmac_f32_e32 v29, 0x33a22168, v27
	v_fmac_f32_e32 v29, 0x3fc90fda, v26
	v_lshrrev_b32_e32 v26, 30, v34
	v_add_f32_e32 v27, v28, v29
	v_add_u32_e32 v26, v36, v26
.LBB33_142:
	s_andn2_saveexec_b64 s[0:1], s[6:7]
	s_cbranch_execz .LBB33_144
; %bb.143:
	s_mov_b32 s2, 0x3f22f983
	v_mul_f32_e64 v26, |v12|, s2
	v_rndne_f32_e32 v28, v26
	s_mov_b32 s2, 0xbfc90fda
	v_cvt_i32_f32_e32 v26, v28
	v_fma_f32 v27, v28, s2, |v12|
	v_fmac_f32_e32 v27, 0xb3a22168, v28
	v_fmac_f32_e32 v27, 0xa7c234c4, v28
.LBB33_144:
	s_or_b64 exec, exec, s[0:1]
	global_load_ushort v15, v15, s[10:11]
	s_brev_b32 s0, 18
                                        ; implicit-def: $vgpr29
                                        ; implicit-def: $vgpr30
	s_waitcnt vmcnt(0)
	v_lshlrev_b32_e32 v15, 16, v15
	v_and_b32_e32 v28, 0x7fffffff, v15
	v_cmp_nlt_f32_e64 s[0:1], |v15|, s0
	s_and_saveexec_b64 s[2:3], s[0:1]
	s_xor_b64 s[6:7], exec, s[2:3]
	s_cbranch_execz .LBB33_146
; %bb.145:
	v_and_b32_e32 v29, 0x7fffff, v28
	v_or_b32_e32 v38, 0x800000, v29
	s_mov_b32 s0, 0xfe5163ab
	v_mad_u64_u32 v[29:30], s[0:1], v38, s0, 0
	v_mov_b32_e32 v31, 0
	s_mov_b32 s0, 0x3c439041
	v_mad_u64_u32 v[32:33], s[0:1], v38, s0, v[30:31]
	s_mov_b32 s0, 0xdb629599
	v_not_b32_e32 v37, 63
	v_mov_b32_e32 v30, v33
	v_mad_u64_u32 v[33:34], s[0:1], v38, s0, v[30:31]
	s_mov_b32 s0, 0xf534ddc0
	v_not_b32_e32 v40, 31
	v_mov_b32_e32 v30, v34
	v_mad_u64_u32 v[34:35], s[0:1], v38, s0, v[30:31]
	v_lshrrev_b32_e32 v30, 23, v28
	v_add_u32_e32 v39, 0xffffff88, v30
	v_mov_b32_e32 v30, v35
	s_mov_b32 s0, 0xfc2757d1
	v_mad_u64_u32 v[35:36], s[0:1], v38, s0, v[30:31]
	v_cmp_lt_u32_e32 vcc, 63, v39
	v_cndmask_b32_e32 v30, 0, v37, vcc
	v_add_u32_e32 v39, v30, v39
	v_mov_b32_e32 v30, v36
	s_mov_b32 s0, 0x4e441529
	v_mad_u64_u32 v[36:37], s[0:1], v38, s0, v[30:31]
	v_cmp_lt_u32_e64 s[0:1], 31, v39
	v_cndmask_b32_e64 v30, 0, v40, s[0:1]
	v_add_u32_e32 v39, v30, v39
	v_mov_b32_e32 v30, v37
	s_mov_b32 s2, 0xa2f9836e
	v_mad_u64_u32 v[30:31], s[2:3], v38, s2, v[30:31]
	v_cmp_lt_u32_e64 s[2:3], 31, v39
	v_cndmask_b32_e64 v37, 0, v40, s[2:3]
	v_cndmask_b32_e32 v38, v36, v34, vcc
	v_cndmask_b32_e32 v30, v30, v35, vcc
	;; [unrolled: 1-line block ×3, first 2 shown]
	v_add_u32_e32 v37, v37, v39
	v_cndmask_b32_e64 v39, v30, v38, s[0:1]
	v_cndmask_b32_e64 v30, v31, v30, s[0:1]
	v_cndmask_b32_e32 v31, v35, v33, vcc
	v_cndmask_b32_e64 v35, v38, v31, s[0:1]
	v_cndmask_b32_e64 v30, v30, v39, s[2:3]
	;; [unrolled: 1-line block ×3, first 2 shown]
	v_sub_u32_e32 v38, 32, v37
	v_alignbit_b32 v39, v30, v36, v38
	v_cmp_eq_u32_e64 s[4:5], 0, v37
	v_cndmask_b32_e64 v37, v39, v30, s[4:5]
	v_cndmask_b32_e32 v30, v34, v32, vcc
	v_cndmask_b32_e64 v31, v31, v30, s[0:1]
	v_cndmask_b32_e64 v32, v35, v31, s[2:3]
	v_alignbit_b32 v34, v36, v32, v38
	v_cndmask_b32_e32 v29, v33, v29, vcc
	v_cndmask_b32_e64 v34, v34, v36, s[4:5]
	v_bfe_u32 v39, v37, 29, 1
	v_cndmask_b32_e64 v29, v30, v29, s[0:1]
	v_alignbit_b32 v35, v37, v34, 30
	v_sub_u32_e32 v40, 0, v39
	v_cndmask_b32_e64 v29, v31, v29, s[2:3]
	v_xor_b32_e32 v35, v35, v40
	v_alignbit_b32 v30, v32, v29, v38
	v_cndmask_b32_e64 v30, v30, v32, s[4:5]
	v_ffbh_u32_e32 v32, v35
	v_alignbit_b32 v31, v34, v30, 30
	v_min_u32_e32 v32, 32, v32
	v_alignbit_b32 v29, v30, v29, 30
	v_xor_b32_e32 v31, v31, v40
	v_sub_u32_e32 v33, 31, v32
	v_xor_b32_e32 v29, v29, v40
	v_alignbit_b32 v34, v35, v31, v33
	v_alignbit_b32 v29, v31, v29, v33
	;; [unrolled: 1-line block ×3, first 2 shown]
	v_ffbh_u32_e32 v31, v30
	v_min_u32_e32 v31, 32, v31
	v_lshrrev_b32_e32 v36, 29, v37
	v_not_b32_e32 v33, v31
	v_alignbit_b32 v29, v30, v29, v33
	v_lshlrev_b32_e32 v30, 31, v36
	v_or_b32_e32 v33, 0x33000000, v30
	v_add_lshl_u32 v31, v31, v32, 23
	v_lshrrev_b32_e32 v29, 9, v29
	v_sub_u32_e32 v31, v33, v31
	v_or_b32_e32 v30, 0.5, v30
	v_lshlrev_b32_e32 v32, 23, v32
	v_or_b32_e32 v29, v31, v29
	v_lshrrev_b32_e32 v31, 9, v34
	v_sub_u32_e32 v30, v30, v32
	v_or_b32_e32 v30, v31, v30
	s_mov_b32 s0, 0x3fc90fda
	v_mul_f32_e32 v31, 0x3fc90fda, v30
	v_fma_f32 v32, v30, s0, -v31
	v_fmac_f32_e32 v32, 0x33a22168, v30
	v_fmac_f32_e32 v32, 0x3fc90fda, v29
	v_lshrrev_b32_e32 v29, 30, v37
	v_add_f32_e32 v30, v31, v32
	v_add_u32_e32 v29, v39, v29
.LBB33_146:
	s_andn2_saveexec_b64 s[0:1], s[6:7]
	s_cbranch_execz .LBB33_148
; %bb.147:
	s_mov_b32 s2, 0x3f22f983
	v_mul_f32_e64 v29, |v15|, s2
	v_rndne_f32_e32 v31, v29
	s_mov_b32 s2, 0xbfc90fda
	v_cvt_i32_f32_e32 v29, v31
	v_fma_f32 v30, v31, s2, |v15|
	v_fmac_f32_e32 v30, 0xb3a22168, v31
	v_fmac_f32_e32 v30, 0xa7c234c4, v31
.LBB33_148:
	s_or_b64 exec, exec, s[0:1]
	global_load_ushort v16, v16, s[10:11]
	s_brev_b32 s0, 18
                                        ; implicit-def: $vgpr32
                                        ; implicit-def: $vgpr33
	s_waitcnt vmcnt(0)
	v_lshlrev_b32_e32 v16, 16, v16
	v_and_b32_e32 v31, 0x7fffffff, v16
	v_cmp_nlt_f32_e64 s[0:1], |v16|, s0
	s_and_saveexec_b64 s[2:3], s[0:1]
	s_xor_b64 s[6:7], exec, s[2:3]
	s_cbranch_execz .LBB33_150
; %bb.149:
	v_and_b32_e32 v32, 0x7fffff, v31
	v_or_b32_e32 v41, 0x800000, v32
	s_mov_b32 s0, 0xfe5163ab
	v_mad_u64_u32 v[32:33], s[0:1], v41, s0, 0
	v_mov_b32_e32 v34, 0
	s_mov_b32 s0, 0x3c439041
	v_mad_u64_u32 v[35:36], s[0:1], v41, s0, v[33:34]
	s_mov_b32 s0, 0xdb629599
	v_not_b32_e32 v40, 63
	v_mov_b32_e32 v33, v36
	v_mad_u64_u32 v[36:37], s[0:1], v41, s0, v[33:34]
	s_mov_b32 s0, 0xf534ddc0
	v_not_b32_e32 v43, 31
	v_mov_b32_e32 v33, v37
	v_mad_u64_u32 v[37:38], s[0:1], v41, s0, v[33:34]
	v_lshrrev_b32_e32 v33, 23, v31
	v_add_u32_e32 v42, 0xffffff88, v33
	v_mov_b32_e32 v33, v38
	s_mov_b32 s0, 0xfc2757d1
	v_mad_u64_u32 v[38:39], s[0:1], v41, s0, v[33:34]
	v_cmp_lt_u32_e32 vcc, 63, v42
	v_cndmask_b32_e32 v33, 0, v40, vcc
	v_add_u32_e32 v42, v33, v42
	v_mov_b32_e32 v33, v39
	s_mov_b32 s0, 0x4e441529
	v_mad_u64_u32 v[39:40], s[0:1], v41, s0, v[33:34]
	v_cmp_lt_u32_e64 s[0:1], 31, v42
	v_cndmask_b32_e64 v33, 0, v43, s[0:1]
	v_add_u32_e32 v42, v33, v42
	v_mov_b32_e32 v33, v40
	s_mov_b32 s2, 0xa2f9836e
	v_mad_u64_u32 v[33:34], s[2:3], v41, s2, v[33:34]
	v_cmp_lt_u32_e64 s[2:3], 31, v42
	v_cndmask_b32_e64 v40, 0, v43, s[2:3]
	v_cndmask_b32_e32 v41, v39, v37, vcc
	v_cndmask_b32_e32 v33, v33, v38, vcc
	;; [unrolled: 1-line block ×3, first 2 shown]
	v_add_u32_e32 v40, v40, v42
	v_cndmask_b32_e64 v42, v33, v41, s[0:1]
	v_cndmask_b32_e64 v33, v34, v33, s[0:1]
	v_cndmask_b32_e32 v34, v38, v36, vcc
	v_cndmask_b32_e64 v38, v41, v34, s[0:1]
	v_cndmask_b32_e64 v33, v33, v42, s[2:3]
	;; [unrolled: 1-line block ×3, first 2 shown]
	v_sub_u32_e32 v41, 32, v40
	v_alignbit_b32 v42, v33, v39, v41
	v_cmp_eq_u32_e64 s[4:5], 0, v40
	v_cndmask_b32_e64 v40, v42, v33, s[4:5]
	v_cndmask_b32_e32 v33, v37, v35, vcc
	v_cndmask_b32_e64 v34, v34, v33, s[0:1]
	v_cndmask_b32_e64 v35, v38, v34, s[2:3]
	v_alignbit_b32 v37, v39, v35, v41
	v_cndmask_b32_e32 v32, v36, v32, vcc
	v_cndmask_b32_e64 v37, v37, v39, s[4:5]
	v_bfe_u32 v42, v40, 29, 1
	v_cndmask_b32_e64 v32, v33, v32, s[0:1]
	v_alignbit_b32 v38, v40, v37, 30
	v_sub_u32_e32 v43, 0, v42
	v_cndmask_b32_e64 v32, v34, v32, s[2:3]
	v_xor_b32_e32 v38, v38, v43
	v_alignbit_b32 v33, v35, v32, v41
	v_cndmask_b32_e64 v33, v33, v35, s[4:5]
	v_ffbh_u32_e32 v35, v38
	v_alignbit_b32 v34, v37, v33, 30
	v_min_u32_e32 v35, 32, v35
	v_alignbit_b32 v32, v33, v32, 30
	v_xor_b32_e32 v34, v34, v43
	v_sub_u32_e32 v36, 31, v35
	v_xor_b32_e32 v32, v32, v43
	v_alignbit_b32 v37, v38, v34, v36
	v_alignbit_b32 v32, v34, v32, v36
	;; [unrolled: 1-line block ×3, first 2 shown]
	v_ffbh_u32_e32 v34, v33
	v_min_u32_e32 v34, 32, v34
	v_lshrrev_b32_e32 v39, 29, v40
	v_not_b32_e32 v36, v34
	v_alignbit_b32 v32, v33, v32, v36
	v_lshlrev_b32_e32 v33, 31, v39
	v_or_b32_e32 v36, 0x33000000, v33
	v_add_lshl_u32 v34, v34, v35, 23
	v_lshrrev_b32_e32 v32, 9, v32
	v_sub_u32_e32 v34, v36, v34
	v_or_b32_e32 v33, 0.5, v33
	v_lshlrev_b32_e32 v35, 23, v35
	v_or_b32_e32 v32, v34, v32
	v_lshrrev_b32_e32 v34, 9, v37
	v_sub_u32_e32 v33, v33, v35
	v_or_b32_e32 v33, v34, v33
	s_mov_b32 s0, 0x3fc90fda
	v_mul_f32_e32 v34, 0x3fc90fda, v33
	v_fma_f32 v35, v33, s0, -v34
	v_fmac_f32_e32 v35, 0x33a22168, v33
	v_fmac_f32_e32 v35, 0x3fc90fda, v32
	v_lshrrev_b32_e32 v32, 30, v40
	v_add_f32_e32 v33, v34, v35
	v_add_u32_e32 v32, v42, v32
.LBB33_150:
	s_andn2_saveexec_b64 s[0:1], s[6:7]
	s_cbranch_execz .LBB33_152
; %bb.151:
	s_mov_b32 s2, 0x3f22f983
	v_mul_f32_e64 v32, |v16|, s2
	v_rndne_f32_e32 v34, v32
	s_mov_b32 s2, 0xbfc90fda
	v_cvt_i32_f32_e32 v32, v34
	v_fma_f32 v33, v34, s2, |v16|
	v_fmac_f32_e32 v33, 0xb3a22168, v34
	v_fmac_f32_e32 v33, 0xa7c234c4, v34
.LBB33_152:
	s_or_b64 exec, exec, s[0:1]
	global_load_ushort v17, v17, s[10:11]
	s_brev_b32 s0, 18
                                        ; implicit-def: $vgpr38
                                        ; implicit-def: $vgpr39
	s_waitcnt vmcnt(0)
	v_lshlrev_b32_e32 v34, 16, v17
	v_and_b32_e32 v35, 0x7fffffff, v34
	v_cmp_nlt_f32_e64 s[0:1], |v34|, s0
	s_and_saveexec_b64 s[2:3], s[0:1]
	s_xor_b64 s[6:7], exec, s[2:3]
	s_cbranch_execz .LBB33_154
; %bb.153:
	v_and_b32_e32 v17, 0x7fffff, v35
	v_or_b32_e32 v17, 0x800000, v17
	s_mov_b32 s0, 0xfe5163ab
	v_mad_u64_u32 v[36:37], s[0:1], v17, s0, 0
	v_mov_b32_e32 v38, 0
	s_mov_b32 s0, 0x3c439041
	v_mad_u64_u32 v[39:40], s[0:1], v17, s0, v[37:38]
	s_mov_b32 s0, 0xdb629599
	v_not_b32_e32 v44, 63
	v_mov_b32_e32 v37, v40
	v_mad_u64_u32 v[40:41], s[0:1], v17, s0, v[37:38]
	s_mov_b32 s0, 0xf534ddc0
	v_not_b32_e32 v46, 31
	v_mov_b32_e32 v37, v41
	v_mad_u64_u32 v[41:42], s[0:1], v17, s0, v[37:38]
	v_lshrrev_b32_e32 v37, 23, v35
	v_add_u32_e32 v45, 0xffffff88, v37
	v_mov_b32_e32 v37, v42
	s_mov_b32 s0, 0xfc2757d1
	v_mad_u64_u32 v[42:43], s[0:1], v17, s0, v[37:38]
	v_cmp_lt_u32_e32 vcc, 63, v45
	v_cndmask_b32_e32 v37, 0, v44, vcc
	v_add_u32_e32 v45, v37, v45
	v_mov_b32_e32 v37, v43
	s_mov_b32 s0, 0x4e441529
	v_mad_u64_u32 v[43:44], s[0:1], v17, s0, v[37:38]
	v_cmp_lt_u32_e64 s[0:1], 31, v45
	v_cndmask_b32_e64 v37, 0, v46, s[0:1]
	v_add_u32_e32 v45, v37, v45
	v_mov_b32_e32 v37, v44
	s_mov_b32 s2, 0xa2f9836e
	v_mad_u64_u32 v[37:38], s[2:3], v17, s2, v[37:38]
	v_cmp_lt_u32_e64 s[2:3], 31, v45
	v_cndmask_b32_e64 v17, 0, v46, s[2:3]
	v_cndmask_b32_e32 v44, v43, v41, vcc
	v_cndmask_b32_e32 v37, v37, v42, vcc
	;; [unrolled: 1-line block ×3, first 2 shown]
	v_add_u32_e32 v17, v17, v45
	v_cndmask_b32_e64 v45, v37, v44, s[0:1]
	v_cndmask_b32_e64 v37, v38, v37, s[0:1]
	v_cndmask_b32_e32 v38, v42, v40, vcc
	v_cndmask_b32_e64 v42, v44, v38, s[0:1]
	v_cndmask_b32_e64 v37, v37, v45, s[2:3]
	;; [unrolled: 1-line block ×3, first 2 shown]
	v_sub_u32_e32 v44, 32, v17
	v_alignbit_b32 v45, v37, v43, v44
	v_cmp_eq_u32_e64 s[4:5], 0, v17
	v_cndmask_b32_e64 v17, v45, v37, s[4:5]
	v_cndmask_b32_e32 v37, v41, v39, vcc
	v_cndmask_b32_e64 v38, v38, v37, s[0:1]
	v_cndmask_b32_e64 v39, v42, v38, s[2:3]
	v_alignbit_b32 v41, v43, v39, v44
	v_cndmask_b32_e32 v36, v40, v36, vcc
	v_cndmask_b32_e64 v41, v41, v43, s[4:5]
	v_bfe_u32 v45, v17, 29, 1
	v_cndmask_b32_e64 v36, v37, v36, s[0:1]
	v_alignbit_b32 v42, v17, v41, 30
	v_sub_u32_e32 v46, 0, v45
	v_cndmask_b32_e64 v36, v38, v36, s[2:3]
	v_xor_b32_e32 v42, v42, v46
	v_alignbit_b32 v37, v39, v36, v44
	v_cndmask_b32_e64 v37, v37, v39, s[4:5]
	v_ffbh_u32_e32 v39, v42
	v_alignbit_b32 v38, v41, v37, 30
	v_min_u32_e32 v39, 32, v39
	v_alignbit_b32 v36, v37, v36, 30
	v_xor_b32_e32 v38, v38, v46
	v_sub_u32_e32 v40, 31, v39
	v_xor_b32_e32 v36, v36, v46
	v_alignbit_b32 v41, v42, v38, v40
	v_alignbit_b32 v36, v38, v36, v40
	;; [unrolled: 1-line block ×3, first 2 shown]
	v_ffbh_u32_e32 v38, v37
	v_min_u32_e32 v38, 32, v38
	v_lshrrev_b32_e32 v43, 29, v17
	v_not_b32_e32 v40, v38
	v_alignbit_b32 v36, v37, v36, v40
	v_lshlrev_b32_e32 v37, 31, v43
	v_or_b32_e32 v40, 0x33000000, v37
	v_add_lshl_u32 v38, v38, v39, 23
	v_lshrrev_b32_e32 v36, 9, v36
	v_sub_u32_e32 v38, v40, v38
	v_or_b32_e32 v37, 0.5, v37
	v_lshlrev_b32_e32 v39, 23, v39
	v_or_b32_e32 v36, v38, v36
	v_lshrrev_b32_e32 v38, 9, v41
	v_sub_u32_e32 v37, v37, v39
	v_or_b32_e32 v37, v38, v37
	s_mov_b32 s0, 0x3fc90fda
	v_mul_f32_e32 v38, 0x3fc90fda, v37
	v_fma_f32 v39, v37, s0, -v38
	v_fmac_f32_e32 v39, 0x33a22168, v37
	v_fmac_f32_e32 v39, 0x3fc90fda, v36
	v_lshrrev_b32_e32 v17, 30, v17
	v_add_f32_e32 v39, v38, v39
	v_add_u32_e32 v38, v45, v17
.LBB33_154:
	s_andn2_saveexec_b64 s[0:1], s[6:7]
	s_cbranch_execz .LBB33_156
; %bb.155:
	s_mov_b32 s2, 0x3f22f983
	v_mul_f32_e64 v17, |v34|, s2
	v_rndne_f32_e32 v17, v17
	s_mov_b32 s2, 0xbfc90fda
	v_cvt_i32_f32_e32 v38, v17
	v_fma_f32 v39, v17, s2, |v34|
	v_fmac_f32_e32 v39, 0xb3a22168, v17
	v_fmac_f32_e32 v39, 0xa7c234c4, v17
.LBB33_156:
	s_or_b64 exec, exec, s[0:1]
	global_load_ushort v17, v18, s[10:11]
	s_brev_b32 s0, 18
                                        ; implicit-def: $vgpr36
                                        ; implicit-def: $vgpr37
	s_waitcnt vmcnt(0)
	v_lshlrev_b32_e32 v17, 16, v17
	v_and_b32_e32 v18, 0x7fffffff, v17
	v_cmp_nlt_f32_e64 s[0:1], |v17|, s0
	s_and_saveexec_b64 s[2:3], s[0:1]
	s_xor_b64 s[6:7], exec, s[2:3]
	s_cbranch_execz .LBB33_158
; %bb.157:
	v_and_b32_e32 v36, 0x7fffff, v18
	v_or_b32_e32 v48, 0x800000, v36
	s_mov_b32 s0, 0xfe5163ab
	v_mad_u64_u32 v[36:37], s[0:1], v48, s0, 0
	v_mov_b32_e32 v41, 0
	s_mov_b32 s0, 0x3c439041
	v_mov_b32_e32 v40, v37
	v_mad_u64_u32 v[42:43], s[0:1], v48, s0, v[40:41]
	s_mov_b32 s0, 0xdb629599
	v_lshrrev_b32_e32 v37, 23, v18
	v_mov_b32_e32 v40, v43
	v_mad_u64_u32 v[43:44], s[0:1], v48, s0, v[40:41]
	s_mov_b32 s0, 0xf534ddc0
	v_add_u32_e32 v37, 0xffffff88, v37
	v_mov_b32_e32 v40, v44
	v_mad_u64_u32 v[44:45], s[0:1], v48, s0, v[40:41]
	s_mov_b32 s0, 0xfc2757d1
	v_not_b32_e32 v47, 63
	v_mov_b32_e32 v40, v45
	v_mad_u64_u32 v[45:46], s[0:1], v48, s0, v[40:41]
	v_cmp_lt_u32_e32 vcc, 63, v37
	v_cndmask_b32_e32 v40, 0, v47, vcc
	v_add_u32_e32 v37, v40, v37
	v_mov_b32_e32 v40, v46
	s_mov_b32 s0, 0x4e441529
	v_mad_u64_u32 v[46:47], s[0:1], v48, s0, v[40:41]
	v_not_b32_e32 v49, 31
	v_cmp_lt_u32_e64 s[0:1], 31, v37
	v_cndmask_b32_e64 v40, 0, v49, s[0:1]
	v_add_u32_e32 v37, v40, v37
	v_mov_b32_e32 v40, v47
	s_mov_b32 s2, 0xa2f9836e
	v_mad_u64_u32 v[40:41], s[2:3], v48, s2, v[40:41]
	v_cmp_lt_u32_e64 s[2:3], 31, v37
	v_cndmask_b32_e64 v47, 0, v49, s[2:3]
	v_add_u32_e32 v37, v47, v37
	v_cndmask_b32_e32 v47, v46, v44, vcc
	v_cndmask_b32_e32 v40, v40, v45, vcc
	;; [unrolled: 1-line block ×3, first 2 shown]
	v_cndmask_b32_e64 v48, v40, v47, s[0:1]
	v_cndmask_b32_e64 v40, v41, v40, s[0:1]
	v_cndmask_b32_e32 v41, v45, v43, vcc
	v_cndmask_b32_e64 v45, v47, v41, s[0:1]
	v_sub_u32_e32 v47, 32, v37
	v_cmp_eq_u32_e64 s[4:5], 0, v37
	v_cndmask_b32_e32 v37, v44, v42, vcc
	v_cndmask_b32_e64 v40, v40, v48, s[2:3]
	v_cndmask_b32_e64 v46, v48, v45, s[2:3]
	;; [unrolled: 1-line block ×3, first 2 shown]
	v_alignbit_b32 v48, v40, v46, v47
	v_cndmask_b32_e64 v42, v45, v41, s[2:3]
	v_cndmask_b32_e64 v40, v48, v40, s[4:5]
	v_alignbit_b32 v44, v46, v42, v47
	v_cndmask_b32_e32 v36, v43, v36, vcc
	v_cndmask_b32_e64 v44, v44, v46, s[4:5]
	v_bfe_u32 v48, v40, 29, 1
	v_cndmask_b32_e64 v36, v37, v36, s[0:1]
	v_alignbit_b32 v45, v40, v44, 30
	v_sub_u32_e32 v49, 0, v48
	v_cndmask_b32_e64 v36, v41, v36, s[2:3]
	v_xor_b32_e32 v45, v45, v49
	v_alignbit_b32 v37, v42, v36, v47
	v_cndmask_b32_e64 v37, v37, v42, s[4:5]
	v_ffbh_u32_e32 v42, v45
	v_alignbit_b32 v41, v44, v37, 30
	v_min_u32_e32 v42, 32, v42
	v_alignbit_b32 v36, v37, v36, 30
	v_xor_b32_e32 v41, v41, v49
	v_sub_u32_e32 v43, 31, v42
	v_xor_b32_e32 v36, v36, v49
	v_alignbit_b32 v44, v45, v41, v43
	v_alignbit_b32 v36, v41, v36, v43
	;; [unrolled: 1-line block ×3, first 2 shown]
	v_ffbh_u32_e32 v41, v37
	v_min_u32_e32 v41, 32, v41
	v_lshrrev_b32_e32 v46, 29, v40
	v_not_b32_e32 v43, v41
	v_alignbit_b32 v36, v37, v36, v43
	v_lshlrev_b32_e32 v37, 31, v46
	v_or_b32_e32 v43, 0x33000000, v37
	v_add_lshl_u32 v41, v41, v42, 23
	v_lshrrev_b32_e32 v36, 9, v36
	v_sub_u32_e32 v41, v43, v41
	v_or_b32_e32 v37, 0.5, v37
	v_lshlrev_b32_e32 v42, 23, v42
	v_or_b32_e32 v36, v41, v36
	v_lshrrev_b32_e32 v41, 9, v44
	v_sub_u32_e32 v37, v37, v42
	v_or_b32_e32 v37, v41, v37
	s_mov_b32 s0, 0x3fc90fda
	v_mul_f32_e32 v41, 0x3fc90fda, v37
	v_fma_f32 v42, v37, s0, -v41
	v_fmac_f32_e32 v42, 0x33a22168, v37
	v_fmac_f32_e32 v42, 0x3fc90fda, v36
	v_lshrrev_b32_e32 v36, 30, v40
	v_add_f32_e32 v37, v41, v42
	v_add_u32_e32 v36, v48, v36
.LBB33_158:
	s_andn2_saveexec_b64 s[0:1], s[6:7]
	s_cbranch_execz .LBB33_160
; %bb.159:
	s_mov_b32 s2, 0x3f22f983
	v_mul_f32_e64 v36, |v17|, s2
	v_rndne_f32_e32 v40, v36
	s_mov_b32 s2, 0xbfc90fda
	v_cvt_i32_f32_e32 v36, v40
	v_fma_f32 v37, v40, s2, |v17|
	v_fmac_f32_e32 v37, 0xb3a22168, v40
	v_fmac_f32_e32 v37, 0xa7c234c4, v40
.LBB33_160:
	s_or_b64 exec, exec, s[0:1]
	v_mul_f32_e32 v45, v39, v39
	v_mov_b32_e32 v44, 0xbab64f3b
	v_mov_b32_e32 v41, 0x3c0881c4
	v_fmac_f32_e32 v44, 0x37d75334, v45
	v_mov_b32_e32 v43, 0x3d2aabf7
	v_fmac_f32_e32 v41, 0xb94c1982, v45
	v_mov_b32_e32 v42, 0xbe2aaa9d
	v_fma_f32 v46, v45, v44, v43
	v_mov_b32_e32 v44, 0xbf000004
	v_fma_f32 v41, v45, v41, v42
	v_fma_f32 v46, v45, v46, v44
	v_mul_f32_e32 v41, v45, v41
	v_fma_f32 v45, v45, v46, 1.0
	v_and_b32_e32 v46, 1, v38
	v_lshlrev_b32_e32 v38, 30, v38
	v_fmac_f32_e32 v39, v39, v41
	v_cmp_eq_u32_e32 vcc, 0, v46
	v_and_b32_e32 v38, 0x80000000, v38
	v_cndmask_b32_e32 v39, v45, v39, vcc
	v_xor_b32_e32 v35, v35, v38
	v_xor_b32_e32 v35, v35, v39
	s_movk_i32 s0, 0x1f8
	v_xor_b32_e32 v38, v35, v34
	v_mov_b32_e32 v35, 0x7fc00000
	v_cmp_class_f32_e64 vcc, v34, s0
	v_cndmask_b32_e32 v34, v35, v38, vcc
	v_bfe_u32 v38, v34, 16, 1
	s_movk_i32 s1, 0x7fff
	v_add3_u32 v38, v34, v38, s1
	v_lshrrev_b32_e32 v39, 16, v38
	v_mov_b32_e32 v38, 0x7fc0
	v_cmp_o_f32_e32 vcc, v34, v34
	v_cndmask_b32_e32 v34, v38, v39, vcc
	v_mul_f32_e32 v39, v33, v33
	v_mov_b32_e32 v45, 0x3c0881c4
	v_fmac_f32_e32 v45, 0xb94c1982, v39
	v_fma_f32 v45, v39, v45, v42
	v_mul_f32_e32 v45, v39, v45
	v_fmac_f32_e32 v33, v33, v45
	v_mov_b32_e32 v45, 0xbab64f3b
	v_fmac_f32_e32 v45, 0x37d75334, v39
	v_fma_f32 v45, v39, v45, v43
	v_fma_f32 v45, v39, v45, v44
	v_fma_f32 v39, v39, v45, 1.0
	v_and_b32_e32 v45, 1, v32
	v_lshlrev_b32_e32 v32, 30, v32
	v_cmp_eq_u32_e32 vcc, 0, v45
	v_and_b32_e32 v32, 0x80000000, v32
	v_cndmask_b32_e32 v33, v39, v33, vcc
	v_xor_b32_e32 v31, v31, v32
	v_xor_b32_e32 v31, v31, v33
	v_xor_b32_e32 v31, v31, v16
	v_cmp_class_f32_e64 vcc, v16, s0
	v_cndmask_b32_e32 v16, v35, v31, vcc
	v_bfe_u32 v31, v16, 16, 1
	v_add3_u32 v31, v16, v31, s1
	v_lshrrev_b32_e32 v31, 16, v31
	v_cmp_o_f32_e32 vcc, v16, v16
	v_cndmask_b32_e32 v16, v38, v31, vcc
	v_mul_f32_e32 v31, v30, v30
	v_mov_b32_e32 v32, 0x3c0881c4
	v_fmac_f32_e32 v32, 0xb94c1982, v31
	v_fma_f32 v32, v31, v32, v42
	v_mul_f32_e32 v32, v31, v32
	v_fmac_f32_e32 v30, v30, v32
	v_mov_b32_e32 v32, 0xbab64f3b
	v_fmac_f32_e32 v32, 0x37d75334, v31
	v_fma_f32 v32, v31, v32, v43
	v_fma_f32 v32, v31, v32, v44
	v_fma_f32 v31, v31, v32, 1.0
	v_and_b32_e32 v32, 1, v29
	v_lshlrev_b32_e32 v29, 30, v29
	v_cmp_eq_u32_e32 vcc, 0, v32
	v_and_b32_e32 v29, 0x80000000, v29
	v_cndmask_b32_e32 v30, v31, v30, vcc
	v_xor_b32_e32 v28, v28, v29
	v_xor_b32_e32 v28, v28, v30
	v_xor_b32_e32 v28, v28, v15
	v_cmp_class_f32_e64 vcc, v15, s0
	v_cndmask_b32_e32 v15, v35, v28, vcc
	v_bfe_u32 v28, v15, 16, 1
	v_add3_u32 v28, v15, v28, s1
	v_lshrrev_b32_e32 v28, 16, v28
	;; [unrolled: 26-line block ×6, first 2 shown]
	v_cmp_o_f32_e32 vcc, v6, v6
	v_mov_b32_e32 v40, 0x3c0881c4
	v_cndmask_b32_e32 v6, v38, v7, vcc
	v_mul_f32_e32 v7, v37, v37
	v_fmac_f32_e32 v40, 0xb94c1982, v7
	v_mov_b32_e32 v41, 0xbab64f3b
	v_fmac_f32_e32 v42, v7, v40
	v_mul_f32_e32 v10, v7, v42
	v_fmac_f32_e32 v41, 0x37d75334, v7
	v_fmac_f32_e32 v37, v37, v10
	;; [unrolled: 1-line block ×3, first 2 shown]
	v_and_b32_e32 v10, 1, v36
	v_fmac_f32_e32 v44, v7, v43
	v_cmp_eq_u32_e32 vcc, 0, v10
	v_lshlrev_b32_e32 v10, 30, v36
	v_fma_f32 v7, v7, v44, 1.0
	v_and_b32_e32 v10, 0x80000000, v10
	v_cndmask_b32_e32 v7, v7, v37, vcc
	v_xor_b32_e32 v10, v18, v10
	v_xor_b32_e32 v7, v10, v7
	;; [unrolled: 1-line block ×3, first 2 shown]
	v_cmp_class_f32_e64 vcc, v17, s0
	v_cndmask_b32_e32 v7, v35, v7, vcc
	v_bfe_u32 v10, v7, 16, 1
	v_add3_u32 v10, v7, v10, s1
	v_cmp_o_f32_e32 vcc, v7, v7
	v_cndmask_b32_sdwa v7, v38, v10, vcc dst_sel:DWORD dst_unused:UNUSED_PAD src0_sel:DWORD src1_sel:WORD_1
	global_store_short v0, v6, s[8:9]
	global_store_short v1, v8, s[8:9]
	;; [unrolled: 1-line block ×8, first 2 shown]
	s_endpgm
.LBB33_161:
	v_mov_b32_e32 v0, 0
	v_mov_b32_e32 v2, 0
	s_branch .LBB33_167
.LBB33_162:
	v_mov_b32_e32 v0, 0
	v_mov_b32_e32 v2, 0
	s_branch .LBB33_187
.LBB33_163:
	s_mov_b32 s57, 0
	v_mov_b32_e32 v0, 0
	v_mov_b32_e32 v2, 0
	;; [unrolled: 1-line block ×3, first 2 shown]
.LBB33_164:
	s_and_b32 s4, s58, 3
	s_cmp_eq_u32 s4, 0
	s_cbranch_scc1 .LBB33_167
; %bb.165:
	s_lshl_b32 s0, s57, 3
	s_add_u32 s0, s34, s0
	s_addc_u32 s1, s35, 0
	s_add_u32 s0, s0, 0xc4
	s_addc_u32 s1, s1, 0
	s_mul_i32 s2, s57, 12
	s_add_u32 s2, s34, s2
	s_addc_u32 s3, s35, 0
.LBB33_166:                             ; =>This Inner Loop Header: Depth=1
	s_load_dwordx2 s[6:7], s[2:3], 0x4
	s_load_dword s5, s[2:3], 0xc
	s_load_dwordx2 s[8:9], s[0:1], 0x0
	s_add_u32 s2, s2, 12
	s_addc_u32 s3, s3, 0
	s_waitcnt lgkmcnt(0)
	v_mul_hi_u32 v3, s7, v1
	s_add_u32 s0, s0, 8
	s_addc_u32 s1, s1, 0
	s_add_i32 s4, s4, -1
	v_add_u32_e32 v3, v1, v3
	v_lshrrev_b32_e32 v4, s5, v3
	v_mul_lo_u32 v3, v4, s6
	s_cmp_lg_u32 s4, 0
	v_sub_u32_e32 v3, v1, v3
	v_mad_u64_u32 v[0:1], s[6:7], v3, s8, v[0:1]
	v_mad_u64_u32 v[2:3], s[6:7], v3, s9, v[2:3]
	v_mov_b32_e32 v1, v4
	s_cbranch_scc1 .LBB33_166
.LBB33_167:
	s_cbranch_execnz .LBB33_170
.LBB33_168:
	s_waitcnt lgkmcnt(0)
	v_mul_hi_u32 v0, s25, v10
	s_andn2_b64 vcc, exec, s[42:43]
	v_add_u32_e32 v0, v10, v0
	v_lshrrev_b32_e32 v1, s26, v0
	v_mul_lo_u32 v0, v1, s24
	v_sub_u32_e32 v2, v10, v0
	v_mul_lo_u32 v0, v2, s20
	v_mul_lo_u32 v2, v2, s21
	s_cbranch_vccnz .LBB33_170
; %bb.169:
	v_mul_hi_u32 v3, s40, v1
	v_add_u32_e32 v3, v1, v3
	v_lshrrev_b32_e32 v3, s41, v3
	v_mul_lo_u32 v3, v3, s27
	v_sub_u32_e32 v3, v1, v3
	v_mad_u64_u32 v[0:1], s[0:1], v3, s22, v[0:1]
	v_mad_u64_u32 v[2:3], s[0:1], v3, s23, v[2:3]
.LBB33_170:
	s_waitcnt lgkmcnt(0)
	global_load_ushort v1, v2, s[18:19]
	s_brev_b32 s0, 18
                                        ; implicit-def: $vgpr3
                                        ; implicit-def: $vgpr4
	s_waitcnt vmcnt(0)
	v_lshlrev_b32_e32 v1, 16, v1
	v_and_b32_e32 v2, 0x7fffffff, v1
	v_cmp_nlt_f32_e64 s[0:1], |v1|, s0
	s_and_saveexec_b64 s[2:3], s[0:1]
	s_xor_b64 s[6:7], exec, s[2:3]
	s_cbranch_execz .LBB33_172
; %bb.171:
	v_and_b32_e32 v3, 0x7fffff, v2
	v_or_b32_e32 v14, 0x800000, v3
	s_mov_b32 s0, 0xfe5163ab
	v_mad_u64_u32 v[3:4], s[0:1], v14, s0, 0
	v_mov_b32_e32 v5, 0
	s_mov_b32 s0, 0x3c439041
	v_mad_u64_u32 v[6:7], s[0:1], v14, s0, v[4:5]
	s_mov_b32 s0, 0xdb629599
	v_not_b32_e32 v13, 63
	v_mov_b32_e32 v4, v7
	v_mad_u64_u32 v[7:8], s[0:1], v14, s0, v[4:5]
	s_mov_b32 s0, 0xf534ddc0
	s_mov_b32 s2, 0xa2f9836e
	v_mov_b32_e32 v4, v8
	v_mad_u64_u32 v[8:9], s[0:1], v14, s0, v[4:5]
	v_lshrrev_b32_e32 v4, 23, v2
	v_add_u32_e32 v15, 0xffffff88, v4
	v_mov_b32_e32 v4, v9
	s_mov_b32 s0, 0xfc2757d1
	v_mad_u64_u32 v[11:12], s[0:1], v14, s0, v[4:5]
	v_cmp_lt_u32_e32 vcc, 63, v15
	v_cndmask_b32_e32 v4, 0, v13, vcc
	v_add_u32_e32 v9, v4, v15
	v_mov_b32_e32 v4, v12
	s_mov_b32 s0, 0x4e441529
	v_mad_u64_u32 v[12:13], s[0:1], v14, s0, v[4:5]
	v_not_b32_e32 v15, 31
	v_cmp_lt_u32_e64 s[0:1], 31, v9
	v_cndmask_b32_e64 v4, 0, v15, s[0:1]
	v_add_u32_e32 v9, v4, v9
	v_mov_b32_e32 v4, v13
	v_mad_u64_u32 v[4:5], s[2:3], v14, s2, v[4:5]
	v_cmp_lt_u32_e64 s[2:3], 31, v9
	v_cndmask_b32_e64 v13, 0, v15, s[2:3]
	v_add_u32_e32 v9, v13, v9
	v_cndmask_b32_e32 v13, v12, v8, vcc
	v_cndmask_b32_e32 v4, v4, v11, vcc
	;; [unrolled: 1-line block ×3, first 2 shown]
	v_cndmask_b32_e64 v14, v4, v13, s[0:1]
	v_cndmask_b32_e64 v4, v5, v4, s[0:1]
	v_cndmask_b32_e32 v5, v11, v7, vcc
	v_cndmask_b32_e64 v11, v13, v5, s[0:1]
	v_cndmask_b32_e64 v4, v4, v14, s[2:3]
	;; [unrolled: 1-line block ×3, first 2 shown]
	v_sub_u32_e32 v13, 32, v9
	v_alignbit_b32 v14, v4, v12, v13
	v_cmp_eq_u32_e64 s[4:5], 0, v9
	v_cndmask_b32_e64 v9, v14, v4, s[4:5]
	v_cndmask_b32_e32 v4, v8, v6, vcc
	v_cndmask_b32_e64 v5, v5, v4, s[0:1]
	v_cndmask_b32_e64 v6, v11, v5, s[2:3]
	v_alignbit_b32 v8, v12, v6, v13
	v_cndmask_b32_e32 v3, v7, v3, vcc
	v_cndmask_b32_e64 v8, v8, v12, s[4:5]
	v_bfe_u32 v14, v9, 29, 1
	v_cndmask_b32_e64 v3, v4, v3, s[0:1]
	v_alignbit_b32 v11, v9, v8, 30
	v_sub_u32_e32 v15, 0, v14
	v_cndmask_b32_e64 v3, v5, v3, s[2:3]
	v_xor_b32_e32 v11, v11, v15
	v_alignbit_b32 v4, v6, v3, v13
	v_cndmask_b32_e64 v4, v4, v6, s[4:5]
	v_ffbh_u32_e32 v6, v11
	v_alignbit_b32 v5, v8, v4, 30
	v_min_u32_e32 v6, 32, v6
	v_alignbit_b32 v3, v4, v3, 30
	v_xor_b32_e32 v5, v5, v15
	v_sub_u32_e32 v7, 31, v6
	v_xor_b32_e32 v3, v3, v15
	v_alignbit_b32 v8, v11, v5, v7
	v_alignbit_b32 v3, v5, v3, v7
	v_alignbit_b32 v4, v8, v3, 9
	v_ffbh_u32_e32 v5, v4
	v_min_u32_e32 v5, 32, v5
	v_lshrrev_b32_e32 v12, 29, v9
	v_not_b32_e32 v7, v5
	v_alignbit_b32 v3, v4, v3, v7
	v_lshlrev_b32_e32 v4, 31, v12
	v_or_b32_e32 v7, 0x33000000, v4
	v_add_lshl_u32 v5, v5, v6, 23
	v_lshrrev_b32_e32 v3, 9, v3
	v_sub_u32_e32 v5, v7, v5
	v_or_b32_e32 v4, 0.5, v4
	v_lshlrev_b32_e32 v6, 23, v6
	v_or_b32_e32 v3, v5, v3
	v_lshrrev_b32_e32 v5, 9, v8
	v_sub_u32_e32 v4, v4, v6
	v_or_b32_e32 v4, v5, v4
	s_mov_b32 s0, 0x3fc90fda
	v_mul_f32_e32 v5, 0x3fc90fda, v4
	v_fma_f32 v6, v4, s0, -v5
	v_fmac_f32_e32 v6, 0x33a22168, v4
	v_fmac_f32_e32 v6, 0x3fc90fda, v3
	v_lshrrev_b32_e32 v3, 30, v9
	v_add_f32_e32 v4, v5, v6
	v_add_u32_e32 v3, v14, v3
.LBB33_172:
	s_andn2_saveexec_b64 s[0:1], s[6:7]
	s_cbranch_execz .LBB33_174
; %bb.173:
	s_mov_b32 s2, 0x3f22f983
	v_mul_f32_e64 v3, |v1|, s2
	v_rndne_f32_e32 v5, v3
	s_mov_b32 s2, 0xbfc90fda
	v_cvt_i32_f32_e32 v3, v5
	v_fma_f32 v4, v5, s2, |v1|
	v_fmac_f32_e32 v4, 0xb3a22168, v5
	v_fmac_f32_e32 v4, 0xa7c234c4, v5
.LBB33_174:
	s_or_b64 exec, exec, s[0:1]
	v_mul_f32_e32 v5, v4, v4
	v_mov_b32_e32 v6, 0x3c0881c4
	v_fmac_f32_e32 v6, 0xb94c1982, v5
	v_mov_b32_e32 v7, 0xbe2aaa9d
	v_fmac_f32_e32 v7, v5, v6
	v_mul_f32_e32 v6, v5, v7
	v_fmac_f32_e32 v4, v4, v6
	v_mov_b32_e32 v6, 0xbab64f3b
	v_fmac_f32_e32 v6, 0x37d75334, v5
	v_mov_b32_e32 v7, 0x3d2aabf7
	;; [unrolled: 2-line block ×3, first 2 shown]
	v_fmac_f32_e32 v6, v5, v7
	v_fma_f32 v5, v5, v6, 1.0
	v_and_b32_e32 v6, 1, v3
	v_lshlrev_b32_e32 v3, 30, v3
	v_cmp_eq_u32_e32 vcc, 0, v6
	v_and_b32_e32 v3, 0x80000000, v3
	v_cndmask_b32_e32 v4, v5, v4, vcc
	v_xor_b32_e32 v2, v2, v3
	v_xor_b32_e32 v2, v2, v4
	s_movk_i32 s0, 0x1f8
	v_xor_b32_e32 v2, v2, v1
	v_mov_b32_e32 v3, 0x7fc00000
	v_cmp_class_f32_e64 vcc, v1, s0
	v_cndmask_b32_e32 v1, v3, v2, vcc
	v_bfe_u32 v2, v1, 16, 1
	s_movk_i32 s0, 0x7fff
	v_add3_u32 v2, v1, v2, s0
	v_cmp_o_f32_e32 vcc, v1, v1
	v_mov_b32_e32 v1, 0x7fc0
	v_cndmask_b32_sdwa v1, v1, v2, vcc dst_sel:DWORD dst_unused:UNUSED_PAD src0_sel:DWORD src1_sel:WORD_1
	v_add_u32_e32 v10, 0x80, v10
	global_store_short v0, v1, s[16:17]
	s_or_b64 exec, exec, s[48:49]
	v_cmp_gt_i32_e32 vcc, s55, v10
	s_and_saveexec_b64 s[48:49], vcc
	s_cbranch_execnz .LBB33_15
.LBB33_175:
	s_or_b64 exec, exec, s[48:49]
	v_cmp_gt_i32_e32 vcc, s55, v10
	s_and_saveexec_b64 s[48:49], vcc
	s_cbranch_execz .LBB33_195
.LBB33_176:
	s_andn2_b64 vcc, exec, s[36:37]
	s_cbranch_vccnz .LBB33_181
; %bb.177:
	s_andn2_b64 vcc, exec, s[46:47]
	s_cbranch_vccnz .LBB33_182
; %bb.178:
	s_add_i32 s58, s56, 1
	s_cmp_eq_u32 s54, 2
	s_cbranch_scc1 .LBB33_203
; %bb.179:
	s_and_b32 s57, s58, 28
	v_mov_b32_e32 v2, 0
	s_mov_b32 s59, 0
	s_mov_b64 s[50:51], s[34:35]
	s_mov_b64 s[52:53], s[44:45]
	v_mov_b32_e32 v0, 0
	v_mov_b32_e32 v1, v10
.LBB33_180:                             ; =>This Inner Loop Header: Depth=1
	s_load_dwordx8 s[8:15], s[50:51], 0x4
	s_load_dwordx4 s[28:31], s[50:51], 0x24
	s_load_dwordx8 s[0:7], s[52:53], 0x0
	s_add_u32 s50, s50, 48
	s_addc_u32 s51, s51, 0
	s_waitcnt lgkmcnt(0)
	v_mul_hi_u32 v3, s9, v1
	s_add_i32 s59, s59, 4
	s_add_u32 s52, s52, 32
	s_addc_u32 s53, s53, 0
	v_add_u32_e32 v3, v1, v3
	v_lshrrev_b32_e32 v3, s10, v3
	v_mul_lo_u32 v4, v3, s8
	v_mul_hi_u32 v5, s12, v3
	s_cmp_eq_u32 s57, s59
	v_sub_u32_e32 v1, v1, v4
	v_add_u32_e32 v4, v3, v5
	v_mul_lo_u32 v5, v1, s0
	v_mul_lo_u32 v6, v1, s1
	v_lshrrev_b32_e32 v1, s13, v4
	v_mul_lo_u32 v4, v1, s11
	v_mul_hi_u32 v7, s15, v1
	v_sub_u32_e32 v3, v3, v4
	v_add_u32_e32 v4, v1, v7
	v_lshrrev_b32_e32 v4, s28, v4
	v_mul_hi_u32 v8, s30, v4
	v_mul_lo_u32 v9, v4, s14
	v_mul_lo_u32 v7, v3, s2
	;; [unrolled: 1-line block ×3, first 2 shown]
	v_sub_u32_e32 v9, v1, v9
	v_add_u32_e32 v1, v4, v8
	v_lshrrev_b32_e32 v1, s31, v1
	v_mul_lo_u32 v8, v1, s29
	v_mul_lo_u32 v11, v9, s4
	v_mul_lo_u32 v9, v9, s5
	v_add3_u32 v0, v5, v0, v7
	v_sub_u32_e32 v4, v4, v8
	v_mul_lo_u32 v8, v4, s6
	v_mul_lo_u32 v4, v4, s7
	v_add3_u32 v2, v6, v2, v3
	v_add3_u32 v0, v11, v0, v8
	v_add3_u32 v2, v9, v2, v4
	s_cbranch_scc0 .LBB33_180
	s_branch .LBB33_204
.LBB33_181:
                                        ; implicit-def: $vgpr0
                                        ; implicit-def: $vgpr2
	s_branch .LBB33_208
.LBB33_182:
	v_mov_b32_e32 v0, 0
	v_mov_b32_e32 v2, 0
	s_branch .LBB33_207
.LBB33_183:
	s_mov_b32 s57, 0
	v_mov_b32_e32 v0, 0
	v_mov_b32_e32 v2, 0
	;; [unrolled: 1-line block ×3, first 2 shown]
.LBB33_184:
	s_and_b32 s4, s58, 3
	s_cmp_eq_u32 s4, 0
	s_cbranch_scc1 .LBB33_187
; %bb.185:
	s_lshl_b32 s0, s57, 3
	s_add_u32 s0, s34, s0
	s_addc_u32 s1, s35, 0
	s_add_u32 s0, s0, 0xc4
	s_addc_u32 s1, s1, 0
	s_mul_i32 s2, s57, 12
	s_add_u32 s2, s34, s2
	s_addc_u32 s3, s35, 0
.LBB33_186:                             ; =>This Inner Loop Header: Depth=1
	s_load_dwordx2 s[6:7], s[2:3], 0x4
	s_load_dword s5, s[2:3], 0xc
	s_load_dwordx2 s[8:9], s[0:1], 0x0
	s_add_u32 s2, s2, 12
	s_addc_u32 s3, s3, 0
	s_waitcnt lgkmcnt(0)
	v_mul_hi_u32 v3, s7, v1
	s_add_u32 s0, s0, 8
	s_addc_u32 s1, s1, 0
	s_add_i32 s4, s4, -1
	v_add_u32_e32 v3, v1, v3
	v_lshrrev_b32_e32 v4, s5, v3
	v_mul_lo_u32 v3, v4, s6
	s_cmp_lg_u32 s4, 0
	v_sub_u32_e32 v3, v1, v3
	v_mad_u64_u32 v[0:1], s[6:7], v3, s8, v[0:1]
	v_mad_u64_u32 v[2:3], s[6:7], v3, s9, v[2:3]
	v_mov_b32_e32 v1, v4
	s_cbranch_scc1 .LBB33_186
.LBB33_187:
	s_cbranch_execnz .LBB33_190
.LBB33_188:
	s_waitcnt lgkmcnt(0)
	v_mul_hi_u32 v0, s25, v10
	s_andn2_b64 vcc, exec, s[42:43]
	v_add_u32_e32 v0, v10, v0
	v_lshrrev_b32_e32 v1, s26, v0
	v_mul_lo_u32 v0, v1, s24
	v_sub_u32_e32 v2, v10, v0
	v_mul_lo_u32 v0, v2, s20
	v_mul_lo_u32 v2, v2, s21
	s_cbranch_vccnz .LBB33_190
; %bb.189:
	v_mul_hi_u32 v3, s40, v1
	v_add_u32_e32 v3, v1, v3
	v_lshrrev_b32_e32 v3, s41, v3
	v_mul_lo_u32 v3, v3, s27
	v_sub_u32_e32 v3, v1, v3
	v_mad_u64_u32 v[0:1], s[0:1], v3, s22, v[0:1]
	v_mad_u64_u32 v[2:3], s[0:1], v3, s23, v[2:3]
.LBB33_190:
	s_waitcnt lgkmcnt(0)
	global_load_ushort v1, v2, s[18:19]
	s_brev_b32 s0, 18
                                        ; implicit-def: $vgpr3
                                        ; implicit-def: $vgpr4
	s_waitcnt vmcnt(0)
	v_lshlrev_b32_e32 v1, 16, v1
	v_and_b32_e32 v2, 0x7fffffff, v1
	v_cmp_nlt_f32_e64 s[0:1], |v1|, s0
	s_and_saveexec_b64 s[2:3], s[0:1]
	s_xor_b64 s[6:7], exec, s[2:3]
	s_cbranch_execz .LBB33_192
; %bb.191:
	v_and_b32_e32 v3, 0x7fffff, v2
	v_or_b32_e32 v14, 0x800000, v3
	s_mov_b32 s0, 0xfe5163ab
	v_mad_u64_u32 v[3:4], s[0:1], v14, s0, 0
	v_mov_b32_e32 v5, 0
	s_mov_b32 s0, 0x3c439041
	v_mad_u64_u32 v[6:7], s[0:1], v14, s0, v[4:5]
	s_mov_b32 s0, 0xdb629599
	v_not_b32_e32 v13, 63
	v_mov_b32_e32 v4, v7
	v_mad_u64_u32 v[7:8], s[0:1], v14, s0, v[4:5]
	s_mov_b32 s0, 0xf534ddc0
	s_mov_b32 s2, 0xa2f9836e
	v_mov_b32_e32 v4, v8
	v_mad_u64_u32 v[8:9], s[0:1], v14, s0, v[4:5]
	v_lshrrev_b32_e32 v4, 23, v2
	v_add_u32_e32 v15, 0xffffff88, v4
	v_mov_b32_e32 v4, v9
	s_mov_b32 s0, 0xfc2757d1
	v_mad_u64_u32 v[11:12], s[0:1], v14, s0, v[4:5]
	v_cmp_lt_u32_e32 vcc, 63, v15
	v_cndmask_b32_e32 v4, 0, v13, vcc
	v_add_u32_e32 v9, v4, v15
	v_mov_b32_e32 v4, v12
	s_mov_b32 s0, 0x4e441529
	v_mad_u64_u32 v[12:13], s[0:1], v14, s0, v[4:5]
	v_not_b32_e32 v15, 31
	v_cmp_lt_u32_e64 s[0:1], 31, v9
	v_cndmask_b32_e64 v4, 0, v15, s[0:1]
	v_add_u32_e32 v9, v4, v9
	v_mov_b32_e32 v4, v13
	v_mad_u64_u32 v[4:5], s[2:3], v14, s2, v[4:5]
	v_cmp_lt_u32_e64 s[2:3], 31, v9
	v_cndmask_b32_e64 v13, 0, v15, s[2:3]
	v_add_u32_e32 v9, v13, v9
	v_cndmask_b32_e32 v13, v12, v8, vcc
	v_cndmask_b32_e32 v4, v4, v11, vcc
	;; [unrolled: 1-line block ×3, first 2 shown]
	v_cndmask_b32_e64 v14, v4, v13, s[0:1]
	v_cndmask_b32_e64 v4, v5, v4, s[0:1]
	v_cndmask_b32_e32 v5, v11, v7, vcc
	v_cndmask_b32_e64 v11, v13, v5, s[0:1]
	v_cndmask_b32_e64 v4, v4, v14, s[2:3]
	;; [unrolled: 1-line block ×3, first 2 shown]
	v_sub_u32_e32 v13, 32, v9
	v_alignbit_b32 v14, v4, v12, v13
	v_cmp_eq_u32_e64 s[4:5], 0, v9
	v_cndmask_b32_e64 v9, v14, v4, s[4:5]
	v_cndmask_b32_e32 v4, v8, v6, vcc
	v_cndmask_b32_e64 v5, v5, v4, s[0:1]
	v_cndmask_b32_e64 v6, v11, v5, s[2:3]
	v_alignbit_b32 v8, v12, v6, v13
	v_cndmask_b32_e32 v3, v7, v3, vcc
	v_cndmask_b32_e64 v8, v8, v12, s[4:5]
	v_bfe_u32 v14, v9, 29, 1
	v_cndmask_b32_e64 v3, v4, v3, s[0:1]
	v_alignbit_b32 v11, v9, v8, 30
	v_sub_u32_e32 v15, 0, v14
	v_cndmask_b32_e64 v3, v5, v3, s[2:3]
	v_xor_b32_e32 v11, v11, v15
	v_alignbit_b32 v4, v6, v3, v13
	v_cndmask_b32_e64 v4, v4, v6, s[4:5]
	v_ffbh_u32_e32 v6, v11
	v_alignbit_b32 v5, v8, v4, 30
	v_min_u32_e32 v6, 32, v6
	v_alignbit_b32 v3, v4, v3, 30
	v_xor_b32_e32 v5, v5, v15
	v_sub_u32_e32 v7, 31, v6
	v_xor_b32_e32 v3, v3, v15
	v_alignbit_b32 v8, v11, v5, v7
	v_alignbit_b32 v3, v5, v3, v7
	;; [unrolled: 1-line block ×3, first 2 shown]
	v_ffbh_u32_e32 v5, v4
	v_min_u32_e32 v5, 32, v5
	v_lshrrev_b32_e32 v12, 29, v9
	v_not_b32_e32 v7, v5
	v_alignbit_b32 v3, v4, v3, v7
	v_lshlrev_b32_e32 v4, 31, v12
	v_or_b32_e32 v7, 0x33000000, v4
	v_add_lshl_u32 v5, v5, v6, 23
	v_lshrrev_b32_e32 v3, 9, v3
	v_sub_u32_e32 v5, v7, v5
	v_or_b32_e32 v4, 0.5, v4
	v_lshlrev_b32_e32 v6, 23, v6
	v_or_b32_e32 v3, v5, v3
	v_lshrrev_b32_e32 v5, 9, v8
	v_sub_u32_e32 v4, v4, v6
	v_or_b32_e32 v4, v5, v4
	s_mov_b32 s0, 0x3fc90fda
	v_mul_f32_e32 v5, 0x3fc90fda, v4
	v_fma_f32 v6, v4, s0, -v5
	v_fmac_f32_e32 v6, 0x33a22168, v4
	v_fmac_f32_e32 v6, 0x3fc90fda, v3
	v_lshrrev_b32_e32 v3, 30, v9
	v_add_f32_e32 v4, v5, v6
	v_add_u32_e32 v3, v14, v3
.LBB33_192:
	s_andn2_saveexec_b64 s[0:1], s[6:7]
	s_cbranch_execz .LBB33_194
; %bb.193:
	s_mov_b32 s2, 0x3f22f983
	v_mul_f32_e64 v3, |v1|, s2
	v_rndne_f32_e32 v5, v3
	s_mov_b32 s2, 0xbfc90fda
	v_cvt_i32_f32_e32 v3, v5
	v_fma_f32 v4, v5, s2, |v1|
	v_fmac_f32_e32 v4, 0xb3a22168, v5
	v_fmac_f32_e32 v4, 0xa7c234c4, v5
.LBB33_194:
	s_or_b64 exec, exec, s[0:1]
	v_mul_f32_e32 v5, v4, v4
	v_mov_b32_e32 v6, 0x3c0881c4
	v_fmac_f32_e32 v6, 0xb94c1982, v5
	v_mov_b32_e32 v7, 0xbe2aaa9d
	v_fmac_f32_e32 v7, v5, v6
	v_mul_f32_e32 v6, v5, v7
	v_fmac_f32_e32 v4, v4, v6
	v_mov_b32_e32 v6, 0xbab64f3b
	v_fmac_f32_e32 v6, 0x37d75334, v5
	v_mov_b32_e32 v7, 0x3d2aabf7
	v_fmac_f32_e32 v7, v5, v6
	v_mov_b32_e32 v6, 0xbf000004
	v_fmac_f32_e32 v6, v5, v7
	v_fma_f32 v5, v5, v6, 1.0
	v_and_b32_e32 v6, 1, v3
	v_lshlrev_b32_e32 v3, 30, v3
	v_cmp_eq_u32_e32 vcc, 0, v6
	v_and_b32_e32 v3, 0x80000000, v3
	v_cndmask_b32_e32 v4, v5, v4, vcc
	v_xor_b32_e32 v2, v2, v3
	v_xor_b32_e32 v2, v2, v4
	s_movk_i32 s0, 0x1f8
	v_xor_b32_e32 v2, v2, v1
	v_mov_b32_e32 v3, 0x7fc00000
	v_cmp_class_f32_e64 vcc, v1, s0
	v_cndmask_b32_e32 v1, v3, v2, vcc
	v_bfe_u32 v2, v1, 16, 1
	s_movk_i32 s0, 0x7fff
	v_add3_u32 v2, v1, v2, s0
	v_cmp_o_f32_e32 vcc, v1, v1
	v_mov_b32_e32 v1, 0x7fc0
	v_cndmask_b32_sdwa v1, v1, v2, vcc dst_sel:DWORD dst_unused:UNUSED_PAD src0_sel:DWORD src1_sel:WORD_1
	v_add_u32_e32 v10, 0x80, v10
	global_store_short v0, v1, s[16:17]
	s_or_b64 exec, exec, s[48:49]
	v_cmp_gt_i32_e32 vcc, s55, v10
	s_and_saveexec_b64 s[48:49], vcc
	s_cbranch_execnz .LBB33_176
.LBB33_195:
	s_or_b64 exec, exec, s[48:49]
	v_cmp_gt_i32_e32 vcc, s55, v10
	s_and_saveexec_b64 s[48:49], vcc
	s_cbranch_execz .LBB33_215
.LBB33_196:
	s_andn2_b64 vcc, exec, s[36:37]
	s_cbranch_vccnz .LBB33_201
; %bb.197:
	s_andn2_b64 vcc, exec, s[46:47]
	s_cbranch_vccnz .LBB33_202
; %bb.198:
	s_add_i32 s58, s56, 1
	s_cmp_eq_u32 s54, 2
	s_cbranch_scc1 .LBB33_223
; %bb.199:
	s_and_b32 s57, s58, 28
	v_mov_b32_e32 v2, 0
	s_mov_b32 s59, 0
	s_mov_b64 s[50:51], s[34:35]
	s_mov_b64 s[52:53], s[44:45]
	v_mov_b32_e32 v0, 0
	v_mov_b32_e32 v1, v10
.LBB33_200:                             ; =>This Inner Loop Header: Depth=1
	s_load_dwordx8 s[8:15], s[50:51], 0x4
	s_load_dwordx4 s[28:31], s[50:51], 0x24
	s_load_dwordx8 s[0:7], s[52:53], 0x0
	s_add_u32 s50, s50, 48
	s_addc_u32 s51, s51, 0
	s_waitcnt lgkmcnt(0)
	v_mul_hi_u32 v3, s9, v1
	s_add_i32 s59, s59, 4
	s_add_u32 s52, s52, 32
	s_addc_u32 s53, s53, 0
	v_add_u32_e32 v3, v1, v3
	v_lshrrev_b32_e32 v3, s10, v3
	v_mul_lo_u32 v4, v3, s8
	v_mul_hi_u32 v5, s12, v3
	s_cmp_eq_u32 s57, s59
	v_sub_u32_e32 v1, v1, v4
	v_add_u32_e32 v4, v3, v5
	v_mul_lo_u32 v5, v1, s0
	v_mul_lo_u32 v6, v1, s1
	v_lshrrev_b32_e32 v1, s13, v4
	v_mul_lo_u32 v4, v1, s11
	v_mul_hi_u32 v7, s15, v1
	v_sub_u32_e32 v3, v3, v4
	v_add_u32_e32 v4, v1, v7
	v_lshrrev_b32_e32 v4, s28, v4
	v_mul_hi_u32 v8, s30, v4
	v_mul_lo_u32 v9, v4, s14
	v_mul_lo_u32 v7, v3, s2
	;; [unrolled: 1-line block ×3, first 2 shown]
	v_sub_u32_e32 v9, v1, v9
	v_add_u32_e32 v1, v4, v8
	v_lshrrev_b32_e32 v1, s31, v1
	v_mul_lo_u32 v8, v1, s29
	v_mul_lo_u32 v11, v9, s4
	;; [unrolled: 1-line block ×3, first 2 shown]
	v_add3_u32 v0, v5, v0, v7
	v_sub_u32_e32 v4, v4, v8
	v_mul_lo_u32 v8, v4, s6
	v_mul_lo_u32 v4, v4, s7
	v_add3_u32 v2, v6, v2, v3
	v_add3_u32 v0, v11, v0, v8
	;; [unrolled: 1-line block ×3, first 2 shown]
	s_cbranch_scc0 .LBB33_200
	s_branch .LBB33_224
.LBB33_201:
                                        ; implicit-def: $vgpr0
                                        ; implicit-def: $vgpr2
	s_branch .LBB33_228
.LBB33_202:
	v_mov_b32_e32 v0, 0
	v_mov_b32_e32 v2, 0
	s_branch .LBB33_227
.LBB33_203:
	s_mov_b32 s57, 0
	v_mov_b32_e32 v0, 0
	v_mov_b32_e32 v2, 0
	v_mov_b32_e32 v1, v10
.LBB33_204:
	s_and_b32 s4, s58, 3
	s_cmp_eq_u32 s4, 0
	s_cbranch_scc1 .LBB33_207
; %bb.205:
	s_lshl_b32 s0, s57, 3
	s_add_u32 s0, s34, s0
	s_addc_u32 s1, s35, 0
	s_add_u32 s0, s0, 0xc4
	s_addc_u32 s1, s1, 0
	s_mul_i32 s2, s57, 12
	s_add_u32 s2, s34, s2
	s_addc_u32 s3, s35, 0
.LBB33_206:                             ; =>This Inner Loop Header: Depth=1
	s_load_dwordx2 s[6:7], s[2:3], 0x4
	s_load_dword s5, s[2:3], 0xc
	s_load_dwordx2 s[8:9], s[0:1], 0x0
	s_add_u32 s2, s2, 12
	s_addc_u32 s3, s3, 0
	s_waitcnt lgkmcnt(0)
	v_mul_hi_u32 v3, s7, v1
	s_add_u32 s0, s0, 8
	s_addc_u32 s1, s1, 0
	s_add_i32 s4, s4, -1
	v_add_u32_e32 v3, v1, v3
	v_lshrrev_b32_e32 v4, s5, v3
	v_mul_lo_u32 v3, v4, s6
	s_cmp_lg_u32 s4, 0
	v_sub_u32_e32 v3, v1, v3
	v_mad_u64_u32 v[0:1], s[6:7], v3, s8, v[0:1]
	v_mad_u64_u32 v[2:3], s[6:7], v3, s9, v[2:3]
	v_mov_b32_e32 v1, v4
	s_cbranch_scc1 .LBB33_206
.LBB33_207:
	s_cbranch_execnz .LBB33_210
.LBB33_208:
	s_waitcnt lgkmcnt(0)
	v_mul_hi_u32 v0, s25, v10
	s_andn2_b64 vcc, exec, s[42:43]
	v_add_u32_e32 v0, v10, v0
	v_lshrrev_b32_e32 v1, s26, v0
	v_mul_lo_u32 v0, v1, s24
	v_sub_u32_e32 v2, v10, v0
	v_mul_lo_u32 v0, v2, s20
	v_mul_lo_u32 v2, v2, s21
	s_cbranch_vccnz .LBB33_210
; %bb.209:
	v_mul_hi_u32 v3, s40, v1
	v_add_u32_e32 v3, v1, v3
	v_lshrrev_b32_e32 v3, s41, v3
	v_mul_lo_u32 v3, v3, s27
	v_sub_u32_e32 v3, v1, v3
	v_mad_u64_u32 v[0:1], s[0:1], v3, s22, v[0:1]
	v_mad_u64_u32 v[2:3], s[0:1], v3, s23, v[2:3]
.LBB33_210:
	s_waitcnt lgkmcnt(0)
	global_load_ushort v1, v2, s[18:19]
	s_brev_b32 s0, 18
                                        ; implicit-def: $vgpr3
                                        ; implicit-def: $vgpr4
	s_waitcnt vmcnt(0)
	v_lshlrev_b32_e32 v1, 16, v1
	v_and_b32_e32 v2, 0x7fffffff, v1
	v_cmp_nlt_f32_e64 s[0:1], |v1|, s0
	s_and_saveexec_b64 s[2:3], s[0:1]
	s_xor_b64 s[6:7], exec, s[2:3]
	s_cbranch_execz .LBB33_212
; %bb.211:
	v_and_b32_e32 v3, 0x7fffff, v2
	v_or_b32_e32 v14, 0x800000, v3
	s_mov_b32 s0, 0xfe5163ab
	v_mad_u64_u32 v[3:4], s[0:1], v14, s0, 0
	v_mov_b32_e32 v5, 0
	s_mov_b32 s0, 0x3c439041
	v_mad_u64_u32 v[6:7], s[0:1], v14, s0, v[4:5]
	s_mov_b32 s0, 0xdb629599
	v_not_b32_e32 v13, 63
	v_mov_b32_e32 v4, v7
	v_mad_u64_u32 v[7:8], s[0:1], v14, s0, v[4:5]
	s_mov_b32 s0, 0xf534ddc0
	s_mov_b32 s2, 0xa2f9836e
	v_mov_b32_e32 v4, v8
	v_mad_u64_u32 v[8:9], s[0:1], v14, s0, v[4:5]
	v_lshrrev_b32_e32 v4, 23, v2
	v_add_u32_e32 v15, 0xffffff88, v4
	v_mov_b32_e32 v4, v9
	s_mov_b32 s0, 0xfc2757d1
	v_mad_u64_u32 v[11:12], s[0:1], v14, s0, v[4:5]
	v_cmp_lt_u32_e32 vcc, 63, v15
	v_cndmask_b32_e32 v4, 0, v13, vcc
	v_add_u32_e32 v9, v4, v15
	v_mov_b32_e32 v4, v12
	s_mov_b32 s0, 0x4e441529
	v_mad_u64_u32 v[12:13], s[0:1], v14, s0, v[4:5]
	v_not_b32_e32 v15, 31
	v_cmp_lt_u32_e64 s[0:1], 31, v9
	v_cndmask_b32_e64 v4, 0, v15, s[0:1]
	v_add_u32_e32 v9, v4, v9
	v_mov_b32_e32 v4, v13
	v_mad_u64_u32 v[4:5], s[2:3], v14, s2, v[4:5]
	v_cmp_lt_u32_e64 s[2:3], 31, v9
	v_cndmask_b32_e64 v13, 0, v15, s[2:3]
	v_add_u32_e32 v9, v13, v9
	v_cndmask_b32_e32 v13, v12, v8, vcc
	v_cndmask_b32_e32 v4, v4, v11, vcc
	;; [unrolled: 1-line block ×3, first 2 shown]
	v_cndmask_b32_e64 v14, v4, v13, s[0:1]
	v_cndmask_b32_e64 v4, v5, v4, s[0:1]
	v_cndmask_b32_e32 v5, v11, v7, vcc
	v_cndmask_b32_e64 v11, v13, v5, s[0:1]
	v_cndmask_b32_e64 v4, v4, v14, s[2:3]
	;; [unrolled: 1-line block ×3, first 2 shown]
	v_sub_u32_e32 v13, 32, v9
	v_alignbit_b32 v14, v4, v12, v13
	v_cmp_eq_u32_e64 s[4:5], 0, v9
	v_cndmask_b32_e64 v9, v14, v4, s[4:5]
	v_cndmask_b32_e32 v4, v8, v6, vcc
	v_cndmask_b32_e64 v5, v5, v4, s[0:1]
	v_cndmask_b32_e64 v6, v11, v5, s[2:3]
	v_alignbit_b32 v8, v12, v6, v13
	v_cndmask_b32_e32 v3, v7, v3, vcc
	v_cndmask_b32_e64 v8, v8, v12, s[4:5]
	v_bfe_u32 v14, v9, 29, 1
	v_cndmask_b32_e64 v3, v4, v3, s[0:1]
	v_alignbit_b32 v11, v9, v8, 30
	v_sub_u32_e32 v15, 0, v14
	v_cndmask_b32_e64 v3, v5, v3, s[2:3]
	v_xor_b32_e32 v11, v11, v15
	v_alignbit_b32 v4, v6, v3, v13
	v_cndmask_b32_e64 v4, v4, v6, s[4:5]
	v_ffbh_u32_e32 v6, v11
	v_alignbit_b32 v5, v8, v4, 30
	v_min_u32_e32 v6, 32, v6
	v_alignbit_b32 v3, v4, v3, 30
	v_xor_b32_e32 v5, v5, v15
	v_sub_u32_e32 v7, 31, v6
	v_xor_b32_e32 v3, v3, v15
	v_alignbit_b32 v8, v11, v5, v7
	v_alignbit_b32 v3, v5, v3, v7
	;; [unrolled: 1-line block ×3, first 2 shown]
	v_ffbh_u32_e32 v5, v4
	v_min_u32_e32 v5, 32, v5
	v_lshrrev_b32_e32 v12, 29, v9
	v_not_b32_e32 v7, v5
	v_alignbit_b32 v3, v4, v3, v7
	v_lshlrev_b32_e32 v4, 31, v12
	v_or_b32_e32 v7, 0x33000000, v4
	v_add_lshl_u32 v5, v5, v6, 23
	v_lshrrev_b32_e32 v3, 9, v3
	v_sub_u32_e32 v5, v7, v5
	v_or_b32_e32 v4, 0.5, v4
	v_lshlrev_b32_e32 v6, 23, v6
	v_or_b32_e32 v3, v5, v3
	v_lshrrev_b32_e32 v5, 9, v8
	v_sub_u32_e32 v4, v4, v6
	v_or_b32_e32 v4, v5, v4
	s_mov_b32 s0, 0x3fc90fda
	v_mul_f32_e32 v5, 0x3fc90fda, v4
	v_fma_f32 v6, v4, s0, -v5
	v_fmac_f32_e32 v6, 0x33a22168, v4
	v_fmac_f32_e32 v6, 0x3fc90fda, v3
	v_lshrrev_b32_e32 v3, 30, v9
	v_add_f32_e32 v4, v5, v6
	v_add_u32_e32 v3, v14, v3
.LBB33_212:
	s_andn2_saveexec_b64 s[0:1], s[6:7]
	s_cbranch_execz .LBB33_214
; %bb.213:
	s_mov_b32 s2, 0x3f22f983
	v_mul_f32_e64 v3, |v1|, s2
	v_rndne_f32_e32 v5, v3
	s_mov_b32 s2, 0xbfc90fda
	v_cvt_i32_f32_e32 v3, v5
	v_fma_f32 v4, v5, s2, |v1|
	v_fmac_f32_e32 v4, 0xb3a22168, v5
	v_fmac_f32_e32 v4, 0xa7c234c4, v5
.LBB33_214:
	s_or_b64 exec, exec, s[0:1]
	v_mul_f32_e32 v5, v4, v4
	v_mov_b32_e32 v6, 0x3c0881c4
	v_fmac_f32_e32 v6, 0xb94c1982, v5
	v_mov_b32_e32 v7, 0xbe2aaa9d
	v_fmac_f32_e32 v7, v5, v6
	v_mul_f32_e32 v6, v5, v7
	v_fmac_f32_e32 v4, v4, v6
	v_mov_b32_e32 v6, 0xbab64f3b
	v_fmac_f32_e32 v6, 0x37d75334, v5
	v_mov_b32_e32 v7, 0x3d2aabf7
	;; [unrolled: 2-line block ×3, first 2 shown]
	v_fmac_f32_e32 v6, v5, v7
	v_fma_f32 v5, v5, v6, 1.0
	v_and_b32_e32 v6, 1, v3
	v_lshlrev_b32_e32 v3, 30, v3
	v_cmp_eq_u32_e32 vcc, 0, v6
	v_and_b32_e32 v3, 0x80000000, v3
	v_cndmask_b32_e32 v4, v5, v4, vcc
	v_xor_b32_e32 v2, v2, v3
	v_xor_b32_e32 v2, v2, v4
	s_movk_i32 s0, 0x1f8
	v_xor_b32_e32 v2, v2, v1
	v_mov_b32_e32 v3, 0x7fc00000
	v_cmp_class_f32_e64 vcc, v1, s0
	v_cndmask_b32_e32 v1, v3, v2, vcc
	v_bfe_u32 v2, v1, 16, 1
	s_movk_i32 s0, 0x7fff
	v_add3_u32 v2, v1, v2, s0
	v_cmp_o_f32_e32 vcc, v1, v1
	v_mov_b32_e32 v1, 0x7fc0
	v_cndmask_b32_sdwa v1, v1, v2, vcc dst_sel:DWORD dst_unused:UNUSED_PAD src0_sel:DWORD src1_sel:WORD_1
	v_add_u32_e32 v10, 0x80, v10
	global_store_short v0, v1, s[16:17]
	s_or_b64 exec, exec, s[48:49]
	v_cmp_gt_i32_e32 vcc, s55, v10
	s_and_saveexec_b64 s[48:49], vcc
	s_cbranch_execnz .LBB33_196
.LBB33_215:
	s_or_b64 exec, exec, s[48:49]
	v_cmp_gt_i32_e32 vcc, s55, v10
	s_and_saveexec_b64 s[48:49], vcc
	s_cbranch_execz .LBB33_235
.LBB33_216:
	s_andn2_b64 vcc, exec, s[36:37]
	s_cbranch_vccnz .LBB33_221
; %bb.217:
	s_andn2_b64 vcc, exec, s[46:47]
	s_cbranch_vccnz .LBB33_222
; %bb.218:
	s_add_i32 s58, s56, 1
	s_cmp_eq_u32 s54, 2
	s_cbranch_scc1 .LBB33_243
; %bb.219:
	s_and_b32 s57, s58, 28
	v_mov_b32_e32 v2, 0
	s_mov_b32 s59, 0
	s_mov_b64 s[50:51], s[34:35]
	s_mov_b64 s[52:53], s[44:45]
	v_mov_b32_e32 v0, 0
	v_mov_b32_e32 v1, v10
.LBB33_220:                             ; =>This Inner Loop Header: Depth=1
	s_load_dwordx8 s[8:15], s[50:51], 0x4
	s_load_dwordx4 s[28:31], s[50:51], 0x24
	s_load_dwordx8 s[0:7], s[52:53], 0x0
	s_add_u32 s50, s50, 48
	s_addc_u32 s51, s51, 0
	s_waitcnt lgkmcnt(0)
	v_mul_hi_u32 v3, s9, v1
	s_add_i32 s59, s59, 4
	s_add_u32 s52, s52, 32
	s_addc_u32 s53, s53, 0
	v_add_u32_e32 v3, v1, v3
	v_lshrrev_b32_e32 v3, s10, v3
	v_mul_lo_u32 v4, v3, s8
	v_mul_hi_u32 v5, s12, v3
	s_cmp_eq_u32 s57, s59
	v_sub_u32_e32 v1, v1, v4
	v_add_u32_e32 v4, v3, v5
	v_mul_lo_u32 v5, v1, s0
	v_mul_lo_u32 v6, v1, s1
	v_lshrrev_b32_e32 v1, s13, v4
	v_mul_lo_u32 v4, v1, s11
	v_mul_hi_u32 v7, s15, v1
	v_sub_u32_e32 v3, v3, v4
	v_add_u32_e32 v4, v1, v7
	v_lshrrev_b32_e32 v4, s28, v4
	v_mul_hi_u32 v8, s30, v4
	v_mul_lo_u32 v9, v4, s14
	v_mul_lo_u32 v7, v3, s2
	;; [unrolled: 1-line block ×3, first 2 shown]
	v_sub_u32_e32 v9, v1, v9
	v_add_u32_e32 v1, v4, v8
	v_lshrrev_b32_e32 v1, s31, v1
	v_mul_lo_u32 v8, v1, s29
	v_mul_lo_u32 v11, v9, s4
	;; [unrolled: 1-line block ×3, first 2 shown]
	v_add3_u32 v0, v5, v0, v7
	v_sub_u32_e32 v4, v4, v8
	v_mul_lo_u32 v8, v4, s6
	v_mul_lo_u32 v4, v4, s7
	v_add3_u32 v2, v6, v2, v3
	v_add3_u32 v0, v11, v0, v8
	;; [unrolled: 1-line block ×3, first 2 shown]
	s_cbranch_scc0 .LBB33_220
	s_branch .LBB33_244
.LBB33_221:
                                        ; implicit-def: $vgpr0
                                        ; implicit-def: $vgpr2
	s_branch .LBB33_248
.LBB33_222:
	v_mov_b32_e32 v0, 0
	v_mov_b32_e32 v2, 0
	s_branch .LBB33_247
.LBB33_223:
	s_mov_b32 s57, 0
	v_mov_b32_e32 v0, 0
	v_mov_b32_e32 v2, 0
	;; [unrolled: 1-line block ×3, first 2 shown]
.LBB33_224:
	s_and_b32 s4, s58, 3
	s_cmp_eq_u32 s4, 0
	s_cbranch_scc1 .LBB33_227
; %bb.225:
	s_lshl_b32 s0, s57, 3
	s_add_u32 s0, s34, s0
	s_addc_u32 s1, s35, 0
	s_add_u32 s0, s0, 0xc4
	s_addc_u32 s1, s1, 0
	s_mul_i32 s2, s57, 12
	s_add_u32 s2, s34, s2
	s_addc_u32 s3, s35, 0
.LBB33_226:                             ; =>This Inner Loop Header: Depth=1
	s_load_dwordx2 s[6:7], s[2:3], 0x4
	s_load_dword s5, s[2:3], 0xc
	s_load_dwordx2 s[8:9], s[0:1], 0x0
	s_add_u32 s2, s2, 12
	s_addc_u32 s3, s3, 0
	s_waitcnt lgkmcnt(0)
	v_mul_hi_u32 v3, s7, v1
	s_add_u32 s0, s0, 8
	s_addc_u32 s1, s1, 0
	s_add_i32 s4, s4, -1
	v_add_u32_e32 v3, v1, v3
	v_lshrrev_b32_e32 v4, s5, v3
	v_mul_lo_u32 v3, v4, s6
	s_cmp_lg_u32 s4, 0
	v_sub_u32_e32 v3, v1, v3
	v_mad_u64_u32 v[0:1], s[6:7], v3, s8, v[0:1]
	v_mad_u64_u32 v[2:3], s[6:7], v3, s9, v[2:3]
	v_mov_b32_e32 v1, v4
	s_cbranch_scc1 .LBB33_226
.LBB33_227:
	s_cbranch_execnz .LBB33_230
.LBB33_228:
	s_waitcnt lgkmcnt(0)
	v_mul_hi_u32 v0, s25, v10
	s_andn2_b64 vcc, exec, s[42:43]
	v_add_u32_e32 v0, v10, v0
	v_lshrrev_b32_e32 v1, s26, v0
	v_mul_lo_u32 v0, v1, s24
	v_sub_u32_e32 v2, v10, v0
	v_mul_lo_u32 v0, v2, s20
	v_mul_lo_u32 v2, v2, s21
	s_cbranch_vccnz .LBB33_230
; %bb.229:
	v_mul_hi_u32 v3, s40, v1
	v_add_u32_e32 v3, v1, v3
	v_lshrrev_b32_e32 v3, s41, v3
	v_mul_lo_u32 v3, v3, s27
	v_sub_u32_e32 v3, v1, v3
	v_mad_u64_u32 v[0:1], s[0:1], v3, s22, v[0:1]
	v_mad_u64_u32 v[2:3], s[0:1], v3, s23, v[2:3]
.LBB33_230:
	s_waitcnt lgkmcnt(0)
	global_load_ushort v1, v2, s[18:19]
	s_brev_b32 s0, 18
                                        ; implicit-def: $vgpr3
                                        ; implicit-def: $vgpr4
	s_waitcnt vmcnt(0)
	v_lshlrev_b32_e32 v1, 16, v1
	v_and_b32_e32 v2, 0x7fffffff, v1
	v_cmp_nlt_f32_e64 s[0:1], |v1|, s0
	s_and_saveexec_b64 s[2:3], s[0:1]
	s_xor_b64 s[6:7], exec, s[2:3]
	s_cbranch_execz .LBB33_232
; %bb.231:
	v_and_b32_e32 v3, 0x7fffff, v2
	v_or_b32_e32 v14, 0x800000, v3
	s_mov_b32 s0, 0xfe5163ab
	v_mad_u64_u32 v[3:4], s[0:1], v14, s0, 0
	v_mov_b32_e32 v5, 0
	s_mov_b32 s0, 0x3c439041
	v_mad_u64_u32 v[6:7], s[0:1], v14, s0, v[4:5]
	s_mov_b32 s0, 0xdb629599
	v_not_b32_e32 v13, 63
	v_mov_b32_e32 v4, v7
	v_mad_u64_u32 v[7:8], s[0:1], v14, s0, v[4:5]
	s_mov_b32 s0, 0xf534ddc0
	s_mov_b32 s2, 0xa2f9836e
	v_mov_b32_e32 v4, v8
	v_mad_u64_u32 v[8:9], s[0:1], v14, s0, v[4:5]
	v_lshrrev_b32_e32 v4, 23, v2
	v_add_u32_e32 v15, 0xffffff88, v4
	v_mov_b32_e32 v4, v9
	s_mov_b32 s0, 0xfc2757d1
	v_mad_u64_u32 v[11:12], s[0:1], v14, s0, v[4:5]
	v_cmp_lt_u32_e32 vcc, 63, v15
	v_cndmask_b32_e32 v4, 0, v13, vcc
	v_add_u32_e32 v9, v4, v15
	v_mov_b32_e32 v4, v12
	s_mov_b32 s0, 0x4e441529
	v_mad_u64_u32 v[12:13], s[0:1], v14, s0, v[4:5]
	v_not_b32_e32 v15, 31
	v_cmp_lt_u32_e64 s[0:1], 31, v9
	v_cndmask_b32_e64 v4, 0, v15, s[0:1]
	v_add_u32_e32 v9, v4, v9
	v_mov_b32_e32 v4, v13
	v_mad_u64_u32 v[4:5], s[2:3], v14, s2, v[4:5]
	v_cmp_lt_u32_e64 s[2:3], 31, v9
	v_cndmask_b32_e64 v13, 0, v15, s[2:3]
	v_add_u32_e32 v9, v13, v9
	v_cndmask_b32_e32 v13, v12, v8, vcc
	v_cndmask_b32_e32 v4, v4, v11, vcc
	;; [unrolled: 1-line block ×3, first 2 shown]
	v_cndmask_b32_e64 v14, v4, v13, s[0:1]
	v_cndmask_b32_e64 v4, v5, v4, s[0:1]
	v_cndmask_b32_e32 v5, v11, v7, vcc
	v_cndmask_b32_e64 v11, v13, v5, s[0:1]
	v_cndmask_b32_e64 v4, v4, v14, s[2:3]
	v_cndmask_b32_e64 v12, v14, v11, s[2:3]
	v_sub_u32_e32 v13, 32, v9
	v_alignbit_b32 v14, v4, v12, v13
	v_cmp_eq_u32_e64 s[4:5], 0, v9
	v_cndmask_b32_e64 v9, v14, v4, s[4:5]
	v_cndmask_b32_e32 v4, v8, v6, vcc
	v_cndmask_b32_e64 v5, v5, v4, s[0:1]
	v_cndmask_b32_e64 v6, v11, v5, s[2:3]
	v_alignbit_b32 v8, v12, v6, v13
	v_cndmask_b32_e32 v3, v7, v3, vcc
	v_cndmask_b32_e64 v8, v8, v12, s[4:5]
	v_bfe_u32 v14, v9, 29, 1
	v_cndmask_b32_e64 v3, v4, v3, s[0:1]
	v_alignbit_b32 v11, v9, v8, 30
	v_sub_u32_e32 v15, 0, v14
	v_cndmask_b32_e64 v3, v5, v3, s[2:3]
	v_xor_b32_e32 v11, v11, v15
	v_alignbit_b32 v4, v6, v3, v13
	v_cndmask_b32_e64 v4, v4, v6, s[4:5]
	v_ffbh_u32_e32 v6, v11
	v_alignbit_b32 v5, v8, v4, 30
	v_min_u32_e32 v6, 32, v6
	v_alignbit_b32 v3, v4, v3, 30
	v_xor_b32_e32 v5, v5, v15
	v_sub_u32_e32 v7, 31, v6
	v_xor_b32_e32 v3, v3, v15
	v_alignbit_b32 v8, v11, v5, v7
	v_alignbit_b32 v3, v5, v3, v7
	;; [unrolled: 1-line block ×3, first 2 shown]
	v_ffbh_u32_e32 v5, v4
	v_min_u32_e32 v5, 32, v5
	v_lshrrev_b32_e32 v12, 29, v9
	v_not_b32_e32 v7, v5
	v_alignbit_b32 v3, v4, v3, v7
	v_lshlrev_b32_e32 v4, 31, v12
	v_or_b32_e32 v7, 0x33000000, v4
	v_add_lshl_u32 v5, v5, v6, 23
	v_lshrrev_b32_e32 v3, 9, v3
	v_sub_u32_e32 v5, v7, v5
	v_or_b32_e32 v4, 0.5, v4
	v_lshlrev_b32_e32 v6, 23, v6
	v_or_b32_e32 v3, v5, v3
	v_lshrrev_b32_e32 v5, 9, v8
	v_sub_u32_e32 v4, v4, v6
	v_or_b32_e32 v4, v5, v4
	s_mov_b32 s0, 0x3fc90fda
	v_mul_f32_e32 v5, 0x3fc90fda, v4
	v_fma_f32 v6, v4, s0, -v5
	v_fmac_f32_e32 v6, 0x33a22168, v4
	v_fmac_f32_e32 v6, 0x3fc90fda, v3
	v_lshrrev_b32_e32 v3, 30, v9
	v_add_f32_e32 v4, v5, v6
	v_add_u32_e32 v3, v14, v3
.LBB33_232:
	s_andn2_saveexec_b64 s[0:1], s[6:7]
	s_cbranch_execz .LBB33_234
; %bb.233:
	s_mov_b32 s2, 0x3f22f983
	v_mul_f32_e64 v3, |v1|, s2
	v_rndne_f32_e32 v5, v3
	s_mov_b32 s2, 0xbfc90fda
	v_cvt_i32_f32_e32 v3, v5
	v_fma_f32 v4, v5, s2, |v1|
	v_fmac_f32_e32 v4, 0xb3a22168, v5
	v_fmac_f32_e32 v4, 0xa7c234c4, v5
.LBB33_234:
	s_or_b64 exec, exec, s[0:1]
	v_mul_f32_e32 v5, v4, v4
	v_mov_b32_e32 v6, 0x3c0881c4
	v_fmac_f32_e32 v6, 0xb94c1982, v5
	v_mov_b32_e32 v7, 0xbe2aaa9d
	v_fmac_f32_e32 v7, v5, v6
	v_mul_f32_e32 v6, v5, v7
	v_fmac_f32_e32 v4, v4, v6
	v_mov_b32_e32 v6, 0xbab64f3b
	v_fmac_f32_e32 v6, 0x37d75334, v5
	v_mov_b32_e32 v7, 0x3d2aabf7
	;; [unrolled: 2-line block ×3, first 2 shown]
	v_fmac_f32_e32 v6, v5, v7
	v_fma_f32 v5, v5, v6, 1.0
	v_and_b32_e32 v6, 1, v3
	v_lshlrev_b32_e32 v3, 30, v3
	v_cmp_eq_u32_e32 vcc, 0, v6
	v_and_b32_e32 v3, 0x80000000, v3
	v_cndmask_b32_e32 v4, v5, v4, vcc
	v_xor_b32_e32 v2, v2, v3
	v_xor_b32_e32 v2, v2, v4
	s_movk_i32 s0, 0x1f8
	v_xor_b32_e32 v2, v2, v1
	v_mov_b32_e32 v3, 0x7fc00000
	v_cmp_class_f32_e64 vcc, v1, s0
	v_cndmask_b32_e32 v1, v3, v2, vcc
	v_bfe_u32 v2, v1, 16, 1
	s_movk_i32 s0, 0x7fff
	v_add3_u32 v2, v1, v2, s0
	v_cmp_o_f32_e32 vcc, v1, v1
	v_mov_b32_e32 v1, 0x7fc0
	v_cndmask_b32_sdwa v1, v1, v2, vcc dst_sel:DWORD dst_unused:UNUSED_PAD src0_sel:DWORD src1_sel:WORD_1
	v_add_u32_e32 v10, 0x80, v10
	global_store_short v0, v1, s[16:17]
	s_or_b64 exec, exec, s[48:49]
	v_cmp_gt_i32_e32 vcc, s55, v10
	s_and_saveexec_b64 s[48:49], vcc
	s_cbranch_execnz .LBB33_216
.LBB33_235:
	s_or_b64 exec, exec, s[48:49]
	v_cmp_gt_i32_e32 vcc, s55, v10
	s_and_saveexec_b64 s[48:49], vcc
	s_cbranch_execz .LBB33_255
.LBB33_236:
	s_andn2_b64 vcc, exec, s[36:37]
	s_cbranch_vccnz .LBB33_241
; %bb.237:
	s_andn2_b64 vcc, exec, s[46:47]
	s_cbranch_vccnz .LBB33_242
; %bb.238:
	s_add_i32 s58, s56, 1
	s_cmp_eq_u32 s54, 2
	s_cbranch_scc1 .LBB33_263
; %bb.239:
	s_and_b32 s57, s58, 28
	v_mov_b32_e32 v2, 0
	s_mov_b32 s59, 0
	s_mov_b64 s[50:51], s[34:35]
	s_mov_b64 s[52:53], s[44:45]
	v_mov_b32_e32 v0, 0
	v_mov_b32_e32 v1, v10
.LBB33_240:                             ; =>This Inner Loop Header: Depth=1
	s_load_dwordx8 s[8:15], s[50:51], 0x4
	s_load_dwordx4 s[28:31], s[50:51], 0x24
	s_load_dwordx8 s[0:7], s[52:53], 0x0
	s_add_u32 s50, s50, 48
	s_addc_u32 s51, s51, 0
	s_waitcnt lgkmcnt(0)
	v_mul_hi_u32 v3, s9, v1
	s_add_i32 s59, s59, 4
	s_add_u32 s52, s52, 32
	s_addc_u32 s53, s53, 0
	v_add_u32_e32 v3, v1, v3
	v_lshrrev_b32_e32 v3, s10, v3
	v_mul_lo_u32 v4, v3, s8
	v_mul_hi_u32 v5, s12, v3
	s_cmp_eq_u32 s57, s59
	v_sub_u32_e32 v1, v1, v4
	v_add_u32_e32 v4, v3, v5
	v_mul_lo_u32 v5, v1, s0
	v_mul_lo_u32 v6, v1, s1
	v_lshrrev_b32_e32 v1, s13, v4
	v_mul_lo_u32 v4, v1, s11
	v_mul_hi_u32 v7, s15, v1
	v_sub_u32_e32 v3, v3, v4
	v_add_u32_e32 v4, v1, v7
	v_lshrrev_b32_e32 v4, s28, v4
	v_mul_hi_u32 v8, s30, v4
	v_mul_lo_u32 v9, v4, s14
	v_mul_lo_u32 v7, v3, s2
	;; [unrolled: 1-line block ×3, first 2 shown]
	v_sub_u32_e32 v9, v1, v9
	v_add_u32_e32 v1, v4, v8
	v_lshrrev_b32_e32 v1, s31, v1
	v_mul_lo_u32 v8, v1, s29
	v_mul_lo_u32 v11, v9, s4
	;; [unrolled: 1-line block ×3, first 2 shown]
	v_add3_u32 v0, v5, v0, v7
	v_sub_u32_e32 v4, v4, v8
	v_mul_lo_u32 v8, v4, s6
	v_mul_lo_u32 v4, v4, s7
	v_add3_u32 v2, v6, v2, v3
	v_add3_u32 v0, v11, v0, v8
	;; [unrolled: 1-line block ×3, first 2 shown]
	s_cbranch_scc0 .LBB33_240
	s_branch .LBB33_264
.LBB33_241:
                                        ; implicit-def: $vgpr0
                                        ; implicit-def: $vgpr2
	s_branch .LBB33_268
.LBB33_242:
	v_mov_b32_e32 v0, 0
	v_mov_b32_e32 v2, 0
	s_branch .LBB33_267
.LBB33_243:
	s_mov_b32 s57, 0
	v_mov_b32_e32 v0, 0
	v_mov_b32_e32 v2, 0
	;; [unrolled: 1-line block ×3, first 2 shown]
.LBB33_244:
	s_and_b32 s4, s58, 3
	s_cmp_eq_u32 s4, 0
	s_cbranch_scc1 .LBB33_247
; %bb.245:
	s_lshl_b32 s0, s57, 3
	s_add_u32 s0, s34, s0
	s_addc_u32 s1, s35, 0
	s_add_u32 s0, s0, 0xc4
	s_addc_u32 s1, s1, 0
	s_mul_i32 s2, s57, 12
	s_add_u32 s2, s34, s2
	s_addc_u32 s3, s35, 0
.LBB33_246:                             ; =>This Inner Loop Header: Depth=1
	s_load_dwordx2 s[6:7], s[2:3], 0x4
	s_load_dword s5, s[2:3], 0xc
	s_load_dwordx2 s[8:9], s[0:1], 0x0
	s_add_u32 s2, s2, 12
	s_addc_u32 s3, s3, 0
	s_waitcnt lgkmcnt(0)
	v_mul_hi_u32 v3, s7, v1
	s_add_u32 s0, s0, 8
	s_addc_u32 s1, s1, 0
	s_add_i32 s4, s4, -1
	v_add_u32_e32 v3, v1, v3
	v_lshrrev_b32_e32 v4, s5, v3
	v_mul_lo_u32 v3, v4, s6
	s_cmp_lg_u32 s4, 0
	v_sub_u32_e32 v3, v1, v3
	v_mad_u64_u32 v[0:1], s[6:7], v3, s8, v[0:1]
	v_mad_u64_u32 v[2:3], s[6:7], v3, s9, v[2:3]
	v_mov_b32_e32 v1, v4
	s_cbranch_scc1 .LBB33_246
.LBB33_247:
	s_cbranch_execnz .LBB33_250
.LBB33_248:
	s_waitcnt lgkmcnt(0)
	v_mul_hi_u32 v0, s25, v10
	s_andn2_b64 vcc, exec, s[42:43]
	v_add_u32_e32 v0, v10, v0
	v_lshrrev_b32_e32 v1, s26, v0
	v_mul_lo_u32 v0, v1, s24
	v_sub_u32_e32 v2, v10, v0
	v_mul_lo_u32 v0, v2, s20
	v_mul_lo_u32 v2, v2, s21
	s_cbranch_vccnz .LBB33_250
; %bb.249:
	v_mul_hi_u32 v3, s40, v1
	v_add_u32_e32 v3, v1, v3
	v_lshrrev_b32_e32 v3, s41, v3
	v_mul_lo_u32 v3, v3, s27
	v_sub_u32_e32 v3, v1, v3
	v_mad_u64_u32 v[0:1], s[0:1], v3, s22, v[0:1]
	v_mad_u64_u32 v[2:3], s[0:1], v3, s23, v[2:3]
.LBB33_250:
	s_waitcnt lgkmcnt(0)
	global_load_ushort v1, v2, s[18:19]
	s_brev_b32 s0, 18
                                        ; implicit-def: $vgpr3
                                        ; implicit-def: $vgpr4
	s_waitcnt vmcnt(0)
	v_lshlrev_b32_e32 v1, 16, v1
	v_and_b32_e32 v2, 0x7fffffff, v1
	v_cmp_nlt_f32_e64 s[0:1], |v1|, s0
	s_and_saveexec_b64 s[2:3], s[0:1]
	s_xor_b64 s[6:7], exec, s[2:3]
	s_cbranch_execz .LBB33_252
; %bb.251:
	v_and_b32_e32 v3, 0x7fffff, v2
	v_or_b32_e32 v14, 0x800000, v3
	s_mov_b32 s0, 0xfe5163ab
	v_mad_u64_u32 v[3:4], s[0:1], v14, s0, 0
	v_mov_b32_e32 v5, 0
	s_mov_b32 s0, 0x3c439041
	v_mad_u64_u32 v[6:7], s[0:1], v14, s0, v[4:5]
	s_mov_b32 s0, 0xdb629599
	v_not_b32_e32 v13, 63
	v_mov_b32_e32 v4, v7
	v_mad_u64_u32 v[7:8], s[0:1], v14, s0, v[4:5]
	s_mov_b32 s0, 0xf534ddc0
	s_mov_b32 s2, 0xa2f9836e
	v_mov_b32_e32 v4, v8
	v_mad_u64_u32 v[8:9], s[0:1], v14, s0, v[4:5]
	v_lshrrev_b32_e32 v4, 23, v2
	v_add_u32_e32 v15, 0xffffff88, v4
	v_mov_b32_e32 v4, v9
	s_mov_b32 s0, 0xfc2757d1
	v_mad_u64_u32 v[11:12], s[0:1], v14, s0, v[4:5]
	v_cmp_lt_u32_e32 vcc, 63, v15
	v_cndmask_b32_e32 v4, 0, v13, vcc
	v_add_u32_e32 v9, v4, v15
	v_mov_b32_e32 v4, v12
	s_mov_b32 s0, 0x4e441529
	v_mad_u64_u32 v[12:13], s[0:1], v14, s0, v[4:5]
	v_not_b32_e32 v15, 31
	v_cmp_lt_u32_e64 s[0:1], 31, v9
	v_cndmask_b32_e64 v4, 0, v15, s[0:1]
	v_add_u32_e32 v9, v4, v9
	v_mov_b32_e32 v4, v13
	v_mad_u64_u32 v[4:5], s[2:3], v14, s2, v[4:5]
	v_cmp_lt_u32_e64 s[2:3], 31, v9
	v_cndmask_b32_e64 v13, 0, v15, s[2:3]
	v_add_u32_e32 v9, v13, v9
	v_cndmask_b32_e32 v13, v12, v8, vcc
	v_cndmask_b32_e32 v4, v4, v11, vcc
	;; [unrolled: 1-line block ×3, first 2 shown]
	v_cndmask_b32_e64 v14, v4, v13, s[0:1]
	v_cndmask_b32_e64 v4, v5, v4, s[0:1]
	v_cndmask_b32_e32 v5, v11, v7, vcc
	v_cndmask_b32_e64 v11, v13, v5, s[0:1]
	v_cndmask_b32_e64 v4, v4, v14, s[2:3]
	;; [unrolled: 1-line block ×3, first 2 shown]
	v_sub_u32_e32 v13, 32, v9
	v_alignbit_b32 v14, v4, v12, v13
	v_cmp_eq_u32_e64 s[4:5], 0, v9
	v_cndmask_b32_e64 v9, v14, v4, s[4:5]
	v_cndmask_b32_e32 v4, v8, v6, vcc
	v_cndmask_b32_e64 v5, v5, v4, s[0:1]
	v_cndmask_b32_e64 v6, v11, v5, s[2:3]
	v_alignbit_b32 v8, v12, v6, v13
	v_cndmask_b32_e32 v3, v7, v3, vcc
	v_cndmask_b32_e64 v8, v8, v12, s[4:5]
	v_bfe_u32 v14, v9, 29, 1
	v_cndmask_b32_e64 v3, v4, v3, s[0:1]
	v_alignbit_b32 v11, v9, v8, 30
	v_sub_u32_e32 v15, 0, v14
	v_cndmask_b32_e64 v3, v5, v3, s[2:3]
	v_xor_b32_e32 v11, v11, v15
	v_alignbit_b32 v4, v6, v3, v13
	v_cndmask_b32_e64 v4, v4, v6, s[4:5]
	v_ffbh_u32_e32 v6, v11
	v_alignbit_b32 v5, v8, v4, 30
	v_min_u32_e32 v6, 32, v6
	v_alignbit_b32 v3, v4, v3, 30
	v_xor_b32_e32 v5, v5, v15
	v_sub_u32_e32 v7, 31, v6
	v_xor_b32_e32 v3, v3, v15
	v_alignbit_b32 v8, v11, v5, v7
	v_alignbit_b32 v3, v5, v3, v7
	;; [unrolled: 1-line block ×3, first 2 shown]
	v_ffbh_u32_e32 v5, v4
	v_min_u32_e32 v5, 32, v5
	v_lshrrev_b32_e32 v12, 29, v9
	v_not_b32_e32 v7, v5
	v_alignbit_b32 v3, v4, v3, v7
	v_lshlrev_b32_e32 v4, 31, v12
	v_or_b32_e32 v7, 0x33000000, v4
	v_add_lshl_u32 v5, v5, v6, 23
	v_lshrrev_b32_e32 v3, 9, v3
	v_sub_u32_e32 v5, v7, v5
	v_or_b32_e32 v4, 0.5, v4
	v_lshlrev_b32_e32 v6, 23, v6
	v_or_b32_e32 v3, v5, v3
	v_lshrrev_b32_e32 v5, 9, v8
	v_sub_u32_e32 v4, v4, v6
	v_or_b32_e32 v4, v5, v4
	s_mov_b32 s0, 0x3fc90fda
	v_mul_f32_e32 v5, 0x3fc90fda, v4
	v_fma_f32 v6, v4, s0, -v5
	v_fmac_f32_e32 v6, 0x33a22168, v4
	v_fmac_f32_e32 v6, 0x3fc90fda, v3
	v_lshrrev_b32_e32 v3, 30, v9
	v_add_f32_e32 v4, v5, v6
	v_add_u32_e32 v3, v14, v3
.LBB33_252:
	s_andn2_saveexec_b64 s[0:1], s[6:7]
	s_cbranch_execz .LBB33_254
; %bb.253:
	s_mov_b32 s2, 0x3f22f983
	v_mul_f32_e64 v3, |v1|, s2
	v_rndne_f32_e32 v5, v3
	s_mov_b32 s2, 0xbfc90fda
	v_cvt_i32_f32_e32 v3, v5
	v_fma_f32 v4, v5, s2, |v1|
	v_fmac_f32_e32 v4, 0xb3a22168, v5
	v_fmac_f32_e32 v4, 0xa7c234c4, v5
.LBB33_254:
	s_or_b64 exec, exec, s[0:1]
	v_mul_f32_e32 v5, v4, v4
	v_mov_b32_e32 v6, 0x3c0881c4
	v_fmac_f32_e32 v6, 0xb94c1982, v5
	v_mov_b32_e32 v7, 0xbe2aaa9d
	v_fmac_f32_e32 v7, v5, v6
	v_mul_f32_e32 v6, v5, v7
	v_fmac_f32_e32 v4, v4, v6
	v_mov_b32_e32 v6, 0xbab64f3b
	v_fmac_f32_e32 v6, 0x37d75334, v5
	v_mov_b32_e32 v7, 0x3d2aabf7
	;; [unrolled: 2-line block ×3, first 2 shown]
	v_fmac_f32_e32 v6, v5, v7
	v_fma_f32 v5, v5, v6, 1.0
	v_and_b32_e32 v6, 1, v3
	v_lshlrev_b32_e32 v3, 30, v3
	v_cmp_eq_u32_e32 vcc, 0, v6
	v_and_b32_e32 v3, 0x80000000, v3
	v_cndmask_b32_e32 v4, v5, v4, vcc
	v_xor_b32_e32 v2, v2, v3
	v_xor_b32_e32 v2, v2, v4
	s_movk_i32 s0, 0x1f8
	v_xor_b32_e32 v2, v2, v1
	v_mov_b32_e32 v3, 0x7fc00000
	v_cmp_class_f32_e64 vcc, v1, s0
	v_cndmask_b32_e32 v1, v3, v2, vcc
	v_bfe_u32 v2, v1, 16, 1
	s_movk_i32 s0, 0x7fff
	v_add3_u32 v2, v1, v2, s0
	v_cmp_o_f32_e32 vcc, v1, v1
	v_mov_b32_e32 v1, 0x7fc0
	v_cndmask_b32_sdwa v1, v1, v2, vcc dst_sel:DWORD dst_unused:UNUSED_PAD src0_sel:DWORD src1_sel:WORD_1
	v_add_u32_e32 v10, 0x80, v10
	global_store_short v0, v1, s[16:17]
	s_or_b64 exec, exec, s[48:49]
	v_cmp_gt_i32_e32 vcc, s55, v10
	s_and_saveexec_b64 s[48:49], vcc
	s_cbranch_execnz .LBB33_236
.LBB33_255:
	s_or_b64 exec, exec, s[48:49]
	v_cmp_gt_i32_e32 vcc, s55, v10
	s_and_saveexec_b64 s[48:49], vcc
	s_cbranch_execz .LBB33_275
.LBB33_256:
	s_andn2_b64 vcc, exec, s[36:37]
	s_cbranch_vccnz .LBB33_261
; %bb.257:
	s_andn2_b64 vcc, exec, s[46:47]
	s_cbranch_vccnz .LBB33_262
; %bb.258:
	s_add_i32 s58, s56, 1
	s_cmp_eq_u32 s54, 2
	s_cbranch_scc1 .LBB33_278
; %bb.259:
	s_and_b32 s57, s58, 28
	v_mov_b32_e32 v2, 0
	s_mov_b32 s59, 0
	s_mov_b64 s[50:51], s[34:35]
	s_mov_b64 s[52:53], s[44:45]
	v_mov_b32_e32 v0, 0
	v_mov_b32_e32 v1, v10
.LBB33_260:                             ; =>This Inner Loop Header: Depth=1
	s_load_dwordx8 s[8:15], s[50:51], 0x4
	s_load_dwordx4 s[28:31], s[50:51], 0x24
	s_load_dwordx8 s[0:7], s[52:53], 0x0
	s_add_u32 s50, s50, 48
	s_addc_u32 s51, s51, 0
	s_waitcnt lgkmcnt(0)
	v_mul_hi_u32 v3, s9, v1
	s_add_i32 s59, s59, 4
	s_add_u32 s52, s52, 32
	s_addc_u32 s53, s53, 0
	v_add_u32_e32 v3, v1, v3
	v_lshrrev_b32_e32 v3, s10, v3
	v_mul_lo_u32 v4, v3, s8
	v_mul_hi_u32 v5, s12, v3
	s_cmp_eq_u32 s57, s59
	v_sub_u32_e32 v1, v1, v4
	v_add_u32_e32 v4, v3, v5
	v_mul_lo_u32 v5, v1, s0
	v_mul_lo_u32 v6, v1, s1
	v_lshrrev_b32_e32 v1, s13, v4
	v_mul_lo_u32 v4, v1, s11
	v_mul_hi_u32 v7, s15, v1
	v_sub_u32_e32 v3, v3, v4
	v_add_u32_e32 v4, v1, v7
	v_lshrrev_b32_e32 v4, s28, v4
	v_mul_hi_u32 v8, s30, v4
	v_mul_lo_u32 v9, v4, s14
	v_mul_lo_u32 v7, v3, s2
	v_mul_lo_u32 v3, v3, s3
	v_sub_u32_e32 v9, v1, v9
	v_add_u32_e32 v1, v4, v8
	v_lshrrev_b32_e32 v1, s31, v1
	v_mul_lo_u32 v8, v1, s29
	v_mul_lo_u32 v11, v9, s4
	;; [unrolled: 1-line block ×3, first 2 shown]
	v_add3_u32 v0, v5, v0, v7
	v_sub_u32_e32 v4, v4, v8
	v_mul_lo_u32 v8, v4, s6
	v_mul_lo_u32 v4, v4, s7
	v_add3_u32 v2, v6, v2, v3
	v_add3_u32 v0, v11, v0, v8
	;; [unrolled: 1-line block ×3, first 2 shown]
	s_cbranch_scc0 .LBB33_260
	s_branch .LBB33_279
.LBB33_261:
                                        ; implicit-def: $vgpr0
                                        ; implicit-def: $vgpr2
	s_branch .LBB33_283
.LBB33_262:
	v_mov_b32_e32 v0, 0
	v_mov_b32_e32 v2, 0
	s_branch .LBB33_282
.LBB33_263:
	s_mov_b32 s57, 0
	v_mov_b32_e32 v0, 0
	v_mov_b32_e32 v2, 0
	;; [unrolled: 1-line block ×3, first 2 shown]
.LBB33_264:
	s_and_b32 s4, s58, 3
	s_cmp_eq_u32 s4, 0
	s_cbranch_scc1 .LBB33_267
; %bb.265:
	s_lshl_b32 s0, s57, 3
	s_add_u32 s0, s34, s0
	s_addc_u32 s1, s35, 0
	s_add_u32 s0, s0, 0xc4
	s_addc_u32 s1, s1, 0
	s_mul_i32 s2, s57, 12
	s_add_u32 s2, s34, s2
	s_addc_u32 s3, s35, 0
.LBB33_266:                             ; =>This Inner Loop Header: Depth=1
	s_load_dwordx2 s[6:7], s[2:3], 0x4
	s_load_dword s5, s[2:3], 0xc
	s_load_dwordx2 s[8:9], s[0:1], 0x0
	s_add_u32 s2, s2, 12
	s_addc_u32 s3, s3, 0
	s_waitcnt lgkmcnt(0)
	v_mul_hi_u32 v3, s7, v1
	s_add_u32 s0, s0, 8
	s_addc_u32 s1, s1, 0
	s_add_i32 s4, s4, -1
	v_add_u32_e32 v3, v1, v3
	v_lshrrev_b32_e32 v4, s5, v3
	v_mul_lo_u32 v3, v4, s6
	s_cmp_lg_u32 s4, 0
	v_sub_u32_e32 v3, v1, v3
	v_mad_u64_u32 v[0:1], s[6:7], v3, s8, v[0:1]
	v_mad_u64_u32 v[2:3], s[6:7], v3, s9, v[2:3]
	v_mov_b32_e32 v1, v4
	s_cbranch_scc1 .LBB33_266
.LBB33_267:
	s_cbranch_execnz .LBB33_270
.LBB33_268:
	s_waitcnt lgkmcnt(0)
	v_mul_hi_u32 v0, s25, v10
	s_andn2_b64 vcc, exec, s[42:43]
	v_add_u32_e32 v0, v10, v0
	v_lshrrev_b32_e32 v1, s26, v0
	v_mul_lo_u32 v0, v1, s24
	v_sub_u32_e32 v2, v10, v0
	v_mul_lo_u32 v0, v2, s20
	v_mul_lo_u32 v2, v2, s21
	s_cbranch_vccnz .LBB33_270
; %bb.269:
	v_mul_hi_u32 v3, s40, v1
	v_add_u32_e32 v3, v1, v3
	v_lshrrev_b32_e32 v3, s41, v3
	v_mul_lo_u32 v3, v3, s27
	v_sub_u32_e32 v3, v1, v3
	v_mad_u64_u32 v[0:1], s[0:1], v3, s22, v[0:1]
	v_mad_u64_u32 v[2:3], s[0:1], v3, s23, v[2:3]
.LBB33_270:
	s_waitcnt lgkmcnt(0)
	global_load_ushort v1, v2, s[18:19]
	s_brev_b32 s0, 18
                                        ; implicit-def: $vgpr3
                                        ; implicit-def: $vgpr4
	s_waitcnt vmcnt(0)
	v_lshlrev_b32_e32 v1, 16, v1
	v_and_b32_e32 v2, 0x7fffffff, v1
	v_cmp_nlt_f32_e64 s[0:1], |v1|, s0
	s_and_saveexec_b64 s[2:3], s[0:1]
	s_xor_b64 s[6:7], exec, s[2:3]
	s_cbranch_execz .LBB33_272
; %bb.271:
	v_and_b32_e32 v3, 0x7fffff, v2
	v_or_b32_e32 v14, 0x800000, v3
	s_mov_b32 s0, 0xfe5163ab
	v_mad_u64_u32 v[3:4], s[0:1], v14, s0, 0
	v_mov_b32_e32 v5, 0
	s_mov_b32 s0, 0x3c439041
	v_mad_u64_u32 v[6:7], s[0:1], v14, s0, v[4:5]
	s_mov_b32 s0, 0xdb629599
	v_not_b32_e32 v13, 63
	v_mov_b32_e32 v4, v7
	v_mad_u64_u32 v[7:8], s[0:1], v14, s0, v[4:5]
	s_mov_b32 s0, 0xf534ddc0
	s_mov_b32 s2, 0xa2f9836e
	v_mov_b32_e32 v4, v8
	v_mad_u64_u32 v[8:9], s[0:1], v14, s0, v[4:5]
	v_lshrrev_b32_e32 v4, 23, v2
	v_add_u32_e32 v15, 0xffffff88, v4
	v_mov_b32_e32 v4, v9
	s_mov_b32 s0, 0xfc2757d1
	v_mad_u64_u32 v[11:12], s[0:1], v14, s0, v[4:5]
	v_cmp_lt_u32_e32 vcc, 63, v15
	v_cndmask_b32_e32 v4, 0, v13, vcc
	v_add_u32_e32 v9, v4, v15
	v_mov_b32_e32 v4, v12
	s_mov_b32 s0, 0x4e441529
	v_mad_u64_u32 v[12:13], s[0:1], v14, s0, v[4:5]
	v_not_b32_e32 v15, 31
	v_cmp_lt_u32_e64 s[0:1], 31, v9
	v_cndmask_b32_e64 v4, 0, v15, s[0:1]
	v_add_u32_e32 v9, v4, v9
	v_mov_b32_e32 v4, v13
	v_mad_u64_u32 v[4:5], s[2:3], v14, s2, v[4:5]
	v_cmp_lt_u32_e64 s[2:3], 31, v9
	v_cndmask_b32_e64 v13, 0, v15, s[2:3]
	v_add_u32_e32 v9, v13, v9
	v_cndmask_b32_e32 v13, v12, v8, vcc
	v_cndmask_b32_e32 v4, v4, v11, vcc
	v_cndmask_b32_e32 v5, v5, v12, vcc
	v_cndmask_b32_e64 v14, v4, v13, s[0:1]
	v_cndmask_b32_e64 v4, v5, v4, s[0:1]
	v_cndmask_b32_e32 v5, v11, v7, vcc
	v_cndmask_b32_e64 v11, v13, v5, s[0:1]
	v_cndmask_b32_e64 v4, v4, v14, s[2:3]
	;; [unrolled: 1-line block ×3, first 2 shown]
	v_sub_u32_e32 v13, 32, v9
	v_alignbit_b32 v14, v4, v12, v13
	v_cmp_eq_u32_e64 s[4:5], 0, v9
	v_cndmask_b32_e64 v9, v14, v4, s[4:5]
	v_cndmask_b32_e32 v4, v8, v6, vcc
	v_cndmask_b32_e64 v5, v5, v4, s[0:1]
	v_cndmask_b32_e64 v6, v11, v5, s[2:3]
	v_alignbit_b32 v8, v12, v6, v13
	v_cndmask_b32_e32 v3, v7, v3, vcc
	v_cndmask_b32_e64 v8, v8, v12, s[4:5]
	v_bfe_u32 v14, v9, 29, 1
	v_cndmask_b32_e64 v3, v4, v3, s[0:1]
	v_alignbit_b32 v11, v9, v8, 30
	v_sub_u32_e32 v15, 0, v14
	v_cndmask_b32_e64 v3, v5, v3, s[2:3]
	v_xor_b32_e32 v11, v11, v15
	v_alignbit_b32 v4, v6, v3, v13
	v_cndmask_b32_e64 v4, v4, v6, s[4:5]
	v_ffbh_u32_e32 v6, v11
	v_alignbit_b32 v5, v8, v4, 30
	v_min_u32_e32 v6, 32, v6
	v_alignbit_b32 v3, v4, v3, 30
	v_xor_b32_e32 v5, v5, v15
	v_sub_u32_e32 v7, 31, v6
	v_xor_b32_e32 v3, v3, v15
	v_alignbit_b32 v8, v11, v5, v7
	v_alignbit_b32 v3, v5, v3, v7
	;; [unrolled: 1-line block ×3, first 2 shown]
	v_ffbh_u32_e32 v5, v4
	v_min_u32_e32 v5, 32, v5
	v_lshrrev_b32_e32 v12, 29, v9
	v_not_b32_e32 v7, v5
	v_alignbit_b32 v3, v4, v3, v7
	v_lshlrev_b32_e32 v4, 31, v12
	v_or_b32_e32 v7, 0x33000000, v4
	v_add_lshl_u32 v5, v5, v6, 23
	v_lshrrev_b32_e32 v3, 9, v3
	v_sub_u32_e32 v5, v7, v5
	v_or_b32_e32 v4, 0.5, v4
	v_lshlrev_b32_e32 v6, 23, v6
	v_or_b32_e32 v3, v5, v3
	v_lshrrev_b32_e32 v5, 9, v8
	v_sub_u32_e32 v4, v4, v6
	v_or_b32_e32 v4, v5, v4
	s_mov_b32 s0, 0x3fc90fda
	v_mul_f32_e32 v5, 0x3fc90fda, v4
	v_fma_f32 v6, v4, s0, -v5
	v_fmac_f32_e32 v6, 0x33a22168, v4
	v_fmac_f32_e32 v6, 0x3fc90fda, v3
	v_lshrrev_b32_e32 v3, 30, v9
	v_add_f32_e32 v4, v5, v6
	v_add_u32_e32 v3, v14, v3
.LBB33_272:
	s_andn2_saveexec_b64 s[0:1], s[6:7]
	s_cbranch_execz .LBB33_274
; %bb.273:
	s_mov_b32 s2, 0x3f22f983
	v_mul_f32_e64 v3, |v1|, s2
	v_rndne_f32_e32 v5, v3
	s_mov_b32 s2, 0xbfc90fda
	v_cvt_i32_f32_e32 v3, v5
	v_fma_f32 v4, v5, s2, |v1|
	v_fmac_f32_e32 v4, 0xb3a22168, v5
	v_fmac_f32_e32 v4, 0xa7c234c4, v5
.LBB33_274:
	s_or_b64 exec, exec, s[0:1]
	v_mul_f32_e32 v5, v4, v4
	v_mov_b32_e32 v6, 0x3c0881c4
	v_fmac_f32_e32 v6, 0xb94c1982, v5
	v_mov_b32_e32 v7, 0xbe2aaa9d
	v_fmac_f32_e32 v7, v5, v6
	v_mul_f32_e32 v6, v5, v7
	v_fmac_f32_e32 v4, v4, v6
	v_mov_b32_e32 v6, 0xbab64f3b
	v_fmac_f32_e32 v6, 0x37d75334, v5
	v_mov_b32_e32 v7, 0x3d2aabf7
	;; [unrolled: 2-line block ×3, first 2 shown]
	v_fmac_f32_e32 v6, v5, v7
	v_fma_f32 v5, v5, v6, 1.0
	v_and_b32_e32 v6, 1, v3
	v_lshlrev_b32_e32 v3, 30, v3
	v_cmp_eq_u32_e32 vcc, 0, v6
	v_and_b32_e32 v3, 0x80000000, v3
	v_cndmask_b32_e32 v4, v5, v4, vcc
	v_xor_b32_e32 v2, v2, v3
	v_xor_b32_e32 v2, v2, v4
	s_movk_i32 s0, 0x1f8
	v_xor_b32_e32 v2, v2, v1
	v_mov_b32_e32 v3, 0x7fc00000
	v_cmp_class_f32_e64 vcc, v1, s0
	v_cndmask_b32_e32 v1, v3, v2, vcc
	v_bfe_u32 v2, v1, 16, 1
	s_movk_i32 s0, 0x7fff
	v_add3_u32 v2, v1, v2, s0
	v_cmp_o_f32_e32 vcc, v1, v1
	v_mov_b32_e32 v1, 0x7fc0
	v_cndmask_b32_sdwa v1, v1, v2, vcc dst_sel:DWORD dst_unused:UNUSED_PAD src0_sel:DWORD src1_sel:WORD_1
	v_add_u32_e32 v10, 0x80, v10
	global_store_short v0, v1, s[16:17]
	s_or_b64 exec, exec, s[48:49]
	v_cmp_gt_i32_e32 vcc, s55, v10
	s_and_saveexec_b64 s[48:49], vcc
	s_cbranch_execnz .LBB33_256
.LBB33_275:
	s_or_b64 exec, exec, s[48:49]
	v_cmp_gt_i32_e32 vcc, s55, v10
	s_and_saveexec_b64 s[48:49], vcc
	s_cbranch_execnz .LBB33_290
.LBB33_276:
	s_or_b64 exec, exec, s[48:49]
                                        ; implicit-def: $vgpr20
                                        ; implicit-def: $vgpr10
	s_andn2_saveexec_b64 s[0:1], s[38:39]
	s_cbranch_execnz .LBB33_8
.LBB33_277:
	s_endpgm
.LBB33_278:
	s_mov_b32 s57, 0
	v_mov_b32_e32 v0, 0
	v_mov_b32_e32 v2, 0
	;; [unrolled: 1-line block ×3, first 2 shown]
.LBB33_279:
	s_and_b32 s4, s58, 3
	s_cmp_eq_u32 s4, 0
	s_cbranch_scc1 .LBB33_282
; %bb.280:
	s_lshl_b32 s0, s57, 3
	s_add_u32 s0, s34, s0
	s_addc_u32 s1, s35, 0
	s_add_u32 s0, s0, 0xc4
	s_addc_u32 s1, s1, 0
	s_mul_i32 s2, s57, 12
	s_add_u32 s2, s34, s2
	s_addc_u32 s3, s35, 0
.LBB33_281:                             ; =>This Inner Loop Header: Depth=1
	s_load_dwordx2 s[6:7], s[2:3], 0x4
	s_load_dword s5, s[2:3], 0xc
	s_load_dwordx2 s[8:9], s[0:1], 0x0
	s_add_u32 s2, s2, 12
	s_addc_u32 s3, s3, 0
	s_waitcnt lgkmcnt(0)
	v_mul_hi_u32 v3, s7, v1
	s_add_u32 s0, s0, 8
	s_addc_u32 s1, s1, 0
	s_add_i32 s4, s4, -1
	v_add_u32_e32 v3, v1, v3
	v_lshrrev_b32_e32 v4, s5, v3
	v_mul_lo_u32 v3, v4, s6
	s_cmp_lg_u32 s4, 0
	v_sub_u32_e32 v3, v1, v3
	v_mad_u64_u32 v[0:1], s[6:7], v3, s8, v[0:1]
	v_mad_u64_u32 v[2:3], s[6:7], v3, s9, v[2:3]
	v_mov_b32_e32 v1, v4
	s_cbranch_scc1 .LBB33_281
.LBB33_282:
	s_cbranch_execnz .LBB33_285
.LBB33_283:
	s_waitcnt lgkmcnt(0)
	v_mul_hi_u32 v0, s25, v10
	s_andn2_b64 vcc, exec, s[42:43]
	v_add_u32_e32 v0, v10, v0
	v_lshrrev_b32_e32 v1, s26, v0
	v_mul_lo_u32 v0, v1, s24
	v_sub_u32_e32 v2, v10, v0
	v_mul_lo_u32 v0, v2, s20
	v_mul_lo_u32 v2, v2, s21
	s_cbranch_vccnz .LBB33_285
; %bb.284:
	v_mul_hi_u32 v3, s40, v1
	v_add_u32_e32 v3, v1, v3
	v_lshrrev_b32_e32 v3, s41, v3
	v_mul_lo_u32 v3, v3, s27
	v_sub_u32_e32 v3, v1, v3
	v_mad_u64_u32 v[0:1], s[0:1], v3, s22, v[0:1]
	v_mad_u64_u32 v[2:3], s[0:1], v3, s23, v[2:3]
.LBB33_285:
	s_waitcnt lgkmcnt(0)
	global_load_ushort v1, v2, s[18:19]
	s_brev_b32 s0, 18
                                        ; implicit-def: $vgpr3
                                        ; implicit-def: $vgpr4
	s_waitcnt vmcnt(0)
	v_lshlrev_b32_e32 v1, 16, v1
	v_and_b32_e32 v2, 0x7fffffff, v1
	v_cmp_nlt_f32_e64 s[0:1], |v1|, s0
	s_and_saveexec_b64 s[2:3], s[0:1]
	s_xor_b64 s[6:7], exec, s[2:3]
	s_cbranch_execz .LBB33_287
; %bb.286:
	v_and_b32_e32 v3, 0x7fffff, v2
	v_or_b32_e32 v14, 0x800000, v3
	s_mov_b32 s0, 0xfe5163ab
	v_mad_u64_u32 v[3:4], s[0:1], v14, s0, 0
	v_mov_b32_e32 v5, 0
	s_mov_b32 s0, 0x3c439041
	v_mad_u64_u32 v[6:7], s[0:1], v14, s0, v[4:5]
	s_mov_b32 s0, 0xdb629599
	v_not_b32_e32 v13, 63
	v_mov_b32_e32 v4, v7
	v_mad_u64_u32 v[7:8], s[0:1], v14, s0, v[4:5]
	s_mov_b32 s0, 0xf534ddc0
	s_mov_b32 s2, 0xa2f9836e
	v_mov_b32_e32 v4, v8
	v_mad_u64_u32 v[8:9], s[0:1], v14, s0, v[4:5]
	v_lshrrev_b32_e32 v4, 23, v2
	v_add_u32_e32 v15, 0xffffff88, v4
	v_mov_b32_e32 v4, v9
	s_mov_b32 s0, 0xfc2757d1
	v_mad_u64_u32 v[11:12], s[0:1], v14, s0, v[4:5]
	v_cmp_lt_u32_e32 vcc, 63, v15
	v_cndmask_b32_e32 v4, 0, v13, vcc
	v_add_u32_e32 v9, v4, v15
	v_mov_b32_e32 v4, v12
	s_mov_b32 s0, 0x4e441529
	v_mad_u64_u32 v[12:13], s[0:1], v14, s0, v[4:5]
	v_not_b32_e32 v15, 31
	v_cmp_lt_u32_e64 s[0:1], 31, v9
	v_cndmask_b32_e64 v4, 0, v15, s[0:1]
	v_add_u32_e32 v9, v4, v9
	v_mov_b32_e32 v4, v13
	v_mad_u64_u32 v[4:5], s[2:3], v14, s2, v[4:5]
	v_cmp_lt_u32_e64 s[2:3], 31, v9
	v_cndmask_b32_e64 v13, 0, v15, s[2:3]
	v_add_u32_e32 v9, v13, v9
	v_cndmask_b32_e32 v13, v12, v8, vcc
	v_cndmask_b32_e32 v4, v4, v11, vcc
	;; [unrolled: 1-line block ×3, first 2 shown]
	v_cndmask_b32_e64 v14, v4, v13, s[0:1]
	v_cndmask_b32_e64 v4, v5, v4, s[0:1]
	v_cndmask_b32_e32 v5, v11, v7, vcc
	v_cndmask_b32_e64 v11, v13, v5, s[0:1]
	v_cndmask_b32_e64 v4, v4, v14, s[2:3]
	;; [unrolled: 1-line block ×3, first 2 shown]
	v_sub_u32_e32 v13, 32, v9
	v_alignbit_b32 v14, v4, v12, v13
	v_cmp_eq_u32_e64 s[4:5], 0, v9
	v_cndmask_b32_e64 v9, v14, v4, s[4:5]
	v_cndmask_b32_e32 v4, v8, v6, vcc
	v_cndmask_b32_e64 v5, v5, v4, s[0:1]
	v_cndmask_b32_e64 v6, v11, v5, s[2:3]
	v_alignbit_b32 v8, v12, v6, v13
	v_cndmask_b32_e32 v3, v7, v3, vcc
	v_cndmask_b32_e64 v8, v8, v12, s[4:5]
	v_bfe_u32 v14, v9, 29, 1
	v_cndmask_b32_e64 v3, v4, v3, s[0:1]
	v_alignbit_b32 v11, v9, v8, 30
	v_sub_u32_e32 v15, 0, v14
	v_cndmask_b32_e64 v3, v5, v3, s[2:3]
	v_xor_b32_e32 v11, v11, v15
	v_alignbit_b32 v4, v6, v3, v13
	v_cndmask_b32_e64 v4, v4, v6, s[4:5]
	v_ffbh_u32_e32 v6, v11
	v_alignbit_b32 v5, v8, v4, 30
	v_min_u32_e32 v6, 32, v6
	v_alignbit_b32 v3, v4, v3, 30
	v_xor_b32_e32 v5, v5, v15
	v_sub_u32_e32 v7, 31, v6
	v_xor_b32_e32 v3, v3, v15
	v_alignbit_b32 v8, v11, v5, v7
	v_alignbit_b32 v3, v5, v3, v7
	;; [unrolled: 1-line block ×3, first 2 shown]
	v_ffbh_u32_e32 v5, v4
	v_min_u32_e32 v5, 32, v5
	v_lshrrev_b32_e32 v12, 29, v9
	v_not_b32_e32 v7, v5
	v_alignbit_b32 v3, v4, v3, v7
	v_lshlrev_b32_e32 v4, 31, v12
	v_or_b32_e32 v7, 0x33000000, v4
	v_add_lshl_u32 v5, v5, v6, 23
	v_lshrrev_b32_e32 v3, 9, v3
	v_sub_u32_e32 v5, v7, v5
	v_or_b32_e32 v4, 0.5, v4
	v_lshlrev_b32_e32 v6, 23, v6
	v_or_b32_e32 v3, v5, v3
	v_lshrrev_b32_e32 v5, 9, v8
	v_sub_u32_e32 v4, v4, v6
	v_or_b32_e32 v4, v5, v4
	s_mov_b32 s0, 0x3fc90fda
	v_mul_f32_e32 v5, 0x3fc90fda, v4
	v_fma_f32 v6, v4, s0, -v5
	v_fmac_f32_e32 v6, 0x33a22168, v4
	v_fmac_f32_e32 v6, 0x3fc90fda, v3
	v_lshrrev_b32_e32 v3, 30, v9
	v_add_f32_e32 v4, v5, v6
	v_add_u32_e32 v3, v14, v3
.LBB33_287:
	s_andn2_saveexec_b64 s[0:1], s[6:7]
	s_cbranch_execz .LBB33_289
; %bb.288:
	s_mov_b32 s2, 0x3f22f983
	v_mul_f32_e64 v3, |v1|, s2
	v_rndne_f32_e32 v5, v3
	s_mov_b32 s2, 0xbfc90fda
	v_cvt_i32_f32_e32 v3, v5
	v_fma_f32 v4, v5, s2, |v1|
	v_fmac_f32_e32 v4, 0xb3a22168, v5
	v_fmac_f32_e32 v4, 0xa7c234c4, v5
.LBB33_289:
	s_or_b64 exec, exec, s[0:1]
	v_mul_f32_e32 v5, v4, v4
	v_mov_b32_e32 v6, 0x3c0881c4
	v_fmac_f32_e32 v6, 0xb94c1982, v5
	v_mov_b32_e32 v7, 0xbe2aaa9d
	v_fmac_f32_e32 v7, v5, v6
	v_mul_f32_e32 v6, v5, v7
	v_fmac_f32_e32 v4, v4, v6
	v_mov_b32_e32 v6, 0xbab64f3b
	v_fmac_f32_e32 v6, 0x37d75334, v5
	v_mov_b32_e32 v7, 0x3d2aabf7
	;; [unrolled: 2-line block ×3, first 2 shown]
	v_fmac_f32_e32 v6, v5, v7
	v_fma_f32 v5, v5, v6, 1.0
	v_and_b32_e32 v6, 1, v3
	v_lshlrev_b32_e32 v3, 30, v3
	v_cmp_eq_u32_e32 vcc, 0, v6
	v_and_b32_e32 v3, 0x80000000, v3
	v_cndmask_b32_e32 v4, v5, v4, vcc
	v_xor_b32_e32 v2, v2, v3
	v_xor_b32_e32 v2, v2, v4
	s_movk_i32 s0, 0x1f8
	v_xor_b32_e32 v2, v2, v1
	v_mov_b32_e32 v3, 0x7fc00000
	v_cmp_class_f32_e64 vcc, v1, s0
	v_cndmask_b32_e32 v1, v3, v2, vcc
	v_bfe_u32 v2, v1, 16, 1
	s_movk_i32 s0, 0x7fff
	v_add3_u32 v2, v1, v2, s0
	v_cmp_o_f32_e32 vcc, v1, v1
	v_mov_b32_e32 v1, 0x7fc0
	v_cndmask_b32_sdwa v1, v1, v2, vcc dst_sel:DWORD dst_unused:UNUSED_PAD src0_sel:DWORD src1_sel:WORD_1
	v_add_u32_e32 v10, 0x80, v10
	global_store_short v0, v1, s[16:17]
	s_or_b64 exec, exec, s[48:49]
	v_cmp_gt_i32_e32 vcc, s55, v10
	s_and_saveexec_b64 s[48:49], vcc
	s_cbranch_execz .LBB33_276
.LBB33_290:
	s_andn2_b64 vcc, exec, s[36:37]
	s_cbranch_vccnz .LBB33_295
; %bb.291:
	s_andn2_b64 vcc, exec, s[46:47]
	s_cbranch_vccnz .LBB33_296
; %bb.292:
	s_add_i32 s56, s56, 1
	s_cmp_eq_u32 s54, 2
	s_cbranch_scc1 .LBB33_297
; %bb.293:
	s_and_b32 s50, s56, 28
	v_mov_b32_e32 v2, 0
	s_mov_b32 s51, 0
	s_mov_b64 s[46:47], s[34:35]
	v_mov_b32_e32 v0, 0
	v_mov_b32_e32 v1, v10
.LBB33_294:                             ; =>This Inner Loop Header: Depth=1
	s_load_dwordx8 s[8:15], s[46:47], 0x4
	s_load_dwordx4 s[28:31], s[46:47], 0x24
	s_load_dwordx8 s[0:7], s[44:45], 0x0
	s_add_u32 s46, s46, 48
	s_addc_u32 s47, s47, 0
	s_waitcnt lgkmcnt(0)
	v_mul_hi_u32 v3, s9, v1
	s_add_i32 s51, s51, 4
	s_add_u32 s44, s44, 32
	s_addc_u32 s45, s45, 0
	v_add_u32_e32 v3, v1, v3
	v_lshrrev_b32_e32 v3, s10, v3
	v_mul_lo_u32 v4, v3, s8
	v_mul_hi_u32 v5, s12, v3
	s_cmp_eq_u32 s50, s51
	v_sub_u32_e32 v1, v1, v4
	v_add_u32_e32 v4, v3, v5
	v_mul_lo_u32 v5, v1, s0
	v_mul_lo_u32 v6, v1, s1
	v_lshrrev_b32_e32 v1, s13, v4
	v_mul_lo_u32 v4, v1, s11
	v_mul_hi_u32 v7, s15, v1
	v_sub_u32_e32 v3, v3, v4
	v_add_u32_e32 v4, v1, v7
	v_lshrrev_b32_e32 v4, s28, v4
	v_mul_hi_u32 v8, s30, v4
	v_mul_lo_u32 v9, v4, s14
	v_mul_lo_u32 v7, v3, s2
	;; [unrolled: 1-line block ×3, first 2 shown]
	v_sub_u32_e32 v9, v1, v9
	v_add_u32_e32 v1, v4, v8
	v_lshrrev_b32_e32 v1, s31, v1
	v_mul_lo_u32 v8, v1, s29
	v_mul_lo_u32 v11, v9, s4
	;; [unrolled: 1-line block ×3, first 2 shown]
	v_add3_u32 v0, v5, v0, v7
	v_sub_u32_e32 v4, v4, v8
	v_mul_lo_u32 v8, v4, s6
	v_mul_lo_u32 v4, v4, s7
	v_add3_u32 v2, v6, v2, v3
	v_add3_u32 v0, v11, v0, v8
	;; [unrolled: 1-line block ×3, first 2 shown]
	s_cbranch_scc0 .LBB33_294
	s_branch .LBB33_298
.LBB33_295:
                                        ; implicit-def: $vgpr0
                                        ; implicit-def: $vgpr2
	s_branch .LBB33_302
.LBB33_296:
	v_mov_b32_e32 v0, 0
	v_mov_b32_e32 v2, 0
	s_branch .LBB33_301
.LBB33_297:
	s_mov_b32 s50, 0
	v_mov_b32_e32 v0, 0
	v_mov_b32_e32 v2, 0
	;; [unrolled: 1-line block ×3, first 2 shown]
.LBB33_298:
	s_and_b32 s4, s56, 3
	s_cmp_eq_u32 s4, 0
	s_cbranch_scc1 .LBB33_301
; %bb.299:
	s_lshl_b32 s0, s50, 3
	s_add_u32 s0, s34, s0
	s_addc_u32 s1, s35, 0
	s_add_u32 s0, s0, 0xc4
	s_addc_u32 s1, s1, 0
	s_mul_i32 s2, s50, 12
	s_add_u32 s2, s34, s2
	s_addc_u32 s3, s35, 0
.LBB33_300:                             ; =>This Inner Loop Header: Depth=1
	s_load_dwordx2 s[6:7], s[2:3], 0x4
	s_load_dword s5, s[2:3], 0xc
	s_load_dwordx2 s[8:9], s[0:1], 0x0
	s_add_u32 s2, s2, 12
	s_addc_u32 s3, s3, 0
	s_waitcnt lgkmcnt(0)
	v_mul_hi_u32 v3, s7, v1
	s_add_u32 s0, s0, 8
	s_addc_u32 s1, s1, 0
	s_add_i32 s4, s4, -1
	v_add_u32_e32 v3, v1, v3
	v_lshrrev_b32_e32 v4, s5, v3
	v_mul_lo_u32 v3, v4, s6
	s_cmp_lg_u32 s4, 0
	v_sub_u32_e32 v3, v1, v3
	v_mad_u64_u32 v[0:1], s[6:7], v3, s8, v[0:1]
	v_mad_u64_u32 v[2:3], s[6:7], v3, s9, v[2:3]
	v_mov_b32_e32 v1, v4
	s_cbranch_scc1 .LBB33_300
.LBB33_301:
	s_cbranch_execnz .LBB33_304
.LBB33_302:
	s_waitcnt lgkmcnt(0)
	v_mul_hi_u32 v0, s25, v10
	s_andn2_b64 vcc, exec, s[42:43]
	v_add_u32_e32 v0, v10, v0
	v_lshrrev_b32_e32 v1, s26, v0
	v_mul_lo_u32 v0, v1, s24
	v_sub_u32_e32 v2, v10, v0
	v_mul_lo_u32 v0, v2, s20
	v_mul_lo_u32 v2, v2, s21
	s_cbranch_vccnz .LBB33_304
; %bb.303:
	v_mul_hi_u32 v3, s40, v1
	v_add_u32_e32 v3, v1, v3
	v_lshrrev_b32_e32 v3, s41, v3
	v_mul_lo_u32 v3, v3, s27
	v_sub_u32_e32 v3, v1, v3
	v_mad_u64_u32 v[0:1], s[0:1], v3, s22, v[0:1]
	v_mad_u64_u32 v[2:3], s[0:1], v3, s23, v[2:3]
.LBB33_304:
	s_waitcnt lgkmcnt(0)
	global_load_ushort v1, v2, s[18:19]
	s_brev_b32 s0, 18
                                        ; implicit-def: $vgpr3
                                        ; implicit-def: $vgpr4
	s_waitcnt vmcnt(0)
	v_lshlrev_b32_e32 v1, 16, v1
	v_and_b32_e32 v2, 0x7fffffff, v1
	v_cmp_nlt_f32_e64 s[0:1], |v1|, s0
	s_and_saveexec_b64 s[2:3], s[0:1]
	s_xor_b64 s[6:7], exec, s[2:3]
	s_cbranch_execz .LBB33_306
; %bb.305:
	v_and_b32_e32 v3, 0x7fffff, v2
	v_or_b32_e32 v12, 0x800000, v3
	s_mov_b32 s0, 0xfe5163ab
	v_mad_u64_u32 v[3:4], s[0:1], v12, s0, 0
	v_mov_b32_e32 v5, 0
	s_mov_b32 s0, 0x3c439041
	v_mad_u64_u32 v[6:7], s[0:1], v12, s0, v[4:5]
	s_mov_b32 s0, 0xdb629599
	v_not_b32_e32 v11, 63
	v_mov_b32_e32 v4, v7
	v_mad_u64_u32 v[7:8], s[0:1], v12, s0, v[4:5]
	s_mov_b32 s0, 0xf534ddc0
	v_not_b32_e32 v14, 31
	v_mov_b32_e32 v4, v8
	v_mad_u64_u32 v[8:9], s[0:1], v12, s0, v[4:5]
	v_lshrrev_b32_e32 v4, 23, v2
	v_add_u32_e32 v13, 0xffffff88, v4
	v_mov_b32_e32 v4, v9
	s_mov_b32 s0, 0xfc2757d1
	v_mad_u64_u32 v[9:10], s[0:1], v12, s0, v[4:5]
	v_cmp_lt_u32_e32 vcc, 63, v13
	v_cndmask_b32_e32 v4, 0, v11, vcc
	v_add_u32_e32 v13, v4, v13
	v_mov_b32_e32 v4, v10
	s_mov_b32 s0, 0x4e441529
	v_mad_u64_u32 v[10:11], s[0:1], v12, s0, v[4:5]
	v_cmp_lt_u32_e64 s[0:1], 31, v13
	v_cndmask_b32_e64 v4, 0, v14, s[0:1]
	v_add_u32_e32 v13, v4, v13
	v_mov_b32_e32 v4, v11
	s_mov_b32 s2, 0xa2f9836e
	v_mad_u64_u32 v[4:5], s[2:3], v12, s2, v[4:5]
	v_cmp_lt_u32_e64 s[2:3], 31, v13
	v_cndmask_b32_e64 v11, 0, v14, s[2:3]
	v_cndmask_b32_e32 v12, v10, v8, vcc
	v_cndmask_b32_e32 v4, v4, v9, vcc
	;; [unrolled: 1-line block ×3, first 2 shown]
	v_add_u32_e32 v11, v11, v13
	v_cndmask_b32_e64 v13, v4, v12, s[0:1]
	v_cndmask_b32_e64 v4, v5, v4, s[0:1]
	v_cndmask_b32_e32 v5, v9, v7, vcc
	v_cndmask_b32_e64 v9, v12, v5, s[0:1]
	v_cndmask_b32_e64 v4, v4, v13, s[2:3]
	;; [unrolled: 1-line block ×3, first 2 shown]
	v_sub_u32_e32 v12, 32, v11
	v_alignbit_b32 v13, v4, v10, v12
	v_cmp_eq_u32_e64 s[4:5], 0, v11
	v_cndmask_b32_e64 v11, v13, v4, s[4:5]
	v_cndmask_b32_e32 v4, v8, v6, vcc
	v_cndmask_b32_e64 v5, v5, v4, s[0:1]
	v_cndmask_b32_e64 v6, v9, v5, s[2:3]
	v_alignbit_b32 v8, v10, v6, v12
	v_cndmask_b32_e32 v3, v7, v3, vcc
	v_cndmask_b32_e64 v8, v8, v10, s[4:5]
	v_bfe_u32 v13, v11, 29, 1
	v_cndmask_b32_e64 v3, v4, v3, s[0:1]
	v_alignbit_b32 v9, v11, v8, 30
	v_sub_u32_e32 v14, 0, v13
	v_cndmask_b32_e64 v3, v5, v3, s[2:3]
	v_xor_b32_e32 v9, v9, v14
	v_alignbit_b32 v4, v6, v3, v12
	v_cndmask_b32_e64 v4, v4, v6, s[4:5]
	v_ffbh_u32_e32 v6, v9
	v_alignbit_b32 v5, v8, v4, 30
	v_min_u32_e32 v6, 32, v6
	v_alignbit_b32 v3, v4, v3, 30
	v_xor_b32_e32 v5, v5, v14
	v_sub_u32_e32 v7, 31, v6
	v_xor_b32_e32 v3, v3, v14
	v_alignbit_b32 v8, v9, v5, v7
	v_alignbit_b32 v3, v5, v3, v7
	v_alignbit_b32 v4, v8, v3, 9
	v_ffbh_u32_e32 v5, v4
	v_min_u32_e32 v5, 32, v5
	v_lshrrev_b32_e32 v10, 29, v11
	v_not_b32_e32 v7, v5
	v_alignbit_b32 v3, v4, v3, v7
	v_lshlrev_b32_e32 v4, 31, v10
	v_or_b32_e32 v7, 0x33000000, v4
	v_add_lshl_u32 v5, v5, v6, 23
	v_lshrrev_b32_e32 v3, 9, v3
	v_sub_u32_e32 v5, v7, v5
	v_or_b32_e32 v4, 0.5, v4
	v_lshlrev_b32_e32 v6, 23, v6
	v_or_b32_e32 v3, v5, v3
	v_lshrrev_b32_e32 v5, 9, v8
	v_sub_u32_e32 v4, v4, v6
	v_or_b32_e32 v4, v5, v4
	s_mov_b32 s0, 0x3fc90fda
	v_mul_f32_e32 v5, 0x3fc90fda, v4
	v_fma_f32 v6, v4, s0, -v5
	v_fmac_f32_e32 v6, 0x33a22168, v4
	v_fmac_f32_e32 v6, 0x3fc90fda, v3
	v_lshrrev_b32_e32 v3, 30, v11
	v_add_f32_e32 v4, v5, v6
	v_add_u32_e32 v3, v13, v3
.LBB33_306:
	s_andn2_saveexec_b64 s[0:1], s[6:7]
	s_cbranch_execz .LBB33_308
; %bb.307:
	s_mov_b32 s2, 0x3f22f983
	v_mul_f32_e64 v3, |v1|, s2
	v_rndne_f32_e32 v5, v3
	s_mov_b32 s2, 0xbfc90fda
	v_cvt_i32_f32_e32 v3, v5
	v_fma_f32 v4, v5, s2, |v1|
	v_fmac_f32_e32 v4, 0xb3a22168, v5
	v_fmac_f32_e32 v4, 0xa7c234c4, v5
.LBB33_308:
	s_or_b64 exec, exec, s[0:1]
	v_mul_f32_e32 v5, v4, v4
	v_mov_b32_e32 v6, 0x3c0881c4
	v_fmac_f32_e32 v6, 0xb94c1982, v5
	v_mov_b32_e32 v7, 0xbe2aaa9d
	v_fmac_f32_e32 v7, v5, v6
	v_mul_f32_e32 v6, v5, v7
	v_fmac_f32_e32 v4, v4, v6
	v_mov_b32_e32 v6, 0xbab64f3b
	v_fmac_f32_e32 v6, 0x37d75334, v5
	v_mov_b32_e32 v7, 0x3d2aabf7
	v_fmac_f32_e32 v7, v5, v6
	v_mov_b32_e32 v6, 0xbf000004
	v_fmac_f32_e32 v6, v5, v7
	v_fma_f32 v5, v5, v6, 1.0
	v_and_b32_e32 v6, 1, v3
	v_lshlrev_b32_e32 v3, 30, v3
	v_cmp_eq_u32_e32 vcc, 0, v6
	v_and_b32_e32 v3, 0x80000000, v3
	v_cndmask_b32_e32 v4, v5, v4, vcc
	v_xor_b32_e32 v2, v2, v3
	v_xor_b32_e32 v2, v2, v4
	s_movk_i32 s0, 0x1f8
	v_xor_b32_e32 v2, v2, v1
	v_mov_b32_e32 v3, 0x7fc00000
	v_cmp_class_f32_e64 vcc, v1, s0
	v_cndmask_b32_e32 v1, v3, v2, vcc
	v_bfe_u32 v2, v1, 16, 1
	s_movk_i32 s0, 0x7fff
	v_add3_u32 v2, v1, v2, s0
	v_cmp_o_f32_e32 vcc, v1, v1
	v_mov_b32_e32 v1, 0x7fc0
	v_cndmask_b32_sdwa v1, v1, v2, vcc dst_sel:DWORD dst_unused:UNUSED_PAD src0_sel:DWORD src1_sel:WORD_1
	global_store_short v0, v1, s[16:17]
	s_or_b64 exec, exec, s[48:49]
                                        ; implicit-def: $vgpr20
                                        ; implicit-def: $vgpr10
	s_andn2_saveexec_b64 s[0:1], s[38:39]
	s_cbranch_execz .LBB33_277
	s_branch .LBB33_8
	.section	.rodata,"a",@progbits
	.p2align	6, 0x0
	.amdhsa_kernel _ZN2at6native32elementwise_kernel_manual_unrollILi128ELi8EZNS0_22gpu_kernel_impl_nocastIZZZNS0_15sin_kernel_cudaERNS_18TensorIteratorBaseEENKUlvE0_clEvENKUlvE2_clEvEUlN3c108BFloat16EE_EEvS4_RKT_EUlibE_EEviT1_
		.amdhsa_group_segment_fixed_size 0
		.amdhsa_private_segment_fixed_size 0
		.amdhsa_kernarg_size 360
		.amdhsa_user_sgpr_count 6
		.amdhsa_user_sgpr_private_segment_buffer 1
		.amdhsa_user_sgpr_dispatch_ptr 0
		.amdhsa_user_sgpr_queue_ptr 0
		.amdhsa_user_sgpr_kernarg_segment_ptr 1
		.amdhsa_user_sgpr_dispatch_id 0
		.amdhsa_user_sgpr_flat_scratch_init 0
		.amdhsa_user_sgpr_private_segment_size 0
		.amdhsa_uses_dynamic_stack 0
		.amdhsa_system_sgpr_private_segment_wavefront_offset 0
		.amdhsa_system_sgpr_workgroup_id_x 1
		.amdhsa_system_sgpr_workgroup_id_y 0
		.amdhsa_system_sgpr_workgroup_id_z 0
		.amdhsa_system_sgpr_workgroup_info 0
		.amdhsa_system_vgpr_workitem_id 0
		.amdhsa_next_free_vgpr 50
		.amdhsa_next_free_sgpr 60
		.amdhsa_reserve_vcc 1
		.amdhsa_reserve_flat_scratch 0
		.amdhsa_float_round_mode_32 0
		.amdhsa_float_round_mode_16_64 0
		.amdhsa_float_denorm_mode_32 3
		.amdhsa_float_denorm_mode_16_64 3
		.amdhsa_dx10_clamp 1
		.amdhsa_ieee_mode 1
		.amdhsa_fp16_overflow 0
		.amdhsa_exception_fp_ieee_invalid_op 0
		.amdhsa_exception_fp_denorm_src 0
		.amdhsa_exception_fp_ieee_div_zero 0
		.amdhsa_exception_fp_ieee_overflow 0
		.amdhsa_exception_fp_ieee_underflow 0
		.amdhsa_exception_fp_ieee_inexact 0
		.amdhsa_exception_int_div_zero 0
	.end_amdhsa_kernel
	.section	.text._ZN2at6native32elementwise_kernel_manual_unrollILi128ELi8EZNS0_22gpu_kernel_impl_nocastIZZZNS0_15sin_kernel_cudaERNS_18TensorIteratorBaseEENKUlvE0_clEvENKUlvE2_clEvEUlN3c108BFloat16EE_EEvS4_RKT_EUlibE_EEviT1_,"axG",@progbits,_ZN2at6native32elementwise_kernel_manual_unrollILi128ELi8EZNS0_22gpu_kernel_impl_nocastIZZZNS0_15sin_kernel_cudaERNS_18TensorIteratorBaseEENKUlvE0_clEvENKUlvE2_clEvEUlN3c108BFloat16EE_EEvS4_RKT_EUlibE_EEviT1_,comdat
.Lfunc_end33:
	.size	_ZN2at6native32elementwise_kernel_manual_unrollILi128ELi8EZNS0_22gpu_kernel_impl_nocastIZZZNS0_15sin_kernel_cudaERNS_18TensorIteratorBaseEENKUlvE0_clEvENKUlvE2_clEvEUlN3c108BFloat16EE_EEvS4_RKT_EUlibE_EEviT1_, .Lfunc_end33-_ZN2at6native32elementwise_kernel_manual_unrollILi128ELi8EZNS0_22gpu_kernel_impl_nocastIZZZNS0_15sin_kernel_cudaERNS_18TensorIteratorBaseEENKUlvE0_clEvENKUlvE2_clEvEUlN3c108BFloat16EE_EEvS4_RKT_EUlibE_EEviT1_
                                        ; -- End function
	.set _ZN2at6native32elementwise_kernel_manual_unrollILi128ELi8EZNS0_22gpu_kernel_impl_nocastIZZZNS0_15sin_kernel_cudaERNS_18TensorIteratorBaseEENKUlvE0_clEvENKUlvE2_clEvEUlN3c108BFloat16EE_EEvS4_RKT_EUlibE_EEviT1_.num_vgpr, 50
	.set _ZN2at6native32elementwise_kernel_manual_unrollILi128ELi8EZNS0_22gpu_kernel_impl_nocastIZZZNS0_15sin_kernel_cudaERNS_18TensorIteratorBaseEENKUlvE0_clEvENKUlvE2_clEvEUlN3c108BFloat16EE_EEvS4_RKT_EUlibE_EEviT1_.num_agpr, 0
	.set _ZN2at6native32elementwise_kernel_manual_unrollILi128ELi8EZNS0_22gpu_kernel_impl_nocastIZZZNS0_15sin_kernel_cudaERNS_18TensorIteratorBaseEENKUlvE0_clEvENKUlvE2_clEvEUlN3c108BFloat16EE_EEvS4_RKT_EUlibE_EEviT1_.numbered_sgpr, 60
	.set _ZN2at6native32elementwise_kernel_manual_unrollILi128ELi8EZNS0_22gpu_kernel_impl_nocastIZZZNS0_15sin_kernel_cudaERNS_18TensorIteratorBaseEENKUlvE0_clEvENKUlvE2_clEvEUlN3c108BFloat16EE_EEvS4_RKT_EUlibE_EEviT1_.num_named_barrier, 0
	.set _ZN2at6native32elementwise_kernel_manual_unrollILi128ELi8EZNS0_22gpu_kernel_impl_nocastIZZZNS0_15sin_kernel_cudaERNS_18TensorIteratorBaseEENKUlvE0_clEvENKUlvE2_clEvEUlN3c108BFloat16EE_EEvS4_RKT_EUlibE_EEviT1_.private_seg_size, 0
	.set _ZN2at6native32elementwise_kernel_manual_unrollILi128ELi8EZNS0_22gpu_kernel_impl_nocastIZZZNS0_15sin_kernel_cudaERNS_18TensorIteratorBaseEENKUlvE0_clEvENKUlvE2_clEvEUlN3c108BFloat16EE_EEvS4_RKT_EUlibE_EEviT1_.uses_vcc, 1
	.set _ZN2at6native32elementwise_kernel_manual_unrollILi128ELi8EZNS0_22gpu_kernel_impl_nocastIZZZNS0_15sin_kernel_cudaERNS_18TensorIteratorBaseEENKUlvE0_clEvENKUlvE2_clEvEUlN3c108BFloat16EE_EEvS4_RKT_EUlibE_EEviT1_.uses_flat_scratch, 0
	.set _ZN2at6native32elementwise_kernel_manual_unrollILi128ELi8EZNS0_22gpu_kernel_impl_nocastIZZZNS0_15sin_kernel_cudaERNS_18TensorIteratorBaseEENKUlvE0_clEvENKUlvE2_clEvEUlN3c108BFloat16EE_EEvS4_RKT_EUlibE_EEviT1_.has_dyn_sized_stack, 0
	.set _ZN2at6native32elementwise_kernel_manual_unrollILi128ELi8EZNS0_22gpu_kernel_impl_nocastIZZZNS0_15sin_kernel_cudaERNS_18TensorIteratorBaseEENKUlvE0_clEvENKUlvE2_clEvEUlN3c108BFloat16EE_EEvS4_RKT_EUlibE_EEviT1_.has_recursion, 0
	.set _ZN2at6native32elementwise_kernel_manual_unrollILi128ELi8EZNS0_22gpu_kernel_impl_nocastIZZZNS0_15sin_kernel_cudaERNS_18TensorIteratorBaseEENKUlvE0_clEvENKUlvE2_clEvEUlN3c108BFloat16EE_EEvS4_RKT_EUlibE_EEviT1_.has_indirect_call, 0
	.section	.AMDGPU.csdata,"",@progbits
; Kernel info:
; codeLenInByte = 25096
; TotalNumSgprs: 64
; NumVgprs: 50
; ScratchSize: 0
; MemoryBound: 0
; FloatMode: 240
; IeeeMode: 1
; LDSByteSize: 0 bytes/workgroup (compile time only)
; SGPRBlocks: 7
; VGPRBlocks: 12
; NumSGPRsForWavesPerEU: 64
; NumVGPRsForWavesPerEU: 50
; Occupancy: 4
; WaveLimiterHint : 1
; COMPUTE_PGM_RSRC2:SCRATCH_EN: 0
; COMPUTE_PGM_RSRC2:USER_SGPR: 6
; COMPUTE_PGM_RSRC2:TRAP_HANDLER: 0
; COMPUTE_PGM_RSRC2:TGID_X_EN: 1
; COMPUTE_PGM_RSRC2:TGID_Y_EN: 0
; COMPUTE_PGM_RSRC2:TGID_Z_EN: 0
; COMPUTE_PGM_RSRC2:TIDIG_COMP_CNT: 0
	.section	.text._ZN2at6native32elementwise_kernel_manual_unrollILi128ELi4EZNS0_15gpu_kernel_implIZZZNS0_15sin_kernel_cudaERNS_18TensorIteratorBaseEENKUlvE0_clEvENKUlvE2_clEvEUlN3c108BFloat16EE_EEvS4_RKT_EUlibE_EEviT1_,"axG",@progbits,_ZN2at6native32elementwise_kernel_manual_unrollILi128ELi4EZNS0_15gpu_kernel_implIZZZNS0_15sin_kernel_cudaERNS_18TensorIteratorBaseEENKUlvE0_clEvENKUlvE2_clEvEUlN3c108BFloat16EE_EEvS4_RKT_EUlibE_EEviT1_,comdat
	.globl	_ZN2at6native32elementwise_kernel_manual_unrollILi128ELi4EZNS0_15gpu_kernel_implIZZZNS0_15sin_kernel_cudaERNS_18TensorIteratorBaseEENKUlvE0_clEvENKUlvE2_clEvEUlN3c108BFloat16EE_EEvS4_RKT_EUlibE_EEviT1_ ; -- Begin function _ZN2at6native32elementwise_kernel_manual_unrollILi128ELi4EZNS0_15gpu_kernel_implIZZZNS0_15sin_kernel_cudaERNS_18TensorIteratorBaseEENKUlvE0_clEvENKUlvE2_clEvEUlN3c108BFloat16EE_EEvS4_RKT_EUlibE_EEviT1_
	.p2align	8
	.type	_ZN2at6native32elementwise_kernel_manual_unrollILi128ELi4EZNS0_15gpu_kernel_implIZZZNS0_15sin_kernel_cudaERNS_18TensorIteratorBaseEENKUlvE0_clEvENKUlvE2_clEvEUlN3c108BFloat16EE_EEvS4_RKT_EUlibE_EEviT1_,@function
_ZN2at6native32elementwise_kernel_manual_unrollILi128ELi4EZNS0_15gpu_kernel_implIZZZNS0_15sin_kernel_cudaERNS_18TensorIteratorBaseEENKUlvE0_clEvENKUlvE2_clEvEUlN3c108BFloat16EE_EEvS4_RKT_EUlibE_EEviT1_: ; @_ZN2at6native32elementwise_kernel_manual_unrollILi128ELi4EZNS0_15gpu_kernel_implIZZZNS0_15sin_kernel_cudaERNS_18TensorIteratorBaseEENKUlvE0_clEvENKUlvE2_clEvEUlN3c108BFloat16EE_EEvS4_RKT_EUlibE_EEviT1_
; %bb.0:
	v_mov_b32_e32 v1, 0
	global_load_ushort v1, v1, s[4:5] offset:33
	s_load_dwordx4 s[8:11], s[4:5], 0x8
	s_load_dwordx2 s[12:13], s[4:5], 0x18
	s_load_dword s38, s[4:5], 0x0
	v_lshl_or_b32 v2, s6, 9, v0
	v_or_b32_e32 v0, 0x180, v2
	s_mov_b64 s[14:15], 0
	s_mov_b64 s[16:17], 0
	s_waitcnt lgkmcnt(0)
	v_cmp_le_i32_e32 vcc, s38, v0
	s_waitcnt vmcnt(0)
	v_readfirstlane_b32 s33, v1
	s_and_b32 s0, 0xffff, s33
	s_lshr_b32 s42, s0, 8
	s_and_saveexec_b64 s[0:1], vcc
	s_xor_b64 s[6:7], exec, s[0:1]
	s_cbranch_execz .LBB34_1042
; %bb.1:
	v_cmp_gt_i32_e32 vcc, s38, v2
	s_mov_b64 s[2:3], -1
	s_mov_b64 s[24:25], 0
	s_mov_b64 s[18:19], 0
	s_and_saveexec_b64 s[20:21], vcc
	s_cbranch_execz .LBB34_255
; %bb.2:
	v_mul_lo_u32 v0, v2, s13
	v_mov_b32_e32 v1, s11
	s_and_b32 s16, 0xffff, s42
	s_cmp_lt_i32 s16, 11
	v_ashrrev_i32_e32 v3, 31, v0
	v_add_co_u32_e32 v0, vcc, s10, v0
	v_addc_co_u32_e32 v1, vcc, v1, v3, vcc
	s_cbranch_scc1 .LBB34_9
; %bb.3:
	s_cmp_gt_i32 s16, 25
	s_cbranch_scc0 .LBB34_22
; %bb.4:
	s_cmp_gt_i32 s16, 28
	s_cbranch_scc0 .LBB34_26
	;; [unrolled: 3-line block ×4, first 2 shown]
; %bb.7:
	s_cmp_eq_u32 s16, 46
	s_mov_b64 s[2:3], 0
	s_cbranch_scc0 .LBB34_31
; %bb.8:
	global_load_dword v3, v[0:1], off
	s_mov_b64 s[0:1], -1
	s_branch .LBB34_33
.LBB34_9:
                                        ; implicit-def: $vgpr3
	s_mov_b64 s[0:1], 0
	s_and_b64 vcc, exec, s[2:3]
	s_cbranch_vccnz .LBB34_206
.LBB34_10:
	s_andn2_b64 vcc, exec, s[0:1]
	s_cbranch_vccnz .LBB34_253
.LBB34_11:
	s_waitcnt vmcnt(0)
	v_lshlrev_b32_e32 v0, 16, v3
	s_brev_b32 s0, 18
	v_and_b32_e32 v1, 0x7fffffff, v0
	v_cmp_nlt_f32_e64 s[0:1], |v0|, s0
                                        ; implicit-def: $vgpr3
                                        ; implicit-def: $vgpr4
	s_and_saveexec_b64 s[2:3], s[0:1]
	s_xor_b64 s[16:17], exec, s[2:3]
	s_cbranch_execz .LBB34_13
; %bb.12:
	v_and_b32_e32 v3, 0x7fffff, v1
	v_or_b32_e32 v12, 0x800000, v3
	s_mov_b32 s0, 0xfe5163ab
	v_mad_u64_u32 v[3:4], s[0:1], v12, s0, 0
	v_mov_b32_e32 v5, 0
	s_mov_b32 s0, 0x3c439041
	v_mad_u64_u32 v[6:7], s[0:1], v12, s0, v[4:5]
	s_mov_b32 s0, 0xdb629599
	v_not_b32_e32 v11, 63
	v_mov_b32_e32 v4, v7
	v_mad_u64_u32 v[7:8], s[0:1], v12, s0, v[4:5]
	s_mov_b32 s0, 0xf534ddc0
	v_not_b32_e32 v14, 31
	v_mov_b32_e32 v4, v8
	v_mad_u64_u32 v[8:9], s[0:1], v12, s0, v[4:5]
	v_lshrrev_b32_e32 v4, 23, v1
	v_add_u32_e32 v13, 0xffffff88, v4
	v_mov_b32_e32 v4, v9
	s_mov_b32 s0, 0xfc2757d1
	v_mad_u64_u32 v[9:10], s[0:1], v12, s0, v[4:5]
	v_cmp_lt_u32_e32 vcc, 63, v13
	v_cndmask_b32_e32 v4, 0, v11, vcc
	v_add_u32_e32 v13, v4, v13
	v_mov_b32_e32 v4, v10
	s_mov_b32 s0, 0x4e441529
	v_mad_u64_u32 v[10:11], s[0:1], v12, s0, v[4:5]
	v_cmp_lt_u32_e64 s[0:1], 31, v13
	v_cndmask_b32_e64 v4, 0, v14, s[0:1]
	v_add_u32_e32 v13, v4, v13
	v_mov_b32_e32 v4, v11
	s_mov_b32 s2, 0xa2f9836e
	v_mad_u64_u32 v[4:5], s[2:3], v12, s2, v[4:5]
	v_cmp_lt_u32_e64 s[2:3], 31, v13
	v_cndmask_b32_e64 v11, 0, v14, s[2:3]
	v_cndmask_b32_e32 v12, v10, v8, vcc
	v_cndmask_b32_e32 v4, v4, v9, vcc
	;; [unrolled: 1-line block ×3, first 2 shown]
	v_add_u32_e32 v11, v11, v13
	v_cndmask_b32_e64 v13, v4, v12, s[0:1]
	v_cndmask_b32_e64 v4, v5, v4, s[0:1]
	v_cndmask_b32_e32 v5, v9, v7, vcc
	v_cndmask_b32_e64 v9, v12, v5, s[0:1]
	v_cndmask_b32_e64 v4, v4, v13, s[2:3]
	;; [unrolled: 1-line block ×3, first 2 shown]
	v_sub_u32_e32 v12, 32, v11
	v_alignbit_b32 v13, v4, v10, v12
	v_cmp_eq_u32_e64 s[4:5], 0, v11
	v_cndmask_b32_e64 v11, v13, v4, s[4:5]
	v_cndmask_b32_e32 v4, v8, v6, vcc
	v_cndmask_b32_e64 v5, v5, v4, s[0:1]
	v_cndmask_b32_e64 v6, v9, v5, s[2:3]
	v_alignbit_b32 v8, v10, v6, v12
	v_cndmask_b32_e32 v3, v7, v3, vcc
	v_cndmask_b32_e64 v8, v8, v10, s[4:5]
	v_bfe_u32 v13, v11, 29, 1
	v_cndmask_b32_e64 v3, v4, v3, s[0:1]
	v_alignbit_b32 v9, v11, v8, 30
	v_sub_u32_e32 v14, 0, v13
	v_cndmask_b32_e64 v3, v5, v3, s[2:3]
	v_xor_b32_e32 v9, v9, v14
	v_alignbit_b32 v4, v6, v3, v12
	v_cndmask_b32_e64 v4, v4, v6, s[4:5]
	v_ffbh_u32_e32 v6, v9
	v_alignbit_b32 v5, v8, v4, 30
	v_min_u32_e32 v6, 32, v6
	v_alignbit_b32 v3, v4, v3, 30
	v_xor_b32_e32 v5, v5, v14
	v_sub_u32_e32 v7, 31, v6
	v_xor_b32_e32 v3, v3, v14
	v_alignbit_b32 v8, v9, v5, v7
	v_alignbit_b32 v3, v5, v3, v7
	;; [unrolled: 1-line block ×3, first 2 shown]
	v_ffbh_u32_e32 v5, v4
	v_min_u32_e32 v5, 32, v5
	v_lshrrev_b32_e32 v10, 29, v11
	v_not_b32_e32 v7, v5
	v_alignbit_b32 v3, v4, v3, v7
	v_lshlrev_b32_e32 v4, 31, v10
	v_or_b32_e32 v7, 0x33000000, v4
	v_add_lshl_u32 v5, v5, v6, 23
	v_lshrrev_b32_e32 v3, 9, v3
	v_sub_u32_e32 v5, v7, v5
	v_or_b32_e32 v4, 0.5, v4
	v_lshlrev_b32_e32 v6, 23, v6
	v_or_b32_e32 v3, v5, v3
	v_lshrrev_b32_e32 v5, 9, v8
	v_sub_u32_e32 v4, v4, v6
	v_or_b32_e32 v4, v5, v4
	s_mov_b32 s0, 0x3fc90fda
	v_mul_f32_e32 v5, 0x3fc90fda, v4
	v_fma_f32 v6, v4, s0, -v5
	v_fmac_f32_e32 v6, 0x33a22168, v4
	v_fmac_f32_e32 v6, 0x3fc90fda, v3
	v_lshrrev_b32_e32 v3, 30, v11
	v_add_f32_e32 v4, v5, v6
	v_add_u32_e32 v3, v13, v3
.LBB34_13:
	s_andn2_saveexec_b64 s[0:1], s[16:17]
	s_cbranch_execz .LBB34_15
; %bb.14:
	s_mov_b32 s2, 0x3f22f983
	v_mul_f32_e64 v3, |v0|, s2
	v_rndne_f32_e32 v5, v3
	s_mov_b32 s2, 0xbfc90fda
	v_cvt_i32_f32_e32 v3, v5
	v_fma_f32 v4, v5, s2, |v0|
	v_fmac_f32_e32 v4, 0xb3a22168, v5
	v_fmac_f32_e32 v4, 0xa7c234c4, v5
.LBB34_15:
	s_or_b64 exec, exec, s[0:1]
	v_mul_f32_e32 v5, v4, v4
	v_mov_b32_e32 v6, 0x3c0881c4
	v_fmac_f32_e32 v6, 0xb94c1982, v5
	v_mov_b32_e32 v7, 0xbe2aaa9d
	v_fmac_f32_e32 v7, v5, v6
	v_mul_f32_e32 v6, v5, v7
	v_fmac_f32_e32 v4, v4, v6
	v_mov_b32_e32 v6, 0xbab64f3b
	v_fmac_f32_e32 v6, 0x37d75334, v5
	v_mov_b32_e32 v7, 0x3d2aabf7
	;; [unrolled: 2-line block ×3, first 2 shown]
	v_fmac_f32_e32 v6, v5, v7
	v_fma_f32 v5, v5, v6, 1.0
	v_and_b32_e32 v6, 1, v3
	v_lshlrev_b32_e32 v3, 30, v3
	v_cmp_eq_u32_e32 vcc, 0, v6
	v_and_b32_e32 v3, 0x80000000, v3
	v_cndmask_b32_e32 v4, v5, v4, vcc
	v_xor_b32_e32 v1, v1, v3
	v_xor_b32_e32 v1, v1, v4
	s_movk_i32 s0, 0x1f8
	v_xor_b32_e32 v1, v1, v0
	v_mov_b32_e32 v3, 0x7fc00000
	v_cmp_class_f32_e64 vcc, v0, s0
	v_cndmask_b32_e32 v0, v3, v1, vcc
	v_bfe_u32 v1, v0, 16, 1
	s_movk_i32 s0, 0x7fff
	v_add3_u32 v1, v0, v1, s0
	v_cmp_o_f32_e32 vcc, v0, v0
	v_mul_lo_u32 v0, v2, s12
	v_mov_b32_e32 v3, 0x7fc0
	v_cndmask_b32_sdwa v3, v3, v1, vcc dst_sel:DWORD dst_unused:UNUSED_PAD src0_sel:DWORD src1_sel:WORD_1
	v_mov_b32_e32 v4, s9
	v_ashrrev_i32_e32 v1, 31, v0
	s_and_b32 s22, s33, 0xff
	v_add_co_u32_e32 v0, vcc, s8, v0
	s_cmp_lt_i32 s22, 11
	v_addc_co_u32_e32 v1, vcc, v4, v1, vcc
	s_cbranch_scc1 .LBB34_23
; %bb.16:
	s_and_b32 s23, 0xffff, s22
	s_cmp_gt_i32 s23, 25
	s_cbranch_scc0 .LBB34_27
; %bb.17:
	s_cmp_gt_i32 s23, 28
	s_cbranch_scc0 .LBB34_29
; %bb.18:
	;; [unrolled: 3-line block ×4, first 2 shown]
	s_mov_b64 s[4:5], 0
	s_mov_b64 s[0:1], -1
	s_cmp_eq_u32 s23, 46
	s_mov_b64 s[2:3], 0
	s_cbranch_scc0 .LBB34_37
; %bb.21:
	v_and_b32_e32 v4, 0xffff, v3
	global_store_dword v[0:1], v4, off
	s_mov_b64 s[2:3], -1
	s_mov_b64 s[0:1], 0
	s_branch .LBB34_37
.LBB34_22:
	s_mov_b64 s[0:1], 0
                                        ; implicit-def: $vgpr3
	s_and_b64 vcc, exec, s[2:3]
	s_cbranch_vccnz .LBB34_171
	s_branch .LBB34_205
.LBB34_23:
	s_mov_b64 s[0:1], 0
	s_mov_b64 s[2:3], 0
	s_cbranch_execnz .LBB34_106
.LBB34_24:
	s_andn2_b64 vcc, exec, s[2:3]
	s_cbranch_vccnz .LBB34_144
.LBB34_25:
	v_add_u32_e32 v2, 0x80, v2
	s_mov_b64 s[2:3], -1
	s_branch .LBB34_254
.LBB34_26:
	s_mov_b64 s[0:1], 0
                                        ; implicit-def: $vgpr3
	s_branch .LBB34_152
.LBB34_27:
	s_mov_b64 s[4:5], -1
	s_mov_b64 s[0:1], 0
	s_mov_b64 s[2:3], 0
	s_branch .LBB34_64
.LBB34_28:
	s_mov_b64 s[0:1], 0
                                        ; implicit-def: $vgpr3
	s_branch .LBB34_147
.LBB34_29:
	s_mov_b64 s[4:5], -1
	s_mov_b64 s[0:1], 0
	s_mov_b64 s[2:3], 0
	s_branch .LBB34_47
.LBB34_30:
	s_mov_b64 s[4:5], -1
	s_mov_b64 s[0:1], 0
	s_mov_b64 s[2:3], 0
	s_branch .LBB34_43
.LBB34_31:
	s_mov_b64 s[18:19], -1
.LBB34_32:
	s_mov_b64 s[0:1], 0
                                        ; implicit-def: $vgpr3
.LBB34_33:
	s_and_b64 vcc, exec, s[2:3]
	s_cbranch_vccz .LBB34_146
; %bb.34:
	s_cmp_eq_u32 s16, 44
	s_cbranch_scc0 .LBB34_145
; %bb.35:
	global_load_ubyte v3, v[0:1], off
	s_movk_i32 s2, 0xff
	v_mov_b32_e32 v4, 0x7f800001
	v_mov_b32_e32 v5, 0x400000
	;; [unrolled: 1-line block ×3, first 2 shown]
	s_mov_b64 s[0:1], -1
	s_mov_b64 s[18:19], 0
	s_waitcnt vmcnt(0)
	v_lshlrev_b32_e32 v7, 23, v3
	v_cmp_ne_u32_e32 vcc, s2, v3
	v_cndmask_b32_e32 v4, v4, v7, vcc
	v_cmp_ne_u32_e32 vcc, 0, v3
	v_cndmask_b32_e32 v3, v5, v4, vcc
	v_add_u32_e32 v4, 0x7fff, v3
	v_cmp_o_f32_e32 vcc, v3, v3
	v_cndmask_b32_sdwa v3, v6, v4, vcc dst_sel:DWORD dst_unused:UNUSED_PAD src0_sel:DWORD src1_sel:WORD_1
	s_branch .LBB34_146
.LBB34_36:
	s_mov_b64 s[4:5], -1
	s_mov_b64 s[0:1], 0
	s_mov_b64 s[2:3], 0
.LBB34_37:
	s_and_b64 vcc, exec, s[4:5]
	s_cbranch_vccz .LBB34_42
; %bb.38:
	s_cmp_eq_u32 s23, 44
	s_mov_b64 s[0:1], -1
	s_cbranch_scc0 .LBB34_42
; %bb.39:
	v_and_b32_e32 v5, 0xffff, v3
	v_bfe_u32 v4, v5, 7, 8
	s_movk_i32 s0, 0xff
	v_cmp_ne_u32_e32 vcc, s0, v4
	v_mov_b32_e32 v6, 0xff
	s_and_saveexec_b64 s[2:3], vcc
	s_cbranch_execz .LBB34_41
; %bb.40:
	v_lshlrev_b32_e32 v7, 16, v5
	s_mov_b32 s0, 0x3f0000
	v_lshrrev_b32_e32 v6, 7, v5
	v_and_b32_e32 v5, 64, v5
	v_and_or_b32 v4, v7, s0, v4
	v_cmp_ne_u32_e32 vcc, 0, v5
	v_cmp_ne_u32_e64 s[0:1], 0, v4
	s_and_b64 s[0:1], vcc, s[0:1]
	v_cndmask_b32_e64 v4, 0, 1, s[0:1]
	v_add_u32_e32 v6, v6, v4
.LBB34_41:
	s_or_b64 exec, exec, s[2:3]
	s_mov_b64 s[2:3], -1
	s_mov_b64 s[0:1], 0
	global_store_byte v[0:1], v6, off
.LBB34_42:
	s_mov_b64 s[4:5], 0
.LBB34_43:
	s_and_b64 vcc, exec, s[4:5]
	s_cbranch_vccz .LBB34_46
; %bb.44:
	s_cmp_eq_u32 s23, 29
	s_mov_b64 s[0:1], -1
	s_cbranch_scc0 .LBB34_46
; %bb.45:
	v_lshlrev_b32_e32 v4, 16, v3
	v_trunc_f32_e32 v4, v4
	v_mul_f32_e32 v5, 0x2f800000, v4
	v_floor_f32_e32 v6, v5
	v_fmac_f32_e32 v4, 0xcf800000, v6
	v_cvt_u32_f32_e32 v5, v6
	v_cvt_u32_f32_e32 v4, v4
	s_mov_b64 s[2:3], -1
	s_mov_b64 s[0:1], 0
	s_mov_b64 s[4:5], 0
	global_store_dwordx2 v[0:1], v[4:5], off
	s_branch .LBB34_47
.LBB34_46:
	s_mov_b64 s[4:5], 0
.LBB34_47:
	s_and_b64 vcc, exec, s[4:5]
	s_cbranch_vccz .LBB34_63
; %bb.48:
	s_cmp_lt_i32 s23, 27
	s_mov_b64 s[2:3], -1
	s_cbranch_scc1 .LBB34_54
; %bb.49:
	s_cmp_gt_i32 s23, 27
	s_cbranch_scc0 .LBB34_51
; %bb.50:
	v_lshlrev_b32_e32 v4, 16, v3
	v_cvt_u32_f32_e32 v4, v4
	s_mov_b64 s[2:3], 0
	global_store_dword v[0:1], v4, off
.LBB34_51:
	s_andn2_b64 vcc, exec, s[2:3]
	s_cbranch_vccnz .LBB34_53
; %bb.52:
	v_lshlrev_b32_e32 v4, 16, v3
	v_cvt_u32_f32_e32 v4, v4
	global_store_short v[0:1], v4, off
.LBB34_53:
	s_mov_b64 s[2:3], 0
.LBB34_54:
	s_andn2_b64 vcc, exec, s[2:3]
	s_cbranch_vccnz .LBB34_62
; %bb.55:
	v_lshlrev_b32_e32 v6, 16, v3
	v_and_b32_e32 v5, 0x7fffffff, v6
	s_mov_b32 s2, 0x43800000
	v_cmp_gt_u32_e32 vcc, s2, v5
	v_mov_b32_e32 v7, 0x80
	s_and_saveexec_b64 s[2:3], vcc
	s_cbranch_execz .LBB34_61
; %bb.56:
	s_mov_b32 s4, 0x3bffffff
	v_and_b32_e32 v4, 0xffff, v3
	v_cmp_lt_u32_e32 vcc, s4, v5
	s_mov_b64 s[4:5], 0
                                        ; implicit-def: $vgpr5
	s_and_saveexec_b64 s[16:17], vcc
	s_xor_b64 s[16:17], exec, s[16:17]
	s_cbranch_execz .LBB34_286
; %bb.57:
	v_bfe_u32 v5, v4, 4, 1
	s_mov_b32 s26, 0x487ffff
	v_add3_u32 v5, v6, v5, s26
	s_mov_b64 s[4:5], exec
	v_lshrrev_b32_e32 v5, 20, v5
                                        ; implicit-def: $vgpr6
	s_andn2_saveexec_b64 s[16:17], s[16:17]
	s_cbranch_execnz .LBB34_287
.LBB34_58:
	s_or_b64 exec, exec, s[16:17]
	v_mov_b32_e32 v7, 0
	s_and_saveexec_b64 s[16:17], s[4:5]
.LBB34_59:
	v_lshrrev_b32_e32 v4, 8, v4
	s_movk_i32 s4, 0x80
	v_and_or_b32 v7, v4, s4, v5
.LBB34_60:
	s_or_b64 exec, exec, s[16:17]
.LBB34_61:
	s_or_b64 exec, exec, s[2:3]
	global_store_byte v[0:1], v7, off
.LBB34_62:
	s_mov_b64 s[2:3], -1
.LBB34_63:
	s_mov_b64 s[4:5], 0
.LBB34_64:
	s_and_b64 vcc, exec, s[4:5]
	s_cbranch_vccz .LBB34_105
; %bb.65:
	s_cmp_gt_i32 s23, 22
	s_mov_b64 s[4:5], -1
	s_cbranch_scc0 .LBB34_97
; %bb.66:
	s_cmp_lt_i32 s23, 24
	s_mov_b64 s[2:3], -1
	s_cbranch_scc1 .LBB34_86
; %bb.67:
	s_cmp_gt_i32 s23, 24
	s_cbranch_scc0 .LBB34_75
; %bb.68:
	v_lshlrev_b32_e32 v6, 16, v3
	v_and_b32_e32 v5, 0x7fffffff, v6
	s_mov_b32 s2, 0x47800000
	v_cmp_gt_u32_e32 vcc, s2, v5
	v_mov_b32_e32 v7, 0x80
	s_and_saveexec_b64 s[2:3], vcc
	s_cbranch_execz .LBB34_74
; %bb.69:
	s_mov_b32 s4, 0x37ffffff
	v_and_b32_e32 v4, 0xffff, v3
	v_cmp_lt_u32_e32 vcc, s4, v5
	s_mov_b64 s[4:5], 0
                                        ; implicit-def: $vgpr5
	s_and_saveexec_b64 s[16:17], vcc
	s_xor_b64 s[16:17], exec, s[16:17]
	s_cbranch_execz .LBB34_290
; %bb.70:
	v_bfe_u32 v5, v4, 5, 1
	s_mov_b32 s26, 0x88fffff
	v_add3_u32 v5, v6, v5, s26
	s_mov_b64 s[4:5], exec
	v_lshrrev_b32_e32 v5, 21, v5
                                        ; implicit-def: $vgpr6
	s_andn2_saveexec_b64 s[16:17], s[16:17]
	s_cbranch_execnz .LBB34_291
.LBB34_71:
	s_or_b64 exec, exec, s[16:17]
	v_mov_b32_e32 v7, 0
	s_and_saveexec_b64 s[16:17], s[4:5]
.LBB34_72:
	v_lshrrev_b32_e32 v4, 8, v4
	s_movk_i32 s4, 0x80
	v_and_or_b32 v7, v4, s4, v5
.LBB34_73:
	s_or_b64 exec, exec, s[16:17]
.LBB34_74:
	s_or_b64 exec, exec, s[2:3]
	s_mov_b64 s[2:3], 0
	global_store_byte v[0:1], v7, off
.LBB34_75:
	s_and_b64 vcc, exec, s[2:3]
	s_cbranch_vccz .LBB34_85
; %bb.76:
	v_lshlrev_b32_e32 v6, 16, v3
	v_and_b32_e32 v7, 0x7fffffff, v6
	s_mov_b32 s2, 0x43f00000
	v_and_b32_e32 v4, 0xffff, v3
	v_cmp_gt_u32_e32 vcc, s2, v7
                                        ; implicit-def: $vgpr5
	s_and_saveexec_b64 s[2:3], vcc
	s_xor_b64 s[2:3], exec, s[2:3]
	s_cbranch_execz .LBB34_82
; %bb.77:
	s_mov_b32 s4, 0x3c7fffff
	v_cmp_lt_u32_e32 vcc, s4, v7
                                        ; implicit-def: $vgpr5
	s_and_saveexec_b64 s[4:5], vcc
	s_xor_b64 s[4:5], exec, s[4:5]
; %bb.78:
	v_bfe_u32 v5, v4, 4, 1
	s_mov_b32 s16, 0x407ffff
	v_add3_u32 v5, v6, v5, s16
	v_lshrrev_b32_e32 v6, 20, v5
	v_and_b32_e32 v5, 0xff00000, v5
	s_mov_b32 s16, 0x7f00000
	v_mov_b32_e32 v7, 0x7e
	v_cmp_ne_u32_e32 vcc, s16, v5
	v_cndmask_b32_e32 v5, v7, v6, vcc
                                        ; implicit-def: $vgpr6
; %bb.79:
	s_andn2_saveexec_b64 s[4:5], s[4:5]
; %bb.80:
	s_mov_b32 s16, 0x46800000
	v_add_f32_e64 v5, |v6|, s16
; %bb.81:
	s_or_b64 exec, exec, s[4:5]
                                        ; implicit-def: $vgpr7
.LBB34_82:
	s_andn2_saveexec_b64 s[2:3], s[2:3]
; %bb.83:
	s_mov_b32 s4, 0x7f800000
	v_mov_b32_e32 v5, 0x7e
	v_mov_b32_e32 v6, 0x7f
	v_cmp_lt_u32_e32 vcc, s4, v7
	v_cndmask_b32_e32 v5, v5, v6, vcc
; %bb.84:
	s_or_b64 exec, exec, s[2:3]
	v_lshrrev_b32_e32 v4, 8, v4
	s_movk_i32 s2, 0x80
	v_and_or_b32 v4, v4, s2, v5
	global_store_byte v[0:1], v4, off
.LBB34_85:
	s_mov_b64 s[2:3], 0
.LBB34_86:
	s_andn2_b64 vcc, exec, s[2:3]
	s_cbranch_vccnz .LBB34_96
; %bb.87:
	v_lshlrev_b32_e32 v6, 16, v3
	v_and_b32_e32 v7, 0x7fffffff, v6
	s_mov_b32 s2, 0x47800000
	v_and_b32_e32 v4, 0xffff, v3
	v_cmp_gt_u32_e32 vcc, s2, v7
                                        ; implicit-def: $vgpr5
	s_and_saveexec_b64 s[2:3], vcc
	s_xor_b64 s[2:3], exec, s[2:3]
	s_cbranch_execz .LBB34_93
; %bb.88:
	s_mov_b32 s4, 0x387fffff
	v_cmp_lt_u32_e32 vcc, s4, v7
                                        ; implicit-def: $vgpr5
	s_and_saveexec_b64 s[4:5], vcc
	s_xor_b64 s[4:5], exec, s[4:5]
; %bb.89:
	v_bfe_u32 v5, v4, 5, 1
	s_mov_b32 s16, 0x80fffff
	v_add3_u32 v5, v6, v5, s16
	v_lshrrev_b32_e32 v5, 21, v5
                                        ; implicit-def: $vgpr6
; %bb.90:
	s_andn2_saveexec_b64 s[4:5], s[4:5]
; %bb.91:
	s_mov_b32 s16, 0x43000000
	v_add_f32_e64 v5, |v6|, s16
; %bb.92:
	s_or_b64 exec, exec, s[4:5]
                                        ; implicit-def: $vgpr7
.LBB34_93:
	s_andn2_saveexec_b64 s[2:3], s[2:3]
; %bb.94:
	s_mov_b32 s4, 0x7f800000
	v_mov_b32_e32 v5, 0x7c
	v_mov_b32_e32 v6, 0x7f
	v_cmp_lt_u32_e32 vcc, s4, v7
	v_cndmask_b32_e32 v5, v5, v6, vcc
; %bb.95:
	s_or_b64 exec, exec, s[2:3]
	v_lshrrev_b32_e32 v4, 8, v4
	s_movk_i32 s2, 0x80
	v_and_or_b32 v4, v4, s2, v5
	global_store_byte v[0:1], v4, off
.LBB34_96:
	s_mov_b64 s[4:5], 0
	s_mov_b64 s[2:3], -1
.LBB34_97:
	s_andn2_b64 vcc, exec, s[4:5]
	s_cbranch_vccnz .LBB34_105
; %bb.98:
	s_cmp_gt_i32 s23, 14
	s_mov_b64 s[4:5], -1
	s_cbranch_scc0 .LBB34_102
; %bb.99:
	s_cmp_eq_u32 s23, 15
	s_mov_b64 s[0:1], -1
	s_cbranch_scc0 .LBB34_101
; %bb.100:
	global_store_short v[0:1], v3, off
	s_mov_b64 s[2:3], -1
	s_mov_b64 s[0:1], 0
.LBB34_101:
	s_mov_b64 s[4:5], 0
.LBB34_102:
	s_and_b64 vcc, exec, s[4:5]
	s_cbranch_vccz .LBB34_105
; %bb.103:
	s_cmp_eq_u32 s23, 11
	s_mov_b64 s[0:1], -1
	s_cbranch_scc0 .LBB34_105
; %bb.104:
	v_and_b32_e32 v4, 0x7fff, v3
	v_cmp_ne_u16_e32 vcc, 0, v4
	v_cndmask_b32_e64 v4, 0, 1, vcc
	s_mov_b64 s[2:3], -1
	s_mov_b64 s[0:1], 0
	global_store_byte v[0:1], v4, off
.LBB34_105:
	s_branch .LBB34_24
.LBB34_106:
	s_and_b32 s4, 0xffff, s22
	s_cmp_lt_i32 s4, 5
	s_mov_b64 s[2:3], -1
	s_cbranch_scc1 .LBB34_127
; %bb.107:
	s_cmp_lt_i32 s4, 8
	s_cbranch_scc1 .LBB34_117
; %bb.108:
	s_cmp_lt_i32 s4, 9
	s_cbranch_scc1 .LBB34_114
; %bb.109:
	s_cmp_gt_i32 s4, 9
	s_cbranch_scc0 .LBB34_111
; %bb.110:
	v_lshlrev_b32_e32 v4, 16, v3
	v_cvt_f64_f32_e32 v[4:5], v4
	v_mov_b32_e32 v6, 0
	v_mov_b32_e32 v7, v6
	s_mov_b64 s[2:3], 0
	global_store_dwordx4 v[0:1], v[4:7], off
.LBB34_111:
	s_andn2_b64 vcc, exec, s[2:3]
	s_cbranch_vccnz .LBB34_113
; %bb.112:
	v_lshlrev_b32_e32 v4, 16, v3
	v_mov_b32_e32 v5, 0
	global_store_dwordx2 v[0:1], v[4:5], off
.LBB34_113:
	s_mov_b64 s[2:3], 0
.LBB34_114:
	s_andn2_b64 vcc, exec, s[2:3]
	s_cbranch_vccnz .LBB34_116
; %bb.115:
	v_lshlrev_b32_e32 v4, 16, v3
	v_cvt_f16_f32_e32 v4, v4
	global_store_dword v[0:1], v4, off
.LBB34_116:
	s_mov_b64 s[2:3], 0
.LBB34_117:
	s_andn2_b64 vcc, exec, s[2:3]
	s_cbranch_vccnz .LBB34_126
; %bb.118:
	s_cmp_lt_i32 s4, 6
	s_mov_b64 s[2:3], -1
	s_cbranch_scc1 .LBB34_124
; %bb.119:
	s_cmp_gt_i32 s4, 6
	s_cbranch_scc0 .LBB34_121
; %bb.120:
	v_lshlrev_b32_e32 v4, 16, v3
	v_cvt_f64_f32_e32 v[4:5], v4
	s_mov_b64 s[2:3], 0
	global_store_dwordx2 v[0:1], v[4:5], off
.LBB34_121:
	s_andn2_b64 vcc, exec, s[2:3]
	s_cbranch_vccnz .LBB34_123
; %bb.122:
	v_lshlrev_b32_e32 v4, 16, v3
	global_store_dword v[0:1], v4, off
.LBB34_123:
	s_mov_b64 s[2:3], 0
.LBB34_124:
	s_andn2_b64 vcc, exec, s[2:3]
	s_cbranch_vccnz .LBB34_126
; %bb.125:
	v_lshlrev_b32_e32 v4, 16, v3
	v_cvt_f16_f32_e32 v4, v4
	global_store_short v[0:1], v4, off
.LBB34_126:
	s_mov_b64 s[2:3], 0
.LBB34_127:
	s_andn2_b64 vcc, exec, s[2:3]
	s_cbranch_vccnz .LBB34_143
; %bb.128:
	s_cmp_lt_i32 s4, 2
	s_mov_b64 s[2:3], -1
	s_cbranch_scc1 .LBB34_138
; %bb.129:
	s_cmp_lt_i32 s4, 3
	s_cbranch_scc1 .LBB34_135
; %bb.130:
	s_cmp_gt_i32 s4, 3
	s_cbranch_scc0 .LBB34_132
; %bb.131:
	v_lshlrev_b32_e32 v4, 16, v3
	v_trunc_f32_e32 v4, v4
	s_mov_b32 s2, 0x2f800000
	v_mul_f32_e64 v5, |v4|, s2
	v_floor_f32_e32 v5, v5
	s_mov_b32 s2, 0xcf800000
	v_cvt_u32_f32_e32 v6, v5
	v_fma_f32 v5, v5, s2, |v4|
	v_cvt_u32_f32_e32 v5, v5
	v_ashrrev_i32_e32 v7, 31, v4
	v_xor_b32_e32 v6, v6, v7
	s_mov_b64 s[2:3], 0
	v_xor_b32_e32 v4, v5, v7
	v_sub_co_u32_e32 v4, vcc, v4, v7
	v_subb_co_u32_e32 v5, vcc, v6, v7, vcc
	global_store_dwordx2 v[0:1], v[4:5], off
.LBB34_132:
	s_andn2_b64 vcc, exec, s[2:3]
	s_cbranch_vccnz .LBB34_134
; %bb.133:
	v_lshlrev_b32_e32 v4, 16, v3
	v_cvt_i32_f32_e32 v4, v4
	global_store_dword v[0:1], v4, off
.LBB34_134:
	s_mov_b64 s[2:3], 0
.LBB34_135:
	s_andn2_b64 vcc, exec, s[2:3]
	s_cbranch_vccnz .LBB34_137
; %bb.136:
	v_lshlrev_b32_e32 v4, 16, v3
	v_cvt_i32_f32_e32 v4, v4
	global_store_short v[0:1], v4, off
.LBB34_137:
	s_mov_b64 s[2:3], 0
.LBB34_138:
	s_andn2_b64 vcc, exec, s[2:3]
	s_cbranch_vccnz .LBB34_143
; %bb.139:
	s_mov_b64 s[2:3], -1
	s_cmp_gt_i32 s4, 0
	v_lshlrev_b32_e32 v3, 16, v3
	s_cbranch_scc0 .LBB34_141
; %bb.140:
	v_cvt_i32_f32_e32 v4, v3
	s_mov_b64 s[2:3], 0
	global_store_byte v[0:1], v4, off
.LBB34_141:
	s_andn2_b64 vcc, exec, s[2:3]
	s_cbranch_vccnz .LBB34_143
; %bb.142:
	v_trunc_f32_e32 v3, v3
	s_mov_b32 s2, 0x2f800000
	v_mul_f32_e64 v4, |v3|, s2
	v_floor_f32_e32 v4, v4
	s_mov_b32 s2, 0xcf800000
	v_fma_f32 v4, v4, s2, |v3|
	v_cvt_u32_f32_e32 v4, v4
	v_ashrrev_i32_e32 v3, 31, v3
	v_xor_b32_e32 v4, v4, v3
	v_sub_u32_e32 v3, v4, v3
	global_store_byte v[0:1], v3, off
.LBB34_143:
	s_branch .LBB34_25
.LBB34_144:
	s_mov_b64 s[2:3], 0
                                        ; implicit-def: $vgpr2
	s_branch .LBB34_254
.LBB34_145:
	s_mov_b64 s[18:19], -1
                                        ; implicit-def: $vgpr3
.LBB34_146:
	s_mov_b64 s[2:3], 0
.LBB34_147:
	s_and_b64 vcc, exec, s[2:3]
	s_cbranch_vccz .LBB34_151
; %bb.148:
	s_cmp_eq_u32 s16, 29
	s_cbranch_scc0 .LBB34_150
; %bb.149:
	global_load_dwordx2 v[3:4], v[0:1], off
	s_movk_i32 s2, 0x7fff
	s_mov_b64 s[0:1], -1
	s_mov_b64 s[18:19], 0
	s_waitcnt vmcnt(0)
	v_ffbh_u32_e32 v5, v4
	v_min_u32_e32 v5, 32, v5
	v_lshlrev_b64 v[3:4], v5, v[3:4]
	v_min_u32_e32 v3, 1, v3
	v_or_b32_e32 v3, v4, v3
	v_cvt_f32_u32_e32 v3, v3
	v_sub_u32_e32 v4, 32, v5
	v_ldexp_f32 v3, v3, v4
	v_bfe_u32 v4, v3, 16, 1
	v_add3_u32 v3, v3, v4, s2
	v_lshrrev_b32_e32 v3, 16, v3
	s_branch .LBB34_151
.LBB34_150:
	s_mov_b64 s[18:19], -1
                                        ; implicit-def: $vgpr3
.LBB34_151:
	s_mov_b64 s[2:3], 0
.LBB34_152:
	s_and_b64 vcc, exec, s[2:3]
	s_cbranch_vccz .LBB34_170
; %bb.153:
	s_cmp_lt_i32 s16, 27
	s_cbranch_scc1 .LBB34_156
; %bb.154:
	s_cmp_gt_i32 s16, 27
	s_cbranch_scc0 .LBB34_157
; %bb.155:
	global_load_dword v3, v[0:1], off
	s_movk_i32 s0, 0x7fff
	s_waitcnt vmcnt(0)
	v_cvt_f32_u32_e32 v3, v3
	v_bfe_u32 v4, v3, 16, 1
	v_add3_u32 v3, v3, v4, s0
	v_lshrrev_b32_e32 v3, 16, v3
	s_mov_b64 s[0:1], 0
	s_branch .LBB34_158
.LBB34_156:
	s_mov_b64 s[0:1], -1
                                        ; implicit-def: $vgpr3
	s_branch .LBB34_161
.LBB34_157:
	s_mov_b64 s[0:1], -1
                                        ; implicit-def: $vgpr3
.LBB34_158:
	s_andn2_b64 vcc, exec, s[0:1]
	s_cbranch_vccnz .LBB34_160
; %bb.159:
	global_load_ushort v3, v[0:1], off
	s_movk_i32 s0, 0x7fff
	s_waitcnt vmcnt(0)
	v_cvt_f32_u32_e32 v3, v3
	v_bfe_u32 v4, v3, 16, 1
	v_add3_u32 v3, v3, v4, s0
	v_lshrrev_b32_e32 v3, 16, v3
.LBB34_160:
	s_mov_b64 s[0:1], 0
.LBB34_161:
	s_andn2_b64 vcc, exec, s[0:1]
	s_cbranch_vccnz .LBB34_169
; %bb.162:
	global_load_ubyte v3, v[0:1], off
	s_movk_i32 s0, 0x7f
	s_waitcnt vmcnt(0)
	v_cmp_lt_i16_e32 vcc, s0, v3
	s_mov_b64 s[0:1], 0
	s_and_saveexec_b64 s[2:3], vcc
	s_xor_b64 s[2:3], exec, s[2:3]
	s_cbranch_execz .LBB34_182
; %bb.163:
	s_movk_i32 s0, 0x80
	v_cmp_eq_u16_e32 vcc, s0, v3
	s_mov_b64 s[0:1], -1
	s_and_saveexec_b64 s[4:5], vcc
; %bb.164:
	s_xor_b64 s[0:1], exec, -1
; %bb.165:
	s_or_b64 exec, exec, s[4:5]
	s_and_b64 s[0:1], s[0:1], exec
	s_or_saveexec_b64 s[2:3], s[2:3]
	v_mov_b32_e32 v4, 0x7f800001
	s_xor_b64 exec, exec, s[2:3]
	s_cbranch_execnz .LBB34_183
.LBB34_166:
	s_or_b64 exec, exec, s[2:3]
	s_and_saveexec_b64 s[2:3], s[0:1]
	s_cbranch_execz .LBB34_168
.LBB34_167:
	v_lshlrev_b32_e32 v4, 24, v3
	v_and_b32_e32 v3, 0xffff, v3
	v_and_b32_e32 v5, 7, v3
	v_ffbh_u32_e32 v7, v5
	v_min_u32_e32 v7, 32, v7
	v_subrev_u32_e32 v8, 28, v7
	v_bfe_u32 v6, v3, 3, 4
	v_lshlrev_b32_e32 v3, v8, v3
	v_sub_u32_e32 v7, 29, v7
	v_and_b32_e32 v3, 7, v3
	v_cmp_eq_u32_e32 vcc, 0, v6
	v_cndmask_b32_e32 v6, v6, v7, vcc
	v_cndmask_b32_e32 v3, v5, v3, vcc
	v_mov_b32_e32 v5, 0x3b800000
	v_lshlrev_b32_e32 v3, 20, v3
	v_and_b32_e32 v4, 0x80000000, v4
	v_lshl_add_u32 v5, v6, 23, v5
	v_or3_b32 v4, v4, v5, v3
.LBB34_168:
	s_or_b64 exec, exec, s[2:3]
	v_bfe_u32 v3, v4, 16, 1
	s_movk_i32 s0, 0x7fff
	v_add3_u32 v3, v4, v3, s0
	v_cmp_o_f32_e32 vcc, v4, v4
	v_mov_b32_e32 v4, 0x7fc0
	v_cndmask_b32_sdwa v3, v4, v3, vcc dst_sel:DWORD dst_unused:UNUSED_PAD src0_sel:DWORD src1_sel:WORD_1
.LBB34_169:
	s_mov_b64 s[0:1], -1
.LBB34_170:
	s_branch .LBB34_205
.LBB34_171:
	s_cmp_gt_i32 s16, 22
	s_cbranch_scc0 .LBB34_181
; %bb.172:
	s_cmp_lt_i32 s16, 24
	s_cbranch_scc1 .LBB34_184
; %bb.173:
	s_cmp_gt_i32 s16, 24
	s_cbranch_scc0 .LBB34_185
; %bb.174:
	global_load_ubyte v3, v[0:1], off
	s_movk_i32 s0, 0x7f
	s_waitcnt vmcnt(0)
	v_cmp_lt_i16_e32 vcc, s0, v3
	s_mov_b64 s[0:1], 0
	s_and_saveexec_b64 s[2:3], vcc
	s_xor_b64 s[2:3], exec, s[2:3]
	s_cbranch_execz .LBB34_197
; %bb.175:
	s_movk_i32 s0, 0x80
	v_cmp_eq_u16_e32 vcc, s0, v3
	s_mov_b64 s[0:1], -1
	s_and_saveexec_b64 s[4:5], vcc
; %bb.176:
	s_xor_b64 s[0:1], exec, -1
; %bb.177:
	s_or_b64 exec, exec, s[4:5]
	s_and_b64 s[0:1], s[0:1], exec
	s_or_saveexec_b64 s[2:3], s[2:3]
	v_mov_b32_e32 v4, 0x7f800001
	s_xor_b64 exec, exec, s[2:3]
	s_cbranch_execnz .LBB34_198
.LBB34_178:
	s_or_b64 exec, exec, s[2:3]
	s_and_saveexec_b64 s[2:3], s[0:1]
	s_cbranch_execz .LBB34_180
.LBB34_179:
	v_lshlrev_b32_e32 v4, 24, v3
	v_and_b32_e32 v3, 0xffff, v3
	v_and_b32_e32 v5, 3, v3
	v_ffbh_u32_e32 v7, v5
	v_min_u32_e32 v7, 32, v7
	v_subrev_u32_e32 v8, 29, v7
	v_bfe_u32 v6, v3, 2, 5
	v_lshlrev_b32_e32 v3, v8, v3
	v_sub_u32_e32 v7, 30, v7
	v_and_b32_e32 v3, 3, v3
	v_cmp_eq_u32_e32 vcc, 0, v6
	v_cndmask_b32_e32 v6, v6, v7, vcc
	v_cndmask_b32_e32 v3, v5, v3, vcc
	v_mov_b32_e32 v5, 0x37800000
	v_lshlrev_b32_e32 v3, 21, v3
	v_and_b32_e32 v4, 0x80000000, v4
	v_lshl_add_u32 v5, v6, 23, v5
	v_or3_b32 v4, v4, v5, v3
.LBB34_180:
	s_or_b64 exec, exec, s[2:3]
	v_bfe_u32 v3, v4, 16, 1
	s_movk_i32 s0, 0x7fff
	v_add3_u32 v3, v4, v3, s0
	v_cmp_o_f32_e32 vcc, v4, v4
	v_mov_b32_e32 v4, 0x7fc0
	v_cndmask_b32_sdwa v3, v4, v3, vcc dst_sel:DWORD dst_unused:UNUSED_PAD src0_sel:DWORD src1_sel:WORD_1
	s_mov_b64 s[0:1], 0
	s_branch .LBB34_186
.LBB34_181:
	s_mov_b64 s[2:3], -1
                                        ; implicit-def: $vgpr3
	s_branch .LBB34_192
.LBB34_182:
	s_or_saveexec_b64 s[2:3], s[2:3]
	v_mov_b32_e32 v4, 0x7f800001
	s_xor_b64 exec, exec, s[2:3]
	s_cbranch_execz .LBB34_166
.LBB34_183:
	v_cmp_ne_u16_e32 vcc, 0, v3
	s_andn2_b64 s[0:1], s[0:1], exec
	s_and_b64 s[4:5], vcc, exec
	v_mov_b32_e32 v4, 0
	s_or_b64 s[0:1], s[0:1], s[4:5]
	s_or_b64 exec, exec, s[2:3]
	s_and_saveexec_b64 s[2:3], s[0:1]
	s_cbranch_execnz .LBB34_167
	s_branch .LBB34_168
.LBB34_184:
	s_mov_b64 s[0:1], -1
                                        ; implicit-def: $vgpr3
	s_branch .LBB34_189
.LBB34_185:
	s_mov_b64 s[0:1], -1
                                        ; implicit-def: $vgpr3
.LBB34_186:
	s_and_b64 vcc, exec, s[0:1]
	s_cbranch_vccz .LBB34_188
; %bb.187:
	global_load_ubyte v3, v[0:1], off
	s_mov_b32 s0, 0x7f800000
	s_brev_b32 s1, 1
	s_movk_i32 s2, 0x7fff
	s_waitcnt vmcnt(0)
	v_lshlrev_b32_e32 v3, 24, v3
	v_and_b32_e32 v4, 0x7f000000, v3
	v_ffbh_u32_e32 v5, v4
	v_min_u32_e32 v5, 32, v5
	v_sub_u32_e64 v5, v5, 4 clamp
	v_lshlrev_b32_e32 v7, v5, v4
	v_lshlrev_b32_e32 v5, 23, v5
	v_lshrrev_b32_e32 v7, 4, v7
	v_add_u32_e32 v6, 0x1000000, v4
	v_sub_u32_e32 v5, v7, v5
	v_ashrrev_i32_e32 v6, 8, v6
	v_add_u32_e32 v5, 0x3c000000, v5
	v_and_or_b32 v5, v6, s0, v5
	v_cmp_ne_u32_e32 vcc, 0, v4
	v_cndmask_b32_e32 v4, 0, v5, vcc
	v_and_or_b32 v3, v3, s1, v4
	v_bfe_u32 v4, v4, 16, 1
	v_add3_u32 v4, v3, v4, s2
	v_cmp_o_f32_e32 vcc, v3, v3
	v_mov_b32_e32 v3, 0x7fc0
	v_cndmask_b32_sdwa v3, v3, v4, vcc dst_sel:DWORD dst_unused:UNUSED_PAD src0_sel:DWORD src1_sel:WORD_1
.LBB34_188:
	s_mov_b64 s[0:1], 0
.LBB34_189:
	s_andn2_b64 vcc, exec, s[0:1]
	s_cbranch_vccnz .LBB34_191
; %bb.190:
	global_load_ubyte v3, v[0:1], off
	s_movk_i32 s0, 0x7f00
	s_brev_b32 s1, 16
	s_brev_b32 s2, 1
	s_movk_i32 s3, 0x7fff
	s_waitcnt vmcnt(0)
	v_lshlrev_b16_e32 v4, 8, v3
	v_lshlrev_b32_e32 v3, 25, v3
	v_lshrrev_b32_e32 v5, 4, v3
	v_and_or_b32 v6, v4, s0, 0.5
	v_or_b32_e32 v5, 0x70000000, v5
	v_add_f32_e32 v6, -0.5, v6
	v_mul_f32_e32 v5, 0x7800000, v5
	v_cmp_gt_u32_e32 vcc, s1, v3
	v_bfe_i32 v4, v4, 0, 16
	v_cndmask_b32_e32 v3, v5, v6, vcc
	v_and_or_b32 v4, v4, s2, v3
	v_bfe_u32 v3, v3, 16, 1
	v_add3_u32 v3, v4, v3, s3
	v_cmp_o_f32_e32 vcc, v4, v4
	v_mov_b32_e32 v4, 0x7fc0
	v_cndmask_b32_sdwa v3, v4, v3, vcc dst_sel:DWORD dst_unused:UNUSED_PAD src0_sel:DWORD src1_sel:WORD_1
.LBB34_191:
	s_mov_b64 s[2:3], 0
	s_mov_b64 s[0:1], -1
.LBB34_192:
	s_andn2_b64 vcc, exec, s[2:3]
	s_cbranch_vccnz .LBB34_205
; %bb.193:
	s_cmp_gt_i32 s16, 14
	s_cbranch_scc0 .LBB34_196
; %bb.194:
	s_cmp_eq_u32 s16, 15
	s_cbranch_scc0 .LBB34_199
; %bb.195:
	global_load_ushort v3, v[0:1], off
	s_mov_b64 s[0:1], -1
	s_mov_b64 s[18:19], 0
	s_branch .LBB34_200
.LBB34_196:
	s_mov_b64 s[2:3], -1
                                        ; implicit-def: $vgpr3
	s_branch .LBB34_201
.LBB34_197:
	s_or_saveexec_b64 s[2:3], s[2:3]
	v_mov_b32_e32 v4, 0x7f800001
	s_xor_b64 exec, exec, s[2:3]
	s_cbranch_execz .LBB34_178
.LBB34_198:
	v_cmp_ne_u16_e32 vcc, 0, v3
	s_andn2_b64 s[0:1], s[0:1], exec
	s_and_b64 s[4:5], vcc, exec
	v_mov_b32_e32 v4, 0
	s_or_b64 s[0:1], s[0:1], s[4:5]
	s_or_b64 exec, exec, s[2:3]
	s_and_saveexec_b64 s[2:3], s[0:1]
	s_cbranch_execnz .LBB34_179
	s_branch .LBB34_180
.LBB34_199:
	s_mov_b64 s[18:19], -1
                                        ; implicit-def: $vgpr3
.LBB34_200:
	s_mov_b64 s[2:3], 0
.LBB34_201:
	s_and_b64 vcc, exec, s[2:3]
	s_cbranch_vccz .LBB34_205
; %bb.202:
	s_cmp_eq_u32 s16, 11
	s_cbranch_scc0 .LBB34_204
; %bb.203:
	global_load_ubyte v3, v[0:1], off
	s_mov_b64 s[0:1], -1
	s_mov_b64 s[18:19], 0
	s_waitcnt vmcnt(0)
	v_cmp_ne_u16_e32 vcc, 0, v3
	v_cndmask_b32_e64 v3, 0, 1.0, vcc
	v_lshrrev_b32_e32 v3, 16, v3
	s_branch .LBB34_205
.LBB34_204:
	s_mov_b64 s[18:19], -1
                                        ; implicit-def: $vgpr3
.LBB34_205:
	s_branch .LBB34_10
.LBB34_206:
	s_cmp_lt_i32 s16, 5
	s_cbranch_scc1 .LBB34_211
; %bb.207:
	s_cmp_lt_i32 s16, 8
	s_cbranch_scc1 .LBB34_212
; %bb.208:
	;; [unrolled: 3-line block ×3, first 2 shown]
	s_cmp_gt_i32 s16, 9
	s_cbranch_scc0 .LBB34_214
; %bb.210:
	global_load_dwordx2 v[3:4], v[0:1], off
	s_movk_i32 s0, 0x7fff
	s_waitcnt vmcnt(0)
	v_cvt_f32_f64_e32 v3, v[3:4]
	v_mov_b32_e32 v4, 0x7fc0
	v_bfe_u32 v5, v3, 16, 1
	v_cmp_o_f32_e32 vcc, v3, v3
	v_add3_u32 v3, v3, v5, s0
	v_cndmask_b32_sdwa v3, v4, v3, vcc dst_sel:DWORD dst_unused:UNUSED_PAD src0_sel:DWORD src1_sel:WORD_1
	s_mov_b64 s[0:1], 0
	s_branch .LBB34_215
.LBB34_211:
                                        ; implicit-def: $vgpr3
	s_branch .LBB34_233
.LBB34_212:
	s_mov_b64 s[0:1], -1
                                        ; implicit-def: $vgpr3
	s_branch .LBB34_221
.LBB34_213:
	s_mov_b64 s[0:1], -1
                                        ; implicit-def: $vgpr3
	s_branch .LBB34_218
.LBB34_214:
	s_mov_b64 s[0:1], -1
                                        ; implicit-def: $vgpr3
.LBB34_215:
	s_andn2_b64 vcc, exec, s[0:1]
	s_cbranch_vccnz .LBB34_217
; %bb.216:
	global_load_dword v3, v[0:1], off
	s_movk_i32 s0, 0x7fff
	v_mov_b32_e32 v4, 0x7fc0
	s_waitcnt vmcnt(0)
	v_bfe_u32 v5, v3, 16, 1
	v_cmp_o_f32_e32 vcc, v3, v3
	v_add3_u32 v3, v3, v5, s0
	v_cndmask_b32_sdwa v3, v4, v3, vcc dst_sel:DWORD dst_unused:UNUSED_PAD src0_sel:DWORD src1_sel:WORD_1
.LBB34_217:
	s_mov_b64 s[0:1], 0
.LBB34_218:
	s_andn2_b64 vcc, exec, s[0:1]
	s_cbranch_vccnz .LBB34_220
; %bb.219:
	global_load_dword v3, v[0:1], off
	s_movk_i32 s0, 0x7fff
	v_mov_b32_e32 v5, 0x7fc0
	s_waitcnt vmcnt(0)
	v_cvt_f32_f16_e32 v4, v3
	v_cmp_o_f16_e32 vcc, v3, v3
	v_bfe_u32 v3, v4, 16, 1
	v_add3_u32 v3, v4, v3, s0
	v_cndmask_b32_sdwa v3, v5, v3, vcc dst_sel:DWORD dst_unused:UNUSED_PAD src0_sel:DWORD src1_sel:WORD_1
.LBB34_220:
	s_mov_b64 s[0:1], 0
.LBB34_221:
	s_andn2_b64 vcc, exec, s[0:1]
	s_cbranch_vccnz .LBB34_232
; %bb.222:
	s_cmp_lt_i32 s16, 6
	s_cbranch_scc1 .LBB34_225
; %bb.223:
	s_cmp_gt_i32 s16, 6
	s_cbranch_scc0 .LBB34_226
; %bb.224:
	global_load_dwordx2 v[3:4], v[0:1], off
	s_movk_i32 s0, 0x7fff
	s_waitcnt vmcnt(0)
	v_cvt_f32_f64_e32 v3, v[3:4]
	v_mov_b32_e32 v4, 0x7fc0
	v_bfe_u32 v5, v3, 16, 1
	v_cmp_o_f32_e32 vcc, v3, v3
	v_add3_u32 v3, v3, v5, s0
	v_cndmask_b32_sdwa v3, v4, v3, vcc dst_sel:DWORD dst_unused:UNUSED_PAD src0_sel:DWORD src1_sel:WORD_1
	s_mov_b64 s[0:1], 0
	s_branch .LBB34_227
.LBB34_225:
	s_mov_b64 s[0:1], -1
                                        ; implicit-def: $vgpr3
	s_branch .LBB34_230
.LBB34_226:
	s_mov_b64 s[0:1], -1
                                        ; implicit-def: $vgpr3
.LBB34_227:
	s_andn2_b64 vcc, exec, s[0:1]
	s_cbranch_vccnz .LBB34_229
; %bb.228:
	global_load_dword v3, v[0:1], off
	s_movk_i32 s0, 0x7fff
	v_mov_b32_e32 v4, 0x7fc0
	s_waitcnt vmcnt(0)
	v_bfe_u32 v5, v3, 16, 1
	v_cmp_o_f32_e32 vcc, v3, v3
	v_add3_u32 v3, v3, v5, s0
	v_cndmask_b32_sdwa v3, v4, v3, vcc dst_sel:DWORD dst_unused:UNUSED_PAD src0_sel:DWORD src1_sel:WORD_1
.LBB34_229:
	s_mov_b64 s[0:1], 0
.LBB34_230:
	s_andn2_b64 vcc, exec, s[0:1]
	s_cbranch_vccnz .LBB34_232
; %bb.231:
	global_load_ushort v3, v[0:1], off
	s_movk_i32 s0, 0x7fff
	v_mov_b32_e32 v5, 0x7fc0
	s_waitcnt vmcnt(0)
	v_cvt_f32_f16_e32 v4, v3
	v_cmp_o_f16_e32 vcc, v3, v3
	v_bfe_u32 v3, v4, 16, 1
	v_add3_u32 v3, v4, v3, s0
	v_cndmask_b32_sdwa v3, v5, v3, vcc dst_sel:DWORD dst_unused:UNUSED_PAD src0_sel:DWORD src1_sel:WORD_1
.LBB34_232:
	s_cbranch_execnz .LBB34_252
.LBB34_233:
	s_cmp_lt_i32 s16, 2
	s_cbranch_scc1 .LBB34_237
; %bb.234:
	s_cmp_lt_i32 s16, 3
	s_cbranch_scc1 .LBB34_238
; %bb.235:
	s_cmp_gt_i32 s16, 3
	s_cbranch_scc0 .LBB34_239
; %bb.236:
	global_load_dwordx2 v[3:4], v[0:1], off
	s_movk_i32 s0, 0x7fff
	s_waitcnt vmcnt(0)
	v_xor_b32_e32 v6, v3, v4
	v_ffbh_i32_e32 v5, v4
	v_ashrrev_i32_e32 v6, 31, v6
	v_add_u32_e32 v5, -1, v5
	v_add_u32_e32 v6, 32, v6
	v_min_u32_e32 v5, v5, v6
	v_lshlrev_b64 v[3:4], v5, v[3:4]
	v_min_u32_e32 v3, 1, v3
	v_or_b32_e32 v3, v4, v3
	v_cvt_f32_i32_e32 v3, v3
	v_sub_u32_e32 v4, 32, v5
	v_ldexp_f32 v3, v3, v4
	v_bfe_u32 v4, v3, 16, 1
	v_add3_u32 v3, v3, v4, s0
	v_lshrrev_b32_e32 v3, 16, v3
	s_mov_b64 s[0:1], 0
	s_branch .LBB34_240
.LBB34_237:
	s_mov_b64 s[0:1], -1
                                        ; implicit-def: $vgpr3
	s_branch .LBB34_246
.LBB34_238:
	s_mov_b64 s[0:1], -1
                                        ; implicit-def: $vgpr3
	s_branch .LBB34_243
.LBB34_239:
	s_mov_b64 s[0:1], -1
                                        ; implicit-def: $vgpr3
.LBB34_240:
	s_andn2_b64 vcc, exec, s[0:1]
	s_cbranch_vccnz .LBB34_242
; %bb.241:
	global_load_dword v3, v[0:1], off
	s_movk_i32 s0, 0x7fff
	s_waitcnt vmcnt(0)
	v_cvt_f32_i32_e32 v3, v3
	v_bfe_u32 v4, v3, 16, 1
	v_add3_u32 v3, v3, v4, s0
	v_lshrrev_b32_e32 v3, 16, v3
.LBB34_242:
	s_mov_b64 s[0:1], 0
.LBB34_243:
	s_andn2_b64 vcc, exec, s[0:1]
	s_cbranch_vccnz .LBB34_245
; %bb.244:
	global_load_sshort v3, v[0:1], off
	s_movk_i32 s0, 0x7fff
	s_waitcnt vmcnt(0)
	v_cvt_f32_i32_e32 v3, v3
	v_bfe_u32 v4, v3, 16, 1
	v_add3_u32 v3, v3, v4, s0
	v_lshrrev_b32_e32 v3, 16, v3
.LBB34_245:
	s_mov_b64 s[0:1], 0
.LBB34_246:
	s_andn2_b64 vcc, exec, s[0:1]
	s_cbranch_vccnz .LBB34_252
; %bb.247:
	s_cmp_gt_i32 s16, 0
	s_cbranch_scc0 .LBB34_249
; %bb.248:
	global_load_sbyte v3, v[0:1], off
	s_movk_i32 s0, 0x7fff
	s_waitcnt vmcnt(0)
	v_cvt_f32_i32_e32 v3, v3
	v_bfe_u32 v4, v3, 16, 1
	v_add3_u32 v3, v3, v4, s0
	v_lshrrev_b32_e32 v3, 16, v3
	s_mov_b64 s[0:1], 0
	s_branch .LBB34_250
.LBB34_249:
	s_mov_b64 s[0:1], -1
                                        ; implicit-def: $vgpr3
.LBB34_250:
	s_andn2_b64 vcc, exec, s[0:1]
	s_cbranch_vccnz .LBB34_252
; %bb.251:
	global_load_ubyte v0, v[0:1], off
	s_movk_i32 s0, 0x7fff
	s_waitcnt vmcnt(0)
	v_cvt_f32_ubyte0_e32 v0, v0
	v_bfe_u32 v1, v0, 16, 1
	v_add3_u32 v0, v0, v1, s0
	v_lshrrev_b32_e32 v3, 16, v0
.LBB34_252:
	s_branch .LBB34_11
.LBB34_253:
	s_mov_b64 s[0:1], 0
                                        ; implicit-def: $vgpr2
	s_mov_b64 s[2:3], 0
.LBB34_254:
	s_and_b64 s[16:17], s[0:1], exec
	s_and_b64 s[18:19], s[18:19], exec
	s_orn2_b64 s[2:3], s[2:3], exec
.LBB34_255:
	s_or_b64 exec, exec, s[20:21]
	s_mov_b64 s[4:5], 0
	s_mov_b64 s[0:1], 0
                                        ; implicit-def: $vgpr0_vgpr1
                                        ; implicit-def: $vgpr4
	s_and_saveexec_b64 s[20:21], s[2:3]
	s_cbranch_execz .LBB34_264
; %bb.256:
	v_cmp_gt_i32_e32 vcc, s38, v2
	s_mov_b64 s[0:1], -1
	s_mov_b64 s[22:23], s[18:19]
	s_mov_b64 s[24:25], s[16:17]
	s_and_saveexec_b64 s[26:27], vcc
	s_cbranch_execz .LBB34_520
; %bb.257:
	v_mul_lo_u32 v0, v2, s13
	v_mov_b32_e32 v1, s11
	s_and_b32 s24, 0xffff, s42
	s_cmp_lt_i32 s24, 11
	s_waitcnt vmcnt(0)
	v_ashrrev_i32_e32 v3, 31, v0
	v_add_co_u32_e32 v0, vcc, s10, v0
	v_addc_co_u32_e32 v1, vcc, v1, v3, vcc
	s_cbranch_scc1 .LBB34_267
; %bb.258:
	s_cmp_gt_i32 s24, 25
	s_cbranch_scc0 .LBB34_280
; %bb.259:
	s_cmp_gt_i32 s24, 28
	s_cbranch_scc0 .LBB34_282
	;; [unrolled: 3-line block ×4, first 2 shown]
; %bb.262:
	s_cmp_eq_u32 s24, 46
	s_mov_b64 s[2:3], 0
	s_cbranch_scc0 .LBB34_292
; %bb.263:
	global_load_dword v3, v[0:1], off
	s_mov_b64 s[22:23], 0
	s_branch .LBB34_293
.LBB34_264:
	s_or_b64 exec, exec, s[20:21]
	s_mov_b64 s[20:21], 0
	s_and_saveexec_b64 s[2:3], s[18:19]
	s_cbranch_execnz .LBB34_870
.LBB34_265:
	s_or_b64 exec, exec, s[2:3]
	s_and_saveexec_b64 s[2:3], s[24:25]
	s_xor_b64 s[2:3], exec, s[2:3]
	s_cbranch_execz .LBB34_871
.LBB34_266:
	global_load_ubyte v3, v[0:1], off
	s_or_b64 s[0:1], s[0:1], exec
	s_waitcnt vmcnt(0)
	v_cmp_ne_u16_e32 vcc, 0, v3
	v_cndmask_b32_e64 v3, 0, 1.0, vcc
	v_lshrrev_b32_e32 v4, 16, v3
	s_or_b64 exec, exec, s[2:3]
	s_and_saveexec_b64 s[2:3], s[4:5]
	s_cbranch_execz .LBB34_917
	s_branch .LBB34_872
.LBB34_267:
	s_mov_b64 s[0:1], 0
                                        ; implicit-def: $vgpr3
	s_mov_b64 s[22:23], s[18:19]
	s_cbranch_execnz .LBB34_470
.LBB34_268:
	s_andn2_b64 vcc, exec, s[0:1]
	s_cbranch_vccnz .LBB34_518
.LBB34_269:
	s_waitcnt vmcnt(0)
	v_lshlrev_b32_e32 v0, 16, v3
	s_brev_b32 s0, 18
	v_and_b32_e32 v1, 0x7fffffff, v0
	v_cmp_nlt_f32_e64 s[0:1], |v0|, s0
                                        ; implicit-def: $vgpr3
                                        ; implicit-def: $vgpr4
	s_and_saveexec_b64 s[2:3], s[0:1]
	s_xor_b64 s[24:25], exec, s[2:3]
	s_cbranch_execz .LBB34_271
; %bb.270:
	v_and_b32_e32 v3, 0x7fffff, v1
	v_or_b32_e32 v12, 0x800000, v3
	s_mov_b32 s0, 0xfe5163ab
	v_mad_u64_u32 v[3:4], s[0:1], v12, s0, 0
	v_mov_b32_e32 v5, 0
	s_mov_b32 s0, 0x3c439041
	v_mad_u64_u32 v[6:7], s[0:1], v12, s0, v[4:5]
	s_mov_b32 s0, 0xdb629599
	v_not_b32_e32 v11, 63
	v_mov_b32_e32 v4, v7
	v_mad_u64_u32 v[7:8], s[0:1], v12, s0, v[4:5]
	s_mov_b32 s0, 0xf534ddc0
	v_not_b32_e32 v14, 31
	v_mov_b32_e32 v4, v8
	v_mad_u64_u32 v[8:9], s[0:1], v12, s0, v[4:5]
	v_lshrrev_b32_e32 v4, 23, v1
	v_add_u32_e32 v13, 0xffffff88, v4
	v_mov_b32_e32 v4, v9
	s_mov_b32 s0, 0xfc2757d1
	v_mad_u64_u32 v[9:10], s[0:1], v12, s0, v[4:5]
	v_cmp_lt_u32_e32 vcc, 63, v13
	v_cndmask_b32_e32 v4, 0, v11, vcc
	v_add_u32_e32 v13, v4, v13
	v_mov_b32_e32 v4, v10
	s_mov_b32 s0, 0x4e441529
	v_mad_u64_u32 v[10:11], s[0:1], v12, s0, v[4:5]
	v_cmp_lt_u32_e64 s[0:1], 31, v13
	v_cndmask_b32_e64 v4, 0, v14, s[0:1]
	v_add_u32_e32 v13, v4, v13
	v_mov_b32_e32 v4, v11
	s_mov_b32 s2, 0xa2f9836e
	v_mad_u64_u32 v[4:5], s[2:3], v12, s2, v[4:5]
	v_cmp_lt_u32_e64 s[2:3], 31, v13
	v_cndmask_b32_e64 v11, 0, v14, s[2:3]
	v_cndmask_b32_e32 v12, v10, v8, vcc
	v_cndmask_b32_e32 v4, v4, v9, vcc
	;; [unrolled: 1-line block ×3, first 2 shown]
	v_add_u32_e32 v11, v11, v13
	v_cndmask_b32_e64 v13, v4, v12, s[0:1]
	v_cndmask_b32_e64 v4, v5, v4, s[0:1]
	v_cndmask_b32_e32 v5, v9, v7, vcc
	v_cndmask_b32_e64 v9, v12, v5, s[0:1]
	v_cndmask_b32_e64 v4, v4, v13, s[2:3]
	;; [unrolled: 1-line block ×3, first 2 shown]
	v_sub_u32_e32 v12, 32, v11
	v_alignbit_b32 v13, v4, v10, v12
	v_cmp_eq_u32_e64 s[4:5], 0, v11
	v_cndmask_b32_e64 v11, v13, v4, s[4:5]
	v_cndmask_b32_e32 v4, v8, v6, vcc
	v_cndmask_b32_e64 v5, v5, v4, s[0:1]
	v_cndmask_b32_e64 v6, v9, v5, s[2:3]
	v_alignbit_b32 v8, v10, v6, v12
	v_cndmask_b32_e32 v3, v7, v3, vcc
	v_cndmask_b32_e64 v8, v8, v10, s[4:5]
	v_bfe_u32 v13, v11, 29, 1
	v_cndmask_b32_e64 v3, v4, v3, s[0:1]
	v_alignbit_b32 v9, v11, v8, 30
	v_sub_u32_e32 v14, 0, v13
	v_cndmask_b32_e64 v3, v5, v3, s[2:3]
	v_xor_b32_e32 v9, v9, v14
	v_alignbit_b32 v4, v6, v3, v12
	v_cndmask_b32_e64 v4, v4, v6, s[4:5]
	v_ffbh_u32_e32 v6, v9
	v_alignbit_b32 v5, v8, v4, 30
	v_min_u32_e32 v6, 32, v6
	v_alignbit_b32 v3, v4, v3, 30
	v_xor_b32_e32 v5, v5, v14
	v_sub_u32_e32 v7, 31, v6
	v_xor_b32_e32 v3, v3, v14
	v_alignbit_b32 v8, v9, v5, v7
	v_alignbit_b32 v3, v5, v3, v7
	;; [unrolled: 1-line block ×3, first 2 shown]
	v_ffbh_u32_e32 v5, v4
	v_min_u32_e32 v5, 32, v5
	v_lshrrev_b32_e32 v10, 29, v11
	v_not_b32_e32 v7, v5
	v_alignbit_b32 v3, v4, v3, v7
	v_lshlrev_b32_e32 v4, 31, v10
	v_or_b32_e32 v7, 0x33000000, v4
	v_add_lshl_u32 v5, v5, v6, 23
	v_lshrrev_b32_e32 v3, 9, v3
	v_sub_u32_e32 v5, v7, v5
	v_or_b32_e32 v4, 0.5, v4
	v_lshlrev_b32_e32 v6, 23, v6
	v_or_b32_e32 v3, v5, v3
	v_lshrrev_b32_e32 v5, 9, v8
	v_sub_u32_e32 v4, v4, v6
	v_or_b32_e32 v4, v5, v4
	s_mov_b32 s0, 0x3fc90fda
	v_mul_f32_e32 v5, 0x3fc90fda, v4
	v_fma_f32 v6, v4, s0, -v5
	v_fmac_f32_e32 v6, 0x33a22168, v4
	v_fmac_f32_e32 v6, 0x3fc90fda, v3
	v_lshrrev_b32_e32 v3, 30, v11
	v_add_f32_e32 v4, v5, v6
	v_add_u32_e32 v3, v13, v3
.LBB34_271:
	s_andn2_saveexec_b64 s[0:1], s[24:25]
	s_cbranch_execz .LBB34_273
; %bb.272:
	s_mov_b32 s2, 0x3f22f983
	v_mul_f32_e64 v3, |v0|, s2
	v_rndne_f32_e32 v5, v3
	s_mov_b32 s2, 0xbfc90fda
	v_cvt_i32_f32_e32 v3, v5
	v_fma_f32 v4, v5, s2, |v0|
	v_fmac_f32_e32 v4, 0xb3a22168, v5
	v_fmac_f32_e32 v4, 0xa7c234c4, v5
.LBB34_273:
	s_or_b64 exec, exec, s[0:1]
	v_mul_f32_e32 v5, v4, v4
	v_mov_b32_e32 v6, 0x3c0881c4
	v_fmac_f32_e32 v6, 0xb94c1982, v5
	v_mov_b32_e32 v7, 0xbe2aaa9d
	v_fmac_f32_e32 v7, v5, v6
	v_mul_f32_e32 v6, v5, v7
	v_fmac_f32_e32 v4, v4, v6
	v_mov_b32_e32 v6, 0xbab64f3b
	v_fmac_f32_e32 v6, 0x37d75334, v5
	v_mov_b32_e32 v7, 0x3d2aabf7
	;; [unrolled: 2-line block ×3, first 2 shown]
	v_fmac_f32_e32 v6, v5, v7
	v_fma_f32 v5, v5, v6, 1.0
	v_and_b32_e32 v6, 1, v3
	v_lshlrev_b32_e32 v3, 30, v3
	v_cmp_eq_u32_e32 vcc, 0, v6
	v_and_b32_e32 v3, 0x80000000, v3
	v_cndmask_b32_e32 v4, v5, v4, vcc
	v_xor_b32_e32 v1, v1, v3
	v_xor_b32_e32 v1, v1, v4
	s_movk_i32 s0, 0x1f8
	v_xor_b32_e32 v1, v1, v0
	v_mov_b32_e32 v3, 0x7fc00000
	v_cmp_class_f32_e64 vcc, v0, s0
	v_cndmask_b32_e32 v0, v3, v1, vcc
	v_bfe_u32 v1, v0, 16, 1
	s_movk_i32 s0, 0x7fff
	v_add3_u32 v1, v0, v1, s0
	v_cmp_o_f32_e32 vcc, v0, v0
	v_mul_lo_u32 v0, v2, s12
	v_mov_b32_e32 v3, 0x7fc0
	v_cndmask_b32_sdwa v3, v3, v1, vcc dst_sel:DWORD dst_unused:UNUSED_PAD src0_sel:DWORD src1_sel:WORD_1
	v_mov_b32_e32 v4, s9
	v_ashrrev_i32_e32 v1, 31, v0
	s_and_b32 s28, s33, 0xff
	v_add_co_u32_e32 v0, vcc, s8, v0
	s_cmp_lt_i32 s28, 11
	v_addc_co_u32_e32 v1, vcc, v4, v1, vcc
	s_cbranch_scc1 .LBB34_281
; %bb.274:
	s_and_b32 s29, 0xffff, s28
	s_cmp_gt_i32 s29, 25
	s_cbranch_scc0 .LBB34_283
; %bb.275:
	s_cmp_gt_i32 s29, 28
	s_cbranch_scc0 .LBB34_285
; %bb.276:
	;; [unrolled: 3-line block ×4, first 2 shown]
	s_mov_b64 s[4:5], 0
	s_mov_b64 s[0:1], -1
	s_cmp_eq_u32 s29, 46
	s_mov_b64 s[2:3], 0
	s_cbranch_scc0 .LBB34_297
; %bb.279:
	v_and_b32_e32 v4, 0xffff, v3
	global_store_dword v[0:1], v4, off
	s_mov_b64 s[2:3], -1
	s_mov_b64 s[0:1], 0
	s_branch .LBB34_297
.LBB34_280:
	s_mov_b64 s[2:3], -1
	s_mov_b64 s[0:1], 0
	s_mov_b64 s[22:23], s[18:19]
                                        ; implicit-def: $vgpr3
	s_branch .LBB34_434
.LBB34_281:
	s_mov_b64 s[4:5], -1
	s_mov_b64 s[2:3], 0
	s_mov_b64 s[0:1], s[16:17]
	s_branch .LBB34_366
.LBB34_282:
	s_mov_b64 s[2:3], -1
	s_mov_b64 s[0:1], 0
	s_mov_b64 s[22:23], s[18:19]
                                        ; implicit-def: $vgpr3
	s_branch .LBB34_415
.LBB34_283:
	s_mov_b64 s[4:5], -1
	s_mov_b64 s[2:3], 0
	s_mov_b64 s[0:1], s[16:17]
	s_branch .LBB34_324
.LBB34_284:
	s_mov_b64 s[2:3], -1
	s_mov_b64 s[0:1], 0
	s_mov_b64 s[22:23], s[18:19]
                                        ; implicit-def: $vgpr3
	s_branch .LBB34_410
.LBB34_285:
	s_mov_b64 s[4:5], -1
	s_mov_b64 s[2:3], 0
	s_mov_b64 s[0:1], s[16:17]
	s_branch .LBB34_307
.LBB34_286:
	s_andn2_saveexec_b64 s[16:17], s[16:17]
	s_cbranch_execz .LBB34_58
.LBB34_287:
	s_mov_b32 s26, 0x46000000
	v_add_f32_e64 v5, |v6|, s26
	v_and_b32_e32 v5, 0xff, v5
	v_cmp_ne_u32_e32 vcc, 0, v5
	s_andn2_b64 s[4:5], s[4:5], exec
	s_and_b64 s[26:27], vcc, exec
	s_or_b64 s[4:5], s[4:5], s[26:27]
	s_or_b64 exec, exec, s[16:17]
	v_mov_b32_e32 v7, 0
	s_and_saveexec_b64 s[16:17], s[4:5]
	s_cbranch_execnz .LBB34_59
	s_branch .LBB34_60
.LBB34_288:
	s_mov_b64 s[2:3], -1
	s_mov_b64 s[0:1], 0
	s_mov_b64 s[22:23], s[18:19]
                                        ; implicit-def: $vgpr3
	s_branch .LBB34_293
.LBB34_289:
	s_mov_b64 s[4:5], -1
	s_mov_b64 s[2:3], 0
	s_mov_b64 s[0:1], s[16:17]
	s_branch .LBB34_303
.LBB34_290:
	s_andn2_saveexec_b64 s[16:17], s[16:17]
	s_cbranch_execz .LBB34_71
.LBB34_291:
	s_mov_b32 s26, 0x42800000
	v_add_f32_e64 v5, |v6|, s26
	v_and_b32_e32 v5, 0xff, v5
	v_cmp_ne_u32_e32 vcc, 0, v5
	s_andn2_b64 s[4:5], s[4:5], exec
	s_and_b64 s[26:27], vcc, exec
	s_or_b64 s[4:5], s[4:5], s[26:27]
	s_or_b64 exec, exec, s[16:17]
	v_mov_b32_e32 v7, 0
	s_and_saveexec_b64 s[16:17], s[4:5]
	s_cbranch_execnz .LBB34_72
	s_branch .LBB34_73
.LBB34_292:
	s_mov_b64 s[22:23], -1
                                        ; implicit-def: $vgpr3
	s_mov_b64 s[0:1], 0
.LBB34_293:
	s_and_b64 vcc, exec, s[2:3]
	s_cbranch_vccz .LBB34_409
; %bb.294:
	s_cmp_eq_u32 s24, 44
	s_cbranch_scc0 .LBB34_408
; %bb.295:
	global_load_ubyte v3, v[0:1], off
	s_movk_i32 s2, 0xff
	v_mov_b32_e32 v4, 0x7f800001
	v_mov_b32_e32 v5, 0x400000
	;; [unrolled: 1-line block ×3, first 2 shown]
	s_mov_b64 s[0:1], -1
	s_mov_b64 s[22:23], 0
	s_waitcnt vmcnt(0)
	v_lshlrev_b32_e32 v7, 23, v3
	v_cmp_ne_u32_e32 vcc, s2, v3
	v_cndmask_b32_e32 v4, v4, v7, vcc
	v_cmp_ne_u32_e32 vcc, 0, v3
	v_cndmask_b32_e32 v3, v5, v4, vcc
	v_add_u32_e32 v4, 0x7fff, v3
	v_cmp_o_f32_e32 vcc, v3, v3
	v_cndmask_b32_sdwa v3, v6, v4, vcc dst_sel:DWORD dst_unused:UNUSED_PAD src0_sel:DWORD src1_sel:WORD_1
	s_branch .LBB34_409
.LBB34_296:
	s_mov_b64 s[4:5], -1
	s_mov_b64 s[2:3], 0
	s_mov_b64 s[0:1], s[16:17]
.LBB34_297:
	s_and_b64 vcc, exec, s[4:5]
	s_cbranch_vccz .LBB34_302
; %bb.298:
	s_cmp_eq_u32 s29, 44
	s_mov_b64 s[0:1], -1
	s_cbranch_scc0 .LBB34_302
; %bb.299:
	v_and_b32_e32 v5, 0xffff, v3
	v_bfe_u32 v4, v5, 7, 8
	s_movk_i32 s0, 0xff
	v_cmp_ne_u32_e32 vcc, s0, v4
	v_mov_b32_e32 v6, 0xff
	s_and_saveexec_b64 s[2:3], vcc
	s_cbranch_execz .LBB34_301
; %bb.300:
	v_lshlrev_b32_e32 v7, 16, v5
	s_mov_b32 s0, 0x3f0000
	v_lshrrev_b32_e32 v6, 7, v5
	v_and_b32_e32 v5, 64, v5
	v_and_or_b32 v4, v7, s0, v4
	v_cmp_ne_u32_e32 vcc, 0, v5
	v_cmp_ne_u32_e64 s[0:1], 0, v4
	s_and_b64 s[0:1], vcc, s[0:1]
	v_cndmask_b32_e64 v4, 0, 1, s[0:1]
	v_add_u32_e32 v6, v6, v4
.LBB34_301:
	s_or_b64 exec, exec, s[2:3]
	s_mov_b64 s[2:3], -1
	s_mov_b64 s[0:1], 0
	global_store_byte v[0:1], v6, off
.LBB34_302:
	s_mov_b64 s[4:5], 0
.LBB34_303:
	s_and_b64 vcc, exec, s[4:5]
	s_cbranch_vccz .LBB34_306
; %bb.304:
	s_cmp_eq_u32 s29, 29
	s_mov_b64 s[0:1], -1
	s_cbranch_scc0 .LBB34_306
; %bb.305:
	v_lshlrev_b32_e32 v4, 16, v3
	v_trunc_f32_e32 v4, v4
	v_mul_f32_e32 v5, 0x2f800000, v4
	v_floor_f32_e32 v6, v5
	v_fmac_f32_e32 v4, 0xcf800000, v6
	v_cvt_u32_f32_e32 v5, v6
	v_cvt_u32_f32_e32 v4, v4
	s_mov_b64 s[2:3], -1
	s_mov_b64 s[0:1], 0
	s_mov_b64 s[4:5], 0
	global_store_dwordx2 v[0:1], v[4:5], off
	s_branch .LBB34_307
.LBB34_306:
	s_mov_b64 s[4:5], 0
.LBB34_307:
	s_and_b64 vcc, exec, s[4:5]
	s_cbranch_vccz .LBB34_323
; %bb.308:
	s_cmp_lt_i32 s29, 27
	s_mov_b64 s[2:3], -1
	s_cbranch_scc1 .LBB34_314
; %bb.309:
	s_cmp_gt_i32 s29, 27
	s_cbranch_scc0 .LBB34_311
; %bb.310:
	v_lshlrev_b32_e32 v4, 16, v3
	v_cvt_u32_f32_e32 v4, v4
	s_mov_b64 s[2:3], 0
	global_store_dword v[0:1], v4, off
.LBB34_311:
	s_andn2_b64 vcc, exec, s[2:3]
	s_cbranch_vccnz .LBB34_313
; %bb.312:
	v_lshlrev_b32_e32 v4, 16, v3
	v_cvt_u32_f32_e32 v4, v4
	global_store_short v[0:1], v4, off
.LBB34_313:
	s_mov_b64 s[2:3], 0
.LBB34_314:
	s_andn2_b64 vcc, exec, s[2:3]
	s_cbranch_vccnz .LBB34_322
; %bb.315:
	v_lshlrev_b32_e32 v6, 16, v3
	v_and_b32_e32 v5, 0x7fffffff, v6
	s_mov_b32 s2, 0x43800000
	v_cmp_gt_u32_e32 vcc, s2, v5
	v_mov_b32_e32 v7, 0x80
	s_and_saveexec_b64 s[2:3], vcc
	s_cbranch_execz .LBB34_321
; %bb.316:
	s_mov_b32 s4, 0x3bffffff
	v_and_b32_e32 v4, 0xffff, v3
	v_cmp_lt_u32_e32 vcc, s4, v5
	s_mov_b64 s[4:5], 0
                                        ; implicit-def: $vgpr5
	s_and_saveexec_b64 s[24:25], vcc
	s_xor_b64 s[24:25], exec, s[24:25]
	s_cbranch_execz .LBB34_533
; %bb.317:
	v_bfe_u32 v5, v4, 4, 1
	s_mov_b32 s30, 0x487ffff
	v_add3_u32 v5, v6, v5, s30
	s_mov_b64 s[4:5], exec
	v_lshrrev_b32_e32 v5, 20, v5
                                        ; implicit-def: $vgpr6
	s_andn2_saveexec_b64 s[24:25], s[24:25]
	s_cbranch_execnz .LBB34_534
.LBB34_318:
	s_or_b64 exec, exec, s[24:25]
	v_mov_b32_e32 v7, 0
	s_and_saveexec_b64 s[24:25], s[4:5]
.LBB34_319:
	v_lshrrev_b32_e32 v4, 8, v4
	s_movk_i32 s4, 0x80
	v_and_or_b32 v7, v4, s4, v5
.LBB34_320:
	s_or_b64 exec, exec, s[24:25]
.LBB34_321:
	s_or_b64 exec, exec, s[2:3]
	global_store_byte v[0:1], v7, off
.LBB34_322:
	s_mov_b64 s[2:3], -1
.LBB34_323:
	s_mov_b64 s[4:5], 0
.LBB34_324:
	s_and_b64 vcc, exec, s[4:5]
	s_cbranch_vccz .LBB34_365
; %bb.325:
	s_cmp_gt_i32 s29, 22
	s_mov_b64 s[4:5], -1
	s_cbranch_scc0 .LBB34_357
; %bb.326:
	s_cmp_lt_i32 s29, 24
	s_mov_b64 s[2:3], -1
	s_cbranch_scc1 .LBB34_346
; %bb.327:
	s_cmp_gt_i32 s29, 24
	s_cbranch_scc0 .LBB34_335
; %bb.328:
	v_lshlrev_b32_e32 v6, 16, v3
	v_and_b32_e32 v5, 0x7fffffff, v6
	s_mov_b32 s2, 0x47800000
	v_cmp_gt_u32_e32 vcc, s2, v5
	v_mov_b32_e32 v7, 0x80
	s_and_saveexec_b64 s[2:3], vcc
	s_cbranch_execz .LBB34_334
; %bb.329:
	s_mov_b32 s4, 0x37ffffff
	v_and_b32_e32 v4, 0xffff, v3
	v_cmp_lt_u32_e32 vcc, s4, v5
	s_mov_b64 s[4:5], 0
                                        ; implicit-def: $vgpr5
	s_and_saveexec_b64 s[24:25], vcc
	s_xor_b64 s[24:25], exec, s[24:25]
	s_cbranch_execz .LBB34_536
; %bb.330:
	v_bfe_u32 v5, v4, 5, 1
	s_mov_b32 s30, 0x88fffff
	v_add3_u32 v5, v6, v5, s30
	s_mov_b64 s[4:5], exec
	v_lshrrev_b32_e32 v5, 21, v5
                                        ; implicit-def: $vgpr6
	s_andn2_saveexec_b64 s[24:25], s[24:25]
	s_cbranch_execnz .LBB34_537
.LBB34_331:
	s_or_b64 exec, exec, s[24:25]
	v_mov_b32_e32 v7, 0
	s_and_saveexec_b64 s[24:25], s[4:5]
.LBB34_332:
	v_lshrrev_b32_e32 v4, 8, v4
	s_movk_i32 s4, 0x80
	v_and_or_b32 v7, v4, s4, v5
.LBB34_333:
	s_or_b64 exec, exec, s[24:25]
.LBB34_334:
	s_or_b64 exec, exec, s[2:3]
	s_mov_b64 s[2:3], 0
	global_store_byte v[0:1], v7, off
.LBB34_335:
	s_and_b64 vcc, exec, s[2:3]
	s_cbranch_vccz .LBB34_345
; %bb.336:
	v_lshlrev_b32_e32 v6, 16, v3
	v_and_b32_e32 v7, 0x7fffffff, v6
	s_mov_b32 s2, 0x43f00000
	v_and_b32_e32 v4, 0xffff, v3
	v_cmp_gt_u32_e32 vcc, s2, v7
                                        ; implicit-def: $vgpr5
	s_and_saveexec_b64 s[2:3], vcc
	s_xor_b64 s[2:3], exec, s[2:3]
	s_cbranch_execz .LBB34_342
; %bb.337:
	s_mov_b32 s4, 0x3c7fffff
	v_cmp_lt_u32_e32 vcc, s4, v7
                                        ; implicit-def: $vgpr5
	s_and_saveexec_b64 s[4:5], vcc
	s_xor_b64 s[4:5], exec, s[4:5]
; %bb.338:
	v_bfe_u32 v5, v4, 4, 1
	s_mov_b32 s24, 0x407ffff
	v_add3_u32 v5, v6, v5, s24
	v_lshrrev_b32_e32 v6, 20, v5
	v_and_b32_e32 v5, 0xff00000, v5
	s_mov_b32 s24, 0x7f00000
	v_mov_b32_e32 v7, 0x7e
	v_cmp_ne_u32_e32 vcc, s24, v5
	v_cndmask_b32_e32 v5, v7, v6, vcc
                                        ; implicit-def: $vgpr6
; %bb.339:
	s_andn2_saveexec_b64 s[4:5], s[4:5]
; %bb.340:
	s_mov_b32 s24, 0x46800000
	v_add_f32_e64 v5, |v6|, s24
; %bb.341:
	s_or_b64 exec, exec, s[4:5]
                                        ; implicit-def: $vgpr7
.LBB34_342:
	s_andn2_saveexec_b64 s[2:3], s[2:3]
; %bb.343:
	s_mov_b32 s4, 0x7f800000
	v_mov_b32_e32 v5, 0x7e
	v_mov_b32_e32 v6, 0x7f
	v_cmp_lt_u32_e32 vcc, s4, v7
	v_cndmask_b32_e32 v5, v5, v6, vcc
; %bb.344:
	s_or_b64 exec, exec, s[2:3]
	v_lshrrev_b32_e32 v4, 8, v4
	s_movk_i32 s2, 0x80
	v_and_or_b32 v4, v4, s2, v5
	global_store_byte v[0:1], v4, off
.LBB34_345:
	s_mov_b64 s[2:3], 0
.LBB34_346:
	s_andn2_b64 vcc, exec, s[2:3]
	s_cbranch_vccnz .LBB34_356
; %bb.347:
	v_lshlrev_b32_e32 v6, 16, v3
	v_and_b32_e32 v7, 0x7fffffff, v6
	s_mov_b32 s2, 0x47800000
	v_and_b32_e32 v4, 0xffff, v3
	v_cmp_gt_u32_e32 vcc, s2, v7
                                        ; implicit-def: $vgpr5
	s_and_saveexec_b64 s[2:3], vcc
	s_xor_b64 s[2:3], exec, s[2:3]
	s_cbranch_execz .LBB34_353
; %bb.348:
	s_mov_b32 s4, 0x387fffff
	v_cmp_lt_u32_e32 vcc, s4, v7
                                        ; implicit-def: $vgpr5
	s_and_saveexec_b64 s[4:5], vcc
	s_xor_b64 s[4:5], exec, s[4:5]
; %bb.349:
	v_bfe_u32 v5, v4, 5, 1
	s_mov_b32 s24, 0x80fffff
	v_add3_u32 v5, v6, v5, s24
	v_lshrrev_b32_e32 v5, 21, v5
                                        ; implicit-def: $vgpr6
; %bb.350:
	s_andn2_saveexec_b64 s[4:5], s[4:5]
; %bb.351:
	s_mov_b32 s24, 0x43000000
	v_add_f32_e64 v5, |v6|, s24
; %bb.352:
	s_or_b64 exec, exec, s[4:5]
                                        ; implicit-def: $vgpr7
.LBB34_353:
	s_andn2_saveexec_b64 s[2:3], s[2:3]
; %bb.354:
	s_mov_b32 s4, 0x7f800000
	v_mov_b32_e32 v5, 0x7c
	v_mov_b32_e32 v6, 0x7f
	v_cmp_lt_u32_e32 vcc, s4, v7
	v_cndmask_b32_e32 v5, v5, v6, vcc
; %bb.355:
	s_or_b64 exec, exec, s[2:3]
	v_lshrrev_b32_e32 v4, 8, v4
	s_movk_i32 s2, 0x80
	v_and_or_b32 v4, v4, s2, v5
	global_store_byte v[0:1], v4, off
.LBB34_356:
	s_mov_b64 s[4:5], 0
	s_mov_b64 s[2:3], -1
.LBB34_357:
	s_andn2_b64 vcc, exec, s[4:5]
	s_cbranch_vccnz .LBB34_365
; %bb.358:
	s_cmp_gt_i32 s29, 14
	s_mov_b64 s[4:5], -1
	s_cbranch_scc0 .LBB34_362
; %bb.359:
	s_cmp_eq_u32 s29, 15
	s_mov_b64 s[0:1], -1
	s_cbranch_scc0 .LBB34_361
; %bb.360:
	global_store_short v[0:1], v3, off
	s_mov_b64 s[2:3], -1
	s_mov_b64 s[0:1], 0
.LBB34_361:
	s_mov_b64 s[4:5], 0
.LBB34_362:
	s_and_b64 vcc, exec, s[4:5]
	s_cbranch_vccz .LBB34_365
; %bb.363:
	s_cmp_eq_u32 s29, 11
	s_mov_b64 s[0:1], -1
	s_cbranch_scc0 .LBB34_365
; %bb.364:
	v_and_b32_e32 v4, 0x7fff, v3
	v_cmp_ne_u16_e32 vcc, 0, v4
	v_cndmask_b32_e64 v4, 0, 1, vcc
	s_mov_b64 s[2:3], -1
	s_mov_b64 s[0:1], 0
	global_store_byte v[0:1], v4, off
.LBB34_365:
	s_mov_b64 s[4:5], 0
.LBB34_366:
	s_and_b64 vcc, exec, s[4:5]
	s_cbranch_vccz .LBB34_405
; %bb.367:
	s_and_b32 s4, 0xffff, s28
	s_cmp_lt_i32 s4, 5
	s_mov_b64 s[2:3], -1
	s_cbranch_scc1 .LBB34_388
; %bb.368:
	s_cmp_lt_i32 s4, 8
	s_cbranch_scc1 .LBB34_378
; %bb.369:
	s_cmp_lt_i32 s4, 9
	s_cbranch_scc1 .LBB34_375
; %bb.370:
	s_cmp_gt_i32 s4, 9
	s_cbranch_scc0 .LBB34_372
; %bb.371:
	v_lshlrev_b32_e32 v4, 16, v3
	v_cvt_f64_f32_e32 v[4:5], v4
	v_mov_b32_e32 v6, 0
	v_mov_b32_e32 v7, v6
	s_mov_b64 s[2:3], 0
	global_store_dwordx4 v[0:1], v[4:7], off
.LBB34_372:
	s_andn2_b64 vcc, exec, s[2:3]
	s_cbranch_vccnz .LBB34_374
; %bb.373:
	v_lshlrev_b32_e32 v4, 16, v3
	v_mov_b32_e32 v5, 0
	global_store_dwordx2 v[0:1], v[4:5], off
.LBB34_374:
	s_mov_b64 s[2:3], 0
.LBB34_375:
	s_andn2_b64 vcc, exec, s[2:3]
	s_cbranch_vccnz .LBB34_377
; %bb.376:
	v_lshlrev_b32_e32 v4, 16, v3
	v_cvt_f16_f32_e32 v4, v4
	global_store_dword v[0:1], v4, off
.LBB34_377:
	s_mov_b64 s[2:3], 0
.LBB34_378:
	s_andn2_b64 vcc, exec, s[2:3]
	s_cbranch_vccnz .LBB34_387
; %bb.379:
	s_cmp_lt_i32 s4, 6
	s_mov_b64 s[2:3], -1
	s_cbranch_scc1 .LBB34_385
; %bb.380:
	s_cmp_gt_i32 s4, 6
	s_cbranch_scc0 .LBB34_382
; %bb.381:
	v_lshlrev_b32_e32 v4, 16, v3
	v_cvt_f64_f32_e32 v[4:5], v4
	s_mov_b64 s[2:3], 0
	global_store_dwordx2 v[0:1], v[4:5], off
.LBB34_382:
	s_andn2_b64 vcc, exec, s[2:3]
	s_cbranch_vccnz .LBB34_384
; %bb.383:
	v_lshlrev_b32_e32 v4, 16, v3
	global_store_dword v[0:1], v4, off
.LBB34_384:
	s_mov_b64 s[2:3], 0
.LBB34_385:
	s_andn2_b64 vcc, exec, s[2:3]
	s_cbranch_vccnz .LBB34_387
; %bb.386:
	v_lshlrev_b32_e32 v4, 16, v3
	v_cvt_f16_f32_e32 v4, v4
	global_store_short v[0:1], v4, off
.LBB34_387:
	s_mov_b64 s[2:3], 0
.LBB34_388:
	s_andn2_b64 vcc, exec, s[2:3]
	s_cbranch_vccnz .LBB34_404
; %bb.389:
	s_cmp_lt_i32 s4, 2
	s_mov_b64 s[2:3], -1
	s_cbranch_scc1 .LBB34_399
; %bb.390:
	s_cmp_lt_i32 s4, 3
	s_cbranch_scc1 .LBB34_396
; %bb.391:
	s_cmp_gt_i32 s4, 3
	s_cbranch_scc0 .LBB34_393
; %bb.392:
	v_lshlrev_b32_e32 v4, 16, v3
	v_trunc_f32_e32 v4, v4
	s_mov_b32 s2, 0x2f800000
	v_mul_f32_e64 v5, |v4|, s2
	v_floor_f32_e32 v5, v5
	s_mov_b32 s2, 0xcf800000
	v_cvt_u32_f32_e32 v6, v5
	v_fma_f32 v5, v5, s2, |v4|
	v_cvt_u32_f32_e32 v5, v5
	v_ashrrev_i32_e32 v7, 31, v4
	v_xor_b32_e32 v6, v6, v7
	s_mov_b64 s[2:3], 0
	v_xor_b32_e32 v4, v5, v7
	v_sub_co_u32_e32 v4, vcc, v4, v7
	v_subb_co_u32_e32 v5, vcc, v6, v7, vcc
	global_store_dwordx2 v[0:1], v[4:5], off
.LBB34_393:
	s_andn2_b64 vcc, exec, s[2:3]
	s_cbranch_vccnz .LBB34_395
; %bb.394:
	v_lshlrev_b32_e32 v4, 16, v3
	v_cvt_i32_f32_e32 v4, v4
	global_store_dword v[0:1], v4, off
.LBB34_395:
	s_mov_b64 s[2:3], 0
.LBB34_396:
	s_andn2_b64 vcc, exec, s[2:3]
	s_cbranch_vccnz .LBB34_398
; %bb.397:
	v_lshlrev_b32_e32 v4, 16, v3
	v_cvt_i32_f32_e32 v4, v4
	global_store_short v[0:1], v4, off
.LBB34_398:
	s_mov_b64 s[2:3], 0
.LBB34_399:
	s_andn2_b64 vcc, exec, s[2:3]
	s_cbranch_vccnz .LBB34_404
; %bb.400:
	s_mov_b64 s[2:3], -1
	s_cmp_gt_i32 s4, 0
	v_lshlrev_b32_e32 v3, 16, v3
	s_cbranch_scc0 .LBB34_402
; %bb.401:
	v_cvt_i32_f32_e32 v4, v3
	s_mov_b64 s[2:3], 0
	global_store_byte v[0:1], v4, off
.LBB34_402:
	s_andn2_b64 vcc, exec, s[2:3]
	s_cbranch_vccnz .LBB34_404
; %bb.403:
	v_trunc_f32_e32 v3, v3
	s_mov_b32 s2, 0x2f800000
	v_mul_f32_e64 v4, |v3|, s2
	v_floor_f32_e32 v4, v4
	s_mov_b32 s2, 0xcf800000
	v_fma_f32 v4, v4, s2, |v3|
	v_cvt_u32_f32_e32 v4, v4
	v_ashrrev_i32_e32 v3, 31, v3
	v_xor_b32_e32 v4, v4, v3
	v_sub_u32_e32 v3, v4, v3
	global_store_byte v[0:1], v3, off
.LBB34_404:
	s_mov_b64 s[2:3], -1
.LBB34_405:
	s_andn2_b64 vcc, exec, s[2:3]
	s_cbranch_vccnz .LBB34_407
; %bb.406:
	v_add_u32_e32 v2, 0x80, v2
	s_mov_b64 s[2:3], -1
	s_branch .LBB34_519
.LBB34_407:
	s_mov_b64 s[2:3], 0
                                        ; implicit-def: $vgpr2
	s_branch .LBB34_519
.LBB34_408:
	s_mov_b64 s[22:23], -1
                                        ; implicit-def: $vgpr3
.LBB34_409:
	s_mov_b64 s[2:3], 0
.LBB34_410:
	s_and_b64 vcc, exec, s[2:3]
	s_cbranch_vccz .LBB34_414
; %bb.411:
	s_cmp_eq_u32 s24, 29
	s_cbranch_scc0 .LBB34_413
; %bb.412:
	global_load_dwordx2 v[3:4], v[0:1], off
	s_movk_i32 s2, 0x7fff
	s_mov_b64 s[0:1], -1
	s_mov_b64 s[22:23], 0
	s_waitcnt vmcnt(0)
	v_ffbh_u32_e32 v5, v4
	v_min_u32_e32 v5, 32, v5
	v_lshlrev_b64 v[3:4], v5, v[3:4]
	v_min_u32_e32 v3, 1, v3
	v_or_b32_e32 v3, v4, v3
	v_cvt_f32_u32_e32 v3, v3
	v_sub_u32_e32 v4, 32, v5
	v_ldexp_f32 v3, v3, v4
	v_bfe_u32 v4, v3, 16, 1
	v_add3_u32 v3, v3, v4, s2
	v_lshrrev_b32_e32 v3, 16, v3
	s_branch .LBB34_414
.LBB34_413:
	s_mov_b64 s[22:23], -1
                                        ; implicit-def: $vgpr3
.LBB34_414:
	s_mov_b64 s[2:3], 0
.LBB34_415:
	s_and_b64 vcc, exec, s[2:3]
	s_cbranch_vccz .LBB34_433
; %bb.416:
	s_cmp_lt_i32 s24, 27
	s_cbranch_scc1 .LBB34_419
; %bb.417:
	s_cmp_gt_i32 s24, 27
	s_cbranch_scc0 .LBB34_420
; %bb.418:
	global_load_dword v3, v[0:1], off
	s_movk_i32 s0, 0x7fff
	s_waitcnt vmcnt(0)
	v_cvt_f32_u32_e32 v3, v3
	v_bfe_u32 v4, v3, 16, 1
	v_add3_u32 v3, v3, v4, s0
	v_lshrrev_b32_e32 v3, 16, v3
	s_mov_b64 s[0:1], 0
	s_branch .LBB34_421
.LBB34_419:
	s_mov_b64 s[0:1], -1
                                        ; implicit-def: $vgpr3
	s_branch .LBB34_424
.LBB34_420:
	s_mov_b64 s[0:1], -1
                                        ; implicit-def: $vgpr3
.LBB34_421:
	s_andn2_b64 vcc, exec, s[0:1]
	s_cbranch_vccnz .LBB34_423
; %bb.422:
	global_load_ushort v3, v[0:1], off
	s_movk_i32 s0, 0x7fff
	s_waitcnt vmcnt(0)
	v_cvt_f32_u32_e32 v3, v3
	v_bfe_u32 v4, v3, 16, 1
	v_add3_u32 v3, v3, v4, s0
	v_lshrrev_b32_e32 v3, 16, v3
.LBB34_423:
	s_mov_b64 s[0:1], 0
.LBB34_424:
	s_andn2_b64 vcc, exec, s[0:1]
	s_cbranch_vccnz .LBB34_432
; %bb.425:
	global_load_ubyte v3, v[0:1], off
	s_movk_i32 s0, 0x7f
	s_waitcnt vmcnt(0)
	v_cmp_lt_i16_e32 vcc, s0, v3
	s_mov_b64 s[0:1], 0
	s_and_saveexec_b64 s[2:3], vcc
	s_xor_b64 s[2:3], exec, s[2:3]
	s_cbranch_execz .LBB34_446
; %bb.426:
	s_movk_i32 s0, 0x80
	v_cmp_eq_u16_e32 vcc, s0, v3
	s_mov_b64 s[0:1], -1
	s_and_saveexec_b64 s[4:5], vcc
; %bb.427:
	s_xor_b64 s[0:1], exec, -1
; %bb.428:
	s_or_b64 exec, exec, s[4:5]
	s_and_b64 s[0:1], s[0:1], exec
	s_or_saveexec_b64 s[2:3], s[2:3]
	v_mov_b32_e32 v4, 0x7f800001
	s_xor_b64 exec, exec, s[2:3]
	s_cbranch_execnz .LBB34_447
.LBB34_429:
	s_or_b64 exec, exec, s[2:3]
	s_and_saveexec_b64 s[2:3], s[0:1]
	s_cbranch_execz .LBB34_431
.LBB34_430:
	v_lshlrev_b32_e32 v4, 24, v3
	v_and_b32_e32 v3, 0xffff, v3
	v_and_b32_e32 v5, 7, v3
	v_ffbh_u32_e32 v7, v5
	v_min_u32_e32 v7, 32, v7
	v_subrev_u32_e32 v8, 28, v7
	v_bfe_u32 v6, v3, 3, 4
	v_lshlrev_b32_e32 v3, v8, v3
	v_sub_u32_e32 v7, 29, v7
	v_and_b32_e32 v3, 7, v3
	v_cmp_eq_u32_e32 vcc, 0, v6
	v_cndmask_b32_e32 v6, v6, v7, vcc
	v_cndmask_b32_e32 v3, v5, v3, vcc
	v_mov_b32_e32 v5, 0x3b800000
	v_lshlrev_b32_e32 v3, 20, v3
	v_and_b32_e32 v4, 0x80000000, v4
	v_lshl_add_u32 v5, v6, 23, v5
	v_or3_b32 v4, v4, v5, v3
.LBB34_431:
	s_or_b64 exec, exec, s[2:3]
	v_bfe_u32 v3, v4, 16, 1
	s_movk_i32 s0, 0x7fff
	v_add3_u32 v3, v4, v3, s0
	v_cmp_o_f32_e32 vcc, v4, v4
	v_mov_b32_e32 v4, 0x7fc0
	v_cndmask_b32_sdwa v3, v4, v3, vcc dst_sel:DWORD dst_unused:UNUSED_PAD src0_sel:DWORD src1_sel:WORD_1
.LBB34_432:
	s_mov_b64 s[0:1], -1
.LBB34_433:
	s_mov_b64 s[2:3], 0
.LBB34_434:
	s_and_b64 vcc, exec, s[2:3]
	s_cbranch_vccz .LBB34_469
; %bb.435:
	s_cmp_gt_i32 s24, 22
	s_cbranch_scc0 .LBB34_445
; %bb.436:
	s_cmp_lt_i32 s24, 24
	s_cbranch_scc1 .LBB34_448
; %bb.437:
	s_cmp_gt_i32 s24, 24
	s_cbranch_scc0 .LBB34_449
; %bb.438:
	global_load_ubyte v3, v[0:1], off
	s_movk_i32 s0, 0x7f
	s_waitcnt vmcnt(0)
	v_cmp_lt_i16_e32 vcc, s0, v3
	s_mov_b64 s[0:1], 0
	s_and_saveexec_b64 s[2:3], vcc
	s_xor_b64 s[2:3], exec, s[2:3]
	s_cbranch_execz .LBB34_461
; %bb.439:
	s_movk_i32 s0, 0x80
	v_cmp_eq_u16_e32 vcc, s0, v3
	s_mov_b64 s[0:1], -1
	s_and_saveexec_b64 s[4:5], vcc
; %bb.440:
	s_xor_b64 s[0:1], exec, -1
; %bb.441:
	s_or_b64 exec, exec, s[4:5]
	s_and_b64 s[0:1], s[0:1], exec
	s_or_saveexec_b64 s[2:3], s[2:3]
	v_mov_b32_e32 v4, 0x7f800001
	s_xor_b64 exec, exec, s[2:3]
	s_cbranch_execnz .LBB34_462
.LBB34_442:
	s_or_b64 exec, exec, s[2:3]
	s_and_saveexec_b64 s[2:3], s[0:1]
	s_cbranch_execz .LBB34_444
.LBB34_443:
	v_lshlrev_b32_e32 v4, 24, v3
	v_and_b32_e32 v3, 0xffff, v3
	v_and_b32_e32 v5, 3, v3
	v_ffbh_u32_e32 v7, v5
	v_min_u32_e32 v7, 32, v7
	v_subrev_u32_e32 v8, 29, v7
	v_bfe_u32 v6, v3, 2, 5
	v_lshlrev_b32_e32 v3, v8, v3
	v_sub_u32_e32 v7, 30, v7
	v_and_b32_e32 v3, 3, v3
	v_cmp_eq_u32_e32 vcc, 0, v6
	v_cndmask_b32_e32 v6, v6, v7, vcc
	v_cndmask_b32_e32 v3, v5, v3, vcc
	v_mov_b32_e32 v5, 0x37800000
	v_lshlrev_b32_e32 v3, 21, v3
	v_and_b32_e32 v4, 0x80000000, v4
	v_lshl_add_u32 v5, v6, 23, v5
	v_or3_b32 v4, v4, v5, v3
.LBB34_444:
	s_or_b64 exec, exec, s[2:3]
	v_bfe_u32 v3, v4, 16, 1
	s_movk_i32 s0, 0x7fff
	v_add3_u32 v3, v4, v3, s0
	v_cmp_o_f32_e32 vcc, v4, v4
	v_mov_b32_e32 v4, 0x7fc0
	v_cndmask_b32_sdwa v3, v4, v3, vcc dst_sel:DWORD dst_unused:UNUSED_PAD src0_sel:DWORD src1_sel:WORD_1
	s_mov_b64 s[0:1], 0
	s_branch .LBB34_450
.LBB34_445:
	s_mov_b64 s[2:3], -1
                                        ; implicit-def: $vgpr3
	s_branch .LBB34_456
.LBB34_446:
	s_or_saveexec_b64 s[2:3], s[2:3]
	v_mov_b32_e32 v4, 0x7f800001
	s_xor_b64 exec, exec, s[2:3]
	s_cbranch_execz .LBB34_429
.LBB34_447:
	v_cmp_ne_u16_e32 vcc, 0, v3
	s_andn2_b64 s[0:1], s[0:1], exec
	s_and_b64 s[4:5], vcc, exec
	v_mov_b32_e32 v4, 0
	s_or_b64 s[0:1], s[0:1], s[4:5]
	s_or_b64 exec, exec, s[2:3]
	s_and_saveexec_b64 s[2:3], s[0:1]
	s_cbranch_execnz .LBB34_430
	s_branch .LBB34_431
.LBB34_448:
	s_mov_b64 s[0:1], -1
                                        ; implicit-def: $vgpr3
	s_branch .LBB34_453
.LBB34_449:
	s_mov_b64 s[0:1], -1
                                        ; implicit-def: $vgpr3
.LBB34_450:
	s_and_b64 vcc, exec, s[0:1]
	s_cbranch_vccz .LBB34_452
; %bb.451:
	global_load_ubyte v3, v[0:1], off
	s_mov_b32 s0, 0x7f800000
	s_brev_b32 s1, 1
	s_movk_i32 s2, 0x7fff
	s_waitcnt vmcnt(0)
	v_lshlrev_b32_e32 v3, 24, v3
	v_and_b32_e32 v4, 0x7f000000, v3
	v_ffbh_u32_e32 v5, v4
	v_min_u32_e32 v5, 32, v5
	v_sub_u32_e64 v5, v5, 4 clamp
	v_lshlrev_b32_e32 v7, v5, v4
	v_lshlrev_b32_e32 v5, 23, v5
	v_lshrrev_b32_e32 v7, 4, v7
	v_add_u32_e32 v6, 0x1000000, v4
	v_sub_u32_e32 v5, v7, v5
	v_ashrrev_i32_e32 v6, 8, v6
	v_add_u32_e32 v5, 0x3c000000, v5
	v_and_or_b32 v5, v6, s0, v5
	v_cmp_ne_u32_e32 vcc, 0, v4
	v_cndmask_b32_e32 v4, 0, v5, vcc
	v_and_or_b32 v3, v3, s1, v4
	v_bfe_u32 v4, v4, 16, 1
	v_add3_u32 v4, v3, v4, s2
	v_cmp_o_f32_e32 vcc, v3, v3
	v_mov_b32_e32 v3, 0x7fc0
	v_cndmask_b32_sdwa v3, v3, v4, vcc dst_sel:DWORD dst_unused:UNUSED_PAD src0_sel:DWORD src1_sel:WORD_1
.LBB34_452:
	s_mov_b64 s[0:1], 0
.LBB34_453:
	s_andn2_b64 vcc, exec, s[0:1]
	s_cbranch_vccnz .LBB34_455
; %bb.454:
	global_load_ubyte v3, v[0:1], off
	s_movk_i32 s0, 0x7f00
	s_brev_b32 s1, 16
	s_brev_b32 s2, 1
	s_movk_i32 s3, 0x7fff
	s_waitcnt vmcnt(0)
	v_lshlrev_b16_e32 v4, 8, v3
	v_lshlrev_b32_e32 v3, 25, v3
	v_lshrrev_b32_e32 v5, 4, v3
	v_and_or_b32 v6, v4, s0, 0.5
	v_or_b32_e32 v5, 0x70000000, v5
	v_add_f32_e32 v6, -0.5, v6
	v_mul_f32_e32 v5, 0x7800000, v5
	v_cmp_gt_u32_e32 vcc, s1, v3
	v_bfe_i32 v4, v4, 0, 16
	v_cndmask_b32_e32 v3, v5, v6, vcc
	v_and_or_b32 v4, v4, s2, v3
	v_bfe_u32 v3, v3, 16, 1
	v_add3_u32 v3, v4, v3, s3
	v_cmp_o_f32_e32 vcc, v4, v4
	v_mov_b32_e32 v4, 0x7fc0
	v_cndmask_b32_sdwa v3, v4, v3, vcc dst_sel:DWORD dst_unused:UNUSED_PAD src0_sel:DWORD src1_sel:WORD_1
.LBB34_455:
	s_mov_b64 s[2:3], 0
	s_mov_b64 s[0:1], -1
.LBB34_456:
	s_andn2_b64 vcc, exec, s[2:3]
	s_cbranch_vccnz .LBB34_469
; %bb.457:
	s_cmp_gt_i32 s24, 14
	s_cbranch_scc0 .LBB34_460
; %bb.458:
	s_cmp_eq_u32 s24, 15
	s_cbranch_scc0 .LBB34_463
; %bb.459:
	global_load_ushort v3, v[0:1], off
	s_mov_b64 s[0:1], -1
	s_mov_b64 s[22:23], 0
	s_branch .LBB34_464
.LBB34_460:
	s_mov_b64 s[2:3], -1
                                        ; implicit-def: $vgpr3
	s_branch .LBB34_465
.LBB34_461:
	s_or_saveexec_b64 s[2:3], s[2:3]
	v_mov_b32_e32 v4, 0x7f800001
	s_xor_b64 exec, exec, s[2:3]
	s_cbranch_execz .LBB34_442
.LBB34_462:
	v_cmp_ne_u16_e32 vcc, 0, v3
	s_andn2_b64 s[0:1], s[0:1], exec
	s_and_b64 s[4:5], vcc, exec
	v_mov_b32_e32 v4, 0
	s_or_b64 s[0:1], s[0:1], s[4:5]
	s_or_b64 exec, exec, s[2:3]
	s_and_saveexec_b64 s[2:3], s[0:1]
	s_cbranch_execnz .LBB34_443
	s_branch .LBB34_444
.LBB34_463:
	s_mov_b64 s[22:23], -1
                                        ; implicit-def: $vgpr3
.LBB34_464:
	s_mov_b64 s[2:3], 0
.LBB34_465:
	s_and_b64 vcc, exec, s[2:3]
	s_cbranch_vccz .LBB34_469
; %bb.466:
	s_cmp_eq_u32 s24, 11
	s_cbranch_scc0 .LBB34_468
; %bb.467:
	global_load_ubyte v3, v[0:1], off
	s_mov_b64 s[0:1], -1
	s_mov_b64 s[22:23], 0
	s_waitcnt vmcnt(0)
	v_cmp_ne_u16_e32 vcc, 0, v3
	v_cndmask_b32_e64 v3, 0, 1.0, vcc
	v_lshrrev_b32_e32 v3, 16, v3
	s_branch .LBB34_469
.LBB34_468:
	s_mov_b64 s[22:23], -1
                                        ; implicit-def: $vgpr3
.LBB34_469:
	s_branch .LBB34_268
.LBB34_470:
	s_cmp_lt_i32 s24, 5
	s_cbranch_scc1 .LBB34_475
; %bb.471:
	s_cmp_lt_i32 s24, 8
	s_cbranch_scc1 .LBB34_476
; %bb.472:
	;; [unrolled: 3-line block ×3, first 2 shown]
	s_cmp_gt_i32 s24, 9
	s_cbranch_scc0 .LBB34_478
; %bb.474:
	global_load_dwordx2 v[3:4], v[0:1], off
	s_movk_i32 s0, 0x7fff
	s_waitcnt vmcnt(0)
	v_cvt_f32_f64_e32 v3, v[3:4]
	v_mov_b32_e32 v4, 0x7fc0
	v_bfe_u32 v5, v3, 16, 1
	v_cmp_o_f32_e32 vcc, v3, v3
	v_add3_u32 v3, v3, v5, s0
	v_cndmask_b32_sdwa v3, v4, v3, vcc dst_sel:DWORD dst_unused:UNUSED_PAD src0_sel:DWORD src1_sel:WORD_1
	s_mov_b64 s[0:1], 0
	s_branch .LBB34_479
.LBB34_475:
	s_mov_b64 s[0:1], -1
                                        ; implicit-def: $vgpr3
	s_branch .LBB34_497
.LBB34_476:
	s_mov_b64 s[0:1], -1
                                        ; implicit-def: $vgpr3
	s_branch .LBB34_485
.LBB34_477:
	s_mov_b64 s[0:1], -1
                                        ; implicit-def: $vgpr3
	s_branch .LBB34_482
.LBB34_478:
	s_mov_b64 s[0:1], -1
                                        ; implicit-def: $vgpr3
.LBB34_479:
	s_andn2_b64 vcc, exec, s[0:1]
	s_cbranch_vccnz .LBB34_481
; %bb.480:
	global_load_dword v3, v[0:1], off
	s_movk_i32 s0, 0x7fff
	v_mov_b32_e32 v4, 0x7fc0
	s_waitcnt vmcnt(0)
	v_bfe_u32 v5, v3, 16, 1
	v_cmp_o_f32_e32 vcc, v3, v3
	v_add3_u32 v3, v3, v5, s0
	v_cndmask_b32_sdwa v3, v4, v3, vcc dst_sel:DWORD dst_unused:UNUSED_PAD src0_sel:DWORD src1_sel:WORD_1
.LBB34_481:
	s_mov_b64 s[0:1], 0
.LBB34_482:
	s_andn2_b64 vcc, exec, s[0:1]
	s_cbranch_vccnz .LBB34_484
; %bb.483:
	global_load_dword v3, v[0:1], off
	s_movk_i32 s0, 0x7fff
	v_mov_b32_e32 v5, 0x7fc0
	s_waitcnt vmcnt(0)
	v_cvt_f32_f16_e32 v4, v3
	v_cmp_o_f16_e32 vcc, v3, v3
	v_bfe_u32 v3, v4, 16, 1
	v_add3_u32 v3, v4, v3, s0
	v_cndmask_b32_sdwa v3, v5, v3, vcc dst_sel:DWORD dst_unused:UNUSED_PAD src0_sel:DWORD src1_sel:WORD_1
.LBB34_484:
	s_mov_b64 s[0:1], 0
.LBB34_485:
	s_andn2_b64 vcc, exec, s[0:1]
	s_cbranch_vccnz .LBB34_496
; %bb.486:
	s_cmp_lt_i32 s24, 6
	s_cbranch_scc1 .LBB34_489
; %bb.487:
	s_cmp_gt_i32 s24, 6
	s_cbranch_scc0 .LBB34_490
; %bb.488:
	global_load_dwordx2 v[3:4], v[0:1], off
	s_movk_i32 s0, 0x7fff
	s_waitcnt vmcnt(0)
	v_cvt_f32_f64_e32 v3, v[3:4]
	v_mov_b32_e32 v4, 0x7fc0
	v_bfe_u32 v5, v3, 16, 1
	v_cmp_o_f32_e32 vcc, v3, v3
	v_add3_u32 v3, v3, v5, s0
	v_cndmask_b32_sdwa v3, v4, v3, vcc dst_sel:DWORD dst_unused:UNUSED_PAD src0_sel:DWORD src1_sel:WORD_1
	s_mov_b64 s[0:1], 0
	s_branch .LBB34_491
.LBB34_489:
	s_mov_b64 s[0:1], -1
                                        ; implicit-def: $vgpr3
	s_branch .LBB34_494
.LBB34_490:
	s_mov_b64 s[0:1], -1
                                        ; implicit-def: $vgpr3
.LBB34_491:
	s_andn2_b64 vcc, exec, s[0:1]
	s_cbranch_vccnz .LBB34_493
; %bb.492:
	global_load_dword v3, v[0:1], off
	s_movk_i32 s0, 0x7fff
	v_mov_b32_e32 v4, 0x7fc0
	s_waitcnt vmcnt(0)
	v_bfe_u32 v5, v3, 16, 1
	v_cmp_o_f32_e32 vcc, v3, v3
	v_add3_u32 v3, v3, v5, s0
	v_cndmask_b32_sdwa v3, v4, v3, vcc dst_sel:DWORD dst_unused:UNUSED_PAD src0_sel:DWORD src1_sel:WORD_1
.LBB34_493:
	s_mov_b64 s[0:1], 0
.LBB34_494:
	s_andn2_b64 vcc, exec, s[0:1]
	s_cbranch_vccnz .LBB34_496
; %bb.495:
	global_load_ushort v3, v[0:1], off
	s_movk_i32 s0, 0x7fff
	v_mov_b32_e32 v5, 0x7fc0
	s_waitcnt vmcnt(0)
	v_cvt_f32_f16_e32 v4, v3
	v_cmp_o_f16_e32 vcc, v3, v3
	v_bfe_u32 v3, v4, 16, 1
	v_add3_u32 v3, v4, v3, s0
	v_cndmask_b32_sdwa v3, v5, v3, vcc dst_sel:DWORD dst_unused:UNUSED_PAD src0_sel:DWORD src1_sel:WORD_1
.LBB34_496:
	s_mov_b64 s[0:1], 0
.LBB34_497:
	s_andn2_b64 vcc, exec, s[0:1]
	s_cbranch_vccnz .LBB34_517
; %bb.498:
	s_cmp_lt_i32 s24, 2
	s_cbranch_scc1 .LBB34_502
; %bb.499:
	s_cmp_lt_i32 s24, 3
	s_cbranch_scc1 .LBB34_503
; %bb.500:
	s_cmp_gt_i32 s24, 3
	s_cbranch_scc0 .LBB34_504
; %bb.501:
	global_load_dwordx2 v[3:4], v[0:1], off
	s_movk_i32 s0, 0x7fff
	s_waitcnt vmcnt(0)
	v_xor_b32_e32 v6, v3, v4
	v_ffbh_i32_e32 v5, v4
	v_ashrrev_i32_e32 v6, 31, v6
	v_add_u32_e32 v5, -1, v5
	v_add_u32_e32 v6, 32, v6
	v_min_u32_e32 v5, v5, v6
	v_lshlrev_b64 v[3:4], v5, v[3:4]
	v_min_u32_e32 v3, 1, v3
	v_or_b32_e32 v3, v4, v3
	v_cvt_f32_i32_e32 v3, v3
	v_sub_u32_e32 v4, 32, v5
	v_ldexp_f32 v3, v3, v4
	v_bfe_u32 v4, v3, 16, 1
	v_add3_u32 v3, v3, v4, s0
	v_lshrrev_b32_e32 v3, 16, v3
	s_mov_b64 s[0:1], 0
	s_branch .LBB34_505
.LBB34_502:
	s_mov_b64 s[0:1], -1
                                        ; implicit-def: $vgpr3
	s_branch .LBB34_511
.LBB34_503:
	s_mov_b64 s[0:1], -1
                                        ; implicit-def: $vgpr3
	s_branch .LBB34_508
.LBB34_504:
	s_mov_b64 s[0:1], -1
                                        ; implicit-def: $vgpr3
.LBB34_505:
	s_andn2_b64 vcc, exec, s[0:1]
	s_cbranch_vccnz .LBB34_507
; %bb.506:
	global_load_dword v3, v[0:1], off
	s_movk_i32 s0, 0x7fff
	s_waitcnt vmcnt(0)
	v_cvt_f32_i32_e32 v3, v3
	v_bfe_u32 v4, v3, 16, 1
	v_add3_u32 v3, v3, v4, s0
	v_lshrrev_b32_e32 v3, 16, v3
.LBB34_507:
	s_mov_b64 s[0:1], 0
.LBB34_508:
	s_andn2_b64 vcc, exec, s[0:1]
	s_cbranch_vccnz .LBB34_510
; %bb.509:
	global_load_sshort v3, v[0:1], off
	s_movk_i32 s0, 0x7fff
	s_waitcnt vmcnt(0)
	v_cvt_f32_i32_e32 v3, v3
	v_bfe_u32 v4, v3, 16, 1
	v_add3_u32 v3, v3, v4, s0
	v_lshrrev_b32_e32 v3, 16, v3
.LBB34_510:
	s_mov_b64 s[0:1], 0
.LBB34_511:
	s_andn2_b64 vcc, exec, s[0:1]
	s_cbranch_vccnz .LBB34_517
; %bb.512:
	s_cmp_gt_i32 s24, 0
	s_cbranch_scc0 .LBB34_514
; %bb.513:
	global_load_sbyte v3, v[0:1], off
	s_movk_i32 s0, 0x7fff
	s_waitcnt vmcnt(0)
	v_cvt_f32_i32_e32 v3, v3
	v_bfe_u32 v4, v3, 16, 1
	v_add3_u32 v3, v3, v4, s0
	v_lshrrev_b32_e32 v3, 16, v3
	s_mov_b64 s[0:1], 0
	s_branch .LBB34_515
.LBB34_514:
	s_mov_b64 s[0:1], -1
                                        ; implicit-def: $vgpr3
.LBB34_515:
	s_andn2_b64 vcc, exec, s[0:1]
	s_cbranch_vccnz .LBB34_517
; %bb.516:
	global_load_ubyte v0, v[0:1], off
	s_movk_i32 s0, 0x7fff
	s_waitcnt vmcnt(0)
	v_cvt_f32_ubyte0_e32 v0, v0
	v_bfe_u32 v1, v0, 16, 1
	v_add3_u32 v0, v0, v1, s0
	v_lshrrev_b32_e32 v3, 16, v0
.LBB34_517:
	s_branch .LBB34_269
.LBB34_518:
	s_mov_b64 s[2:3], 0
                                        ; implicit-def: $vgpr2
	s_mov_b64 s[0:1], s[16:17]
.LBB34_519:
	s_andn2_b64 s[4:5], s[16:17], exec
	s_and_b64 s[0:1], s[0:1], exec
	s_or_b64 s[24:25], s[4:5], s[0:1]
	s_andn2_b64 s[0:1], s[18:19], exec
	s_and_b64 s[4:5], s[22:23], exec
	s_or_b64 s[22:23], s[0:1], s[4:5]
	s_orn2_b64 s[0:1], s[2:3], exec
.LBB34_520:
	s_or_b64 exec, exec, s[26:27]
	s_mov_b64 s[2:3], 0
	s_mov_b64 s[4:5], 0
	;; [unrolled: 1-line block ×3, first 2 shown]
                                        ; implicit-def: $vgpr0_vgpr1
                                        ; implicit-def: $vgpr4
	s_and_saveexec_b64 s[26:27], s[0:1]
	s_cbranch_execz .LBB34_869
; %bb.521:
	v_cmp_gt_i32_e32 vcc, s38, v2
	s_mov_b64 s[34:35], -1
	s_mov_b64 s[0:1], s[22:23]
	s_mov_b64 s[2:3], s[24:25]
	s_and_saveexec_b64 s[28:29], vcc
	s_cbranch_execz .LBB34_783
; %bb.522:
	v_mul_lo_u32 v0, v2, s13
	v_mov_b32_e32 v1, s11
	s_and_b32 s34, 0xffff, s42
	s_cmp_lt_i32 s34, 11
	s_waitcnt vmcnt(0)
	v_ashrrev_i32_e32 v3, 31, v0
	v_add_co_u32_e32 v0, vcc, s10, v0
	v_addc_co_u32_e32 v1, vcc, v1, v3, vcc
	s_cbranch_scc1 .LBB34_529
; %bb.523:
	s_cmp_gt_i32 s34, 25
	s_cbranch_scc0 .LBB34_530
; %bb.524:
	s_cmp_gt_i32 s34, 28
	s_cbranch_scc0 .LBB34_531
	;; [unrolled: 3-line block ×4, first 2 shown]
; %bb.527:
	s_cmp_eq_u32 s34, 46
	s_mov_b64 s[2:3], 0
	s_cbranch_scc0 .LBB34_538
; %bb.528:
	global_load_dword v3, v[0:1], off
	s_mov_b64 s[0:1], -1
	s_mov_b64 s[30:31], 0
	s_branch .LBB34_539
.LBB34_529:
	s_mov_b64 s[2:3], -1
	s_mov_b64 s[0:1], 0
                                        ; implicit-def: $vgpr3
	s_mov_b64 s[30:31], s[22:23]
	s_branch .LBB34_604
.LBB34_530:
	s_mov_b64 s[2:3], -1
	s_mov_b64 s[0:1], 0
	s_mov_b64 s[30:31], s[22:23]
                                        ; implicit-def: $vgpr3
	s_branch .LBB34_568
.LBB34_531:
	s_mov_b64 s[2:3], -1
	s_mov_b64 s[0:1], 0
	s_mov_b64 s[30:31], s[22:23]
                                        ; implicit-def: $vgpr3
	s_branch .LBB34_549
.LBB34_532:
	s_mov_b64 s[2:3], -1
	s_mov_b64 s[0:1], 0
	s_mov_b64 s[30:31], s[22:23]
                                        ; implicit-def: $vgpr3
	s_branch .LBB34_544
.LBB34_533:
	s_andn2_saveexec_b64 s[24:25], s[24:25]
	s_cbranch_execz .LBB34_318
.LBB34_534:
	s_mov_b32 s30, 0x46000000
	v_add_f32_e64 v5, |v6|, s30
	v_and_b32_e32 v5, 0xff, v5
	v_cmp_ne_u32_e32 vcc, 0, v5
	s_andn2_b64 s[4:5], s[4:5], exec
	s_and_b64 s[30:31], vcc, exec
	s_or_b64 s[4:5], s[4:5], s[30:31]
	s_or_b64 exec, exec, s[24:25]
	v_mov_b32_e32 v7, 0
	s_and_saveexec_b64 s[24:25], s[4:5]
	s_cbranch_execnz .LBB34_319
	s_branch .LBB34_320
.LBB34_535:
	s_mov_b64 s[2:3], -1
	s_mov_b64 s[0:1], 0
	s_mov_b64 s[30:31], s[22:23]
                                        ; implicit-def: $vgpr3
	s_branch .LBB34_539
.LBB34_536:
	s_andn2_saveexec_b64 s[24:25], s[24:25]
	s_cbranch_execz .LBB34_331
.LBB34_537:
	s_mov_b32 s30, 0x42800000
	v_add_f32_e64 v5, |v6|, s30
	v_and_b32_e32 v5, 0xff, v5
	v_cmp_ne_u32_e32 vcc, 0, v5
	s_andn2_b64 s[4:5], s[4:5], exec
	s_and_b64 s[30:31], vcc, exec
	s_or_b64 s[4:5], s[4:5], s[30:31]
	s_or_b64 exec, exec, s[24:25]
	v_mov_b32_e32 v7, 0
	s_and_saveexec_b64 s[24:25], s[4:5]
	s_cbranch_execnz .LBB34_332
	s_branch .LBB34_333
.LBB34_538:
	s_mov_b64 s[30:31], -1
                                        ; implicit-def: $vgpr3
	s_mov_b64 s[0:1], 0
.LBB34_539:
	s_and_b64 vcc, exec, s[2:3]
	s_cbranch_vccz .LBB34_543
; %bb.540:
	s_cmp_eq_u32 s34, 44
	s_cbranch_scc0 .LBB34_542
; %bb.541:
	global_load_ubyte v3, v[0:1], off
	s_movk_i32 s2, 0xff
	v_mov_b32_e32 v4, 0x7f800001
	v_mov_b32_e32 v5, 0x400000
	;; [unrolled: 1-line block ×3, first 2 shown]
	s_mov_b64 s[0:1], -1
	s_mov_b64 s[30:31], 0
	s_waitcnt vmcnt(0)
	v_lshlrev_b32_e32 v7, 23, v3
	v_cmp_ne_u32_e32 vcc, s2, v3
	v_cndmask_b32_e32 v4, v4, v7, vcc
	v_cmp_ne_u32_e32 vcc, 0, v3
	v_cndmask_b32_e32 v3, v5, v4, vcc
	v_add_u32_e32 v4, 0x7fff, v3
	v_cmp_o_f32_e32 vcc, v3, v3
	v_cndmask_b32_sdwa v3, v6, v4, vcc dst_sel:DWORD dst_unused:UNUSED_PAD src0_sel:DWORD src1_sel:WORD_1
	s_branch .LBB34_543
.LBB34_542:
	s_mov_b64 s[30:31], -1
                                        ; implicit-def: $vgpr3
.LBB34_543:
	s_mov_b64 s[2:3], 0
.LBB34_544:
	s_and_b64 vcc, exec, s[2:3]
	s_cbranch_vccz .LBB34_548
; %bb.545:
	s_cmp_eq_u32 s34, 29
	s_cbranch_scc0 .LBB34_547
; %bb.546:
	global_load_dwordx2 v[3:4], v[0:1], off
	s_movk_i32 s2, 0x7fff
	s_mov_b64 s[0:1], -1
	s_mov_b64 s[30:31], 0
	s_waitcnt vmcnt(0)
	v_ffbh_u32_e32 v5, v4
	v_min_u32_e32 v5, 32, v5
	v_lshlrev_b64 v[3:4], v5, v[3:4]
	v_min_u32_e32 v3, 1, v3
	v_or_b32_e32 v3, v4, v3
	v_cvt_f32_u32_e32 v3, v3
	v_sub_u32_e32 v4, 32, v5
	v_ldexp_f32 v3, v3, v4
	v_bfe_u32 v4, v3, 16, 1
	v_add3_u32 v3, v3, v4, s2
	v_lshrrev_b32_e32 v3, 16, v3
	s_branch .LBB34_548
.LBB34_547:
	s_mov_b64 s[30:31], -1
                                        ; implicit-def: $vgpr3
.LBB34_548:
	s_mov_b64 s[2:3], 0
.LBB34_549:
	s_and_b64 vcc, exec, s[2:3]
	s_cbranch_vccz .LBB34_567
; %bb.550:
	s_cmp_lt_i32 s34, 27
	s_cbranch_scc1 .LBB34_553
; %bb.551:
	s_cmp_gt_i32 s34, 27
	s_cbranch_scc0 .LBB34_554
; %bb.552:
	global_load_dword v3, v[0:1], off
	s_movk_i32 s0, 0x7fff
	s_waitcnt vmcnt(0)
	v_cvt_f32_u32_e32 v3, v3
	v_bfe_u32 v4, v3, 16, 1
	v_add3_u32 v3, v3, v4, s0
	v_lshrrev_b32_e32 v3, 16, v3
	s_mov_b64 s[0:1], 0
	s_branch .LBB34_555
.LBB34_553:
	s_mov_b64 s[0:1], -1
                                        ; implicit-def: $vgpr3
	s_branch .LBB34_558
.LBB34_554:
	s_mov_b64 s[0:1], -1
                                        ; implicit-def: $vgpr3
.LBB34_555:
	s_andn2_b64 vcc, exec, s[0:1]
	s_cbranch_vccnz .LBB34_557
; %bb.556:
	global_load_ushort v3, v[0:1], off
	s_movk_i32 s0, 0x7fff
	s_waitcnt vmcnt(0)
	v_cvt_f32_u32_e32 v3, v3
	v_bfe_u32 v4, v3, 16, 1
	v_add3_u32 v3, v3, v4, s0
	v_lshrrev_b32_e32 v3, 16, v3
.LBB34_557:
	s_mov_b64 s[0:1], 0
.LBB34_558:
	s_andn2_b64 vcc, exec, s[0:1]
	s_cbranch_vccnz .LBB34_566
; %bb.559:
	global_load_ubyte v3, v[0:1], off
	s_movk_i32 s0, 0x7f
	s_waitcnt vmcnt(0)
	v_cmp_lt_i16_e32 vcc, s0, v3
	s_mov_b64 s[0:1], 0
	s_and_saveexec_b64 s[2:3], vcc
	s_xor_b64 s[2:3], exec, s[2:3]
	s_cbranch_execz .LBB34_580
; %bb.560:
	s_movk_i32 s0, 0x80
	v_cmp_eq_u16_e32 vcc, s0, v3
	s_mov_b64 s[0:1], -1
	s_and_saveexec_b64 s[4:5], vcc
; %bb.561:
	s_xor_b64 s[0:1], exec, -1
; %bb.562:
	s_or_b64 exec, exec, s[4:5]
	s_and_b64 s[0:1], s[0:1], exec
	s_or_saveexec_b64 s[2:3], s[2:3]
	v_mov_b32_e32 v4, 0x7f800001
	s_xor_b64 exec, exec, s[2:3]
	s_cbranch_execnz .LBB34_581
.LBB34_563:
	s_or_b64 exec, exec, s[2:3]
	s_and_saveexec_b64 s[2:3], s[0:1]
	s_cbranch_execz .LBB34_565
.LBB34_564:
	v_lshlrev_b32_e32 v4, 24, v3
	v_and_b32_e32 v3, 0xffff, v3
	v_and_b32_e32 v5, 7, v3
	v_ffbh_u32_e32 v7, v5
	v_min_u32_e32 v7, 32, v7
	v_subrev_u32_e32 v8, 28, v7
	v_bfe_u32 v6, v3, 3, 4
	v_lshlrev_b32_e32 v3, v8, v3
	v_sub_u32_e32 v7, 29, v7
	v_and_b32_e32 v3, 7, v3
	v_cmp_eq_u32_e32 vcc, 0, v6
	v_cndmask_b32_e32 v6, v6, v7, vcc
	v_cndmask_b32_e32 v3, v5, v3, vcc
	v_mov_b32_e32 v5, 0x3b800000
	v_lshlrev_b32_e32 v3, 20, v3
	v_and_b32_e32 v4, 0x80000000, v4
	v_lshl_add_u32 v5, v6, 23, v5
	v_or3_b32 v4, v4, v5, v3
.LBB34_565:
	s_or_b64 exec, exec, s[2:3]
	v_bfe_u32 v3, v4, 16, 1
	s_movk_i32 s0, 0x7fff
	v_add3_u32 v3, v4, v3, s0
	v_cmp_o_f32_e32 vcc, v4, v4
	v_mov_b32_e32 v4, 0x7fc0
	v_cndmask_b32_sdwa v3, v4, v3, vcc dst_sel:DWORD dst_unused:UNUSED_PAD src0_sel:DWORD src1_sel:WORD_1
.LBB34_566:
	s_mov_b64 s[0:1], -1
.LBB34_567:
	s_mov_b64 s[2:3], 0
.LBB34_568:
	s_and_b64 vcc, exec, s[2:3]
	s_cbranch_vccz .LBB34_603
; %bb.569:
	s_cmp_gt_i32 s34, 22
	s_cbranch_scc0 .LBB34_579
; %bb.570:
	s_cmp_lt_i32 s34, 24
	s_cbranch_scc1 .LBB34_582
; %bb.571:
	s_cmp_gt_i32 s34, 24
	s_cbranch_scc0 .LBB34_583
; %bb.572:
	global_load_ubyte v3, v[0:1], off
	s_movk_i32 s0, 0x7f
	s_waitcnt vmcnt(0)
	v_cmp_lt_i16_e32 vcc, s0, v3
	s_mov_b64 s[0:1], 0
	s_and_saveexec_b64 s[2:3], vcc
	s_xor_b64 s[2:3], exec, s[2:3]
	s_cbranch_execz .LBB34_595
; %bb.573:
	s_movk_i32 s0, 0x80
	v_cmp_eq_u16_e32 vcc, s0, v3
	s_mov_b64 s[0:1], -1
	s_and_saveexec_b64 s[4:5], vcc
; %bb.574:
	s_xor_b64 s[0:1], exec, -1
; %bb.575:
	s_or_b64 exec, exec, s[4:5]
	s_and_b64 s[0:1], s[0:1], exec
	s_or_saveexec_b64 s[2:3], s[2:3]
	v_mov_b32_e32 v4, 0x7f800001
	s_xor_b64 exec, exec, s[2:3]
	s_cbranch_execnz .LBB34_596
.LBB34_576:
	s_or_b64 exec, exec, s[2:3]
	s_and_saveexec_b64 s[2:3], s[0:1]
	s_cbranch_execz .LBB34_578
.LBB34_577:
	v_lshlrev_b32_e32 v4, 24, v3
	v_and_b32_e32 v3, 0xffff, v3
	v_and_b32_e32 v5, 3, v3
	v_ffbh_u32_e32 v7, v5
	v_min_u32_e32 v7, 32, v7
	v_subrev_u32_e32 v8, 29, v7
	v_bfe_u32 v6, v3, 2, 5
	v_lshlrev_b32_e32 v3, v8, v3
	v_sub_u32_e32 v7, 30, v7
	v_and_b32_e32 v3, 3, v3
	v_cmp_eq_u32_e32 vcc, 0, v6
	v_cndmask_b32_e32 v6, v6, v7, vcc
	v_cndmask_b32_e32 v3, v5, v3, vcc
	v_mov_b32_e32 v5, 0x37800000
	v_lshlrev_b32_e32 v3, 21, v3
	v_and_b32_e32 v4, 0x80000000, v4
	v_lshl_add_u32 v5, v6, 23, v5
	v_or3_b32 v4, v4, v5, v3
.LBB34_578:
	s_or_b64 exec, exec, s[2:3]
	v_bfe_u32 v3, v4, 16, 1
	s_movk_i32 s0, 0x7fff
	v_add3_u32 v3, v4, v3, s0
	v_cmp_o_f32_e32 vcc, v4, v4
	v_mov_b32_e32 v4, 0x7fc0
	v_cndmask_b32_sdwa v3, v4, v3, vcc dst_sel:DWORD dst_unused:UNUSED_PAD src0_sel:DWORD src1_sel:WORD_1
	s_mov_b64 s[0:1], 0
	s_branch .LBB34_584
.LBB34_579:
	s_mov_b64 s[2:3], -1
                                        ; implicit-def: $vgpr3
	s_branch .LBB34_590
.LBB34_580:
	s_or_saveexec_b64 s[2:3], s[2:3]
	v_mov_b32_e32 v4, 0x7f800001
	s_xor_b64 exec, exec, s[2:3]
	s_cbranch_execz .LBB34_563
.LBB34_581:
	v_cmp_ne_u16_e32 vcc, 0, v3
	s_andn2_b64 s[0:1], s[0:1], exec
	s_and_b64 s[4:5], vcc, exec
	v_mov_b32_e32 v4, 0
	s_or_b64 s[0:1], s[0:1], s[4:5]
	s_or_b64 exec, exec, s[2:3]
	s_and_saveexec_b64 s[2:3], s[0:1]
	s_cbranch_execnz .LBB34_564
	s_branch .LBB34_565
.LBB34_582:
	s_mov_b64 s[0:1], -1
                                        ; implicit-def: $vgpr3
	s_branch .LBB34_587
.LBB34_583:
	s_mov_b64 s[0:1], -1
                                        ; implicit-def: $vgpr3
.LBB34_584:
	s_and_b64 vcc, exec, s[0:1]
	s_cbranch_vccz .LBB34_586
; %bb.585:
	global_load_ubyte v3, v[0:1], off
	s_mov_b32 s0, 0x7f800000
	s_brev_b32 s1, 1
	s_movk_i32 s2, 0x7fff
	s_waitcnt vmcnt(0)
	v_lshlrev_b32_e32 v3, 24, v3
	v_and_b32_e32 v4, 0x7f000000, v3
	v_ffbh_u32_e32 v5, v4
	v_min_u32_e32 v5, 32, v5
	v_sub_u32_e64 v5, v5, 4 clamp
	v_lshlrev_b32_e32 v7, v5, v4
	v_lshlrev_b32_e32 v5, 23, v5
	v_lshrrev_b32_e32 v7, 4, v7
	v_add_u32_e32 v6, 0x1000000, v4
	v_sub_u32_e32 v5, v7, v5
	v_ashrrev_i32_e32 v6, 8, v6
	v_add_u32_e32 v5, 0x3c000000, v5
	v_and_or_b32 v5, v6, s0, v5
	v_cmp_ne_u32_e32 vcc, 0, v4
	v_cndmask_b32_e32 v4, 0, v5, vcc
	v_and_or_b32 v3, v3, s1, v4
	v_bfe_u32 v4, v4, 16, 1
	v_add3_u32 v4, v3, v4, s2
	v_cmp_o_f32_e32 vcc, v3, v3
	v_mov_b32_e32 v3, 0x7fc0
	v_cndmask_b32_sdwa v3, v3, v4, vcc dst_sel:DWORD dst_unused:UNUSED_PAD src0_sel:DWORD src1_sel:WORD_1
.LBB34_586:
	s_mov_b64 s[0:1], 0
.LBB34_587:
	s_andn2_b64 vcc, exec, s[0:1]
	s_cbranch_vccnz .LBB34_589
; %bb.588:
	global_load_ubyte v3, v[0:1], off
	s_movk_i32 s0, 0x7f00
	s_brev_b32 s1, 16
	s_brev_b32 s2, 1
	s_movk_i32 s3, 0x7fff
	s_waitcnt vmcnt(0)
	v_lshlrev_b16_e32 v4, 8, v3
	v_lshlrev_b32_e32 v3, 25, v3
	v_lshrrev_b32_e32 v5, 4, v3
	v_and_or_b32 v6, v4, s0, 0.5
	v_or_b32_e32 v5, 0x70000000, v5
	v_add_f32_e32 v6, -0.5, v6
	v_mul_f32_e32 v5, 0x7800000, v5
	v_cmp_gt_u32_e32 vcc, s1, v3
	v_bfe_i32 v4, v4, 0, 16
	v_cndmask_b32_e32 v3, v5, v6, vcc
	v_and_or_b32 v4, v4, s2, v3
	v_bfe_u32 v3, v3, 16, 1
	v_add3_u32 v3, v4, v3, s3
	v_cmp_o_f32_e32 vcc, v4, v4
	v_mov_b32_e32 v4, 0x7fc0
	v_cndmask_b32_sdwa v3, v4, v3, vcc dst_sel:DWORD dst_unused:UNUSED_PAD src0_sel:DWORD src1_sel:WORD_1
.LBB34_589:
	s_mov_b64 s[2:3], 0
	s_mov_b64 s[0:1], -1
.LBB34_590:
	s_andn2_b64 vcc, exec, s[2:3]
	s_cbranch_vccnz .LBB34_603
; %bb.591:
	s_cmp_gt_i32 s34, 14
	s_cbranch_scc0 .LBB34_594
; %bb.592:
	s_cmp_eq_u32 s34, 15
	s_cbranch_scc0 .LBB34_597
; %bb.593:
	global_load_ushort v3, v[0:1], off
	s_mov_b64 s[0:1], -1
	s_mov_b64 s[30:31], 0
	s_branch .LBB34_598
.LBB34_594:
	s_mov_b64 s[2:3], -1
                                        ; implicit-def: $vgpr3
	s_branch .LBB34_599
.LBB34_595:
	s_or_saveexec_b64 s[2:3], s[2:3]
	v_mov_b32_e32 v4, 0x7f800001
	s_xor_b64 exec, exec, s[2:3]
	s_cbranch_execz .LBB34_576
.LBB34_596:
	v_cmp_ne_u16_e32 vcc, 0, v3
	s_andn2_b64 s[0:1], s[0:1], exec
	s_and_b64 s[4:5], vcc, exec
	v_mov_b32_e32 v4, 0
	s_or_b64 s[0:1], s[0:1], s[4:5]
	s_or_b64 exec, exec, s[2:3]
	s_and_saveexec_b64 s[2:3], s[0:1]
	s_cbranch_execnz .LBB34_577
	s_branch .LBB34_578
.LBB34_597:
	s_mov_b64 s[30:31], -1
                                        ; implicit-def: $vgpr3
.LBB34_598:
	s_mov_b64 s[2:3], 0
.LBB34_599:
	s_and_b64 vcc, exec, s[2:3]
	s_cbranch_vccz .LBB34_603
; %bb.600:
	s_cmp_eq_u32 s34, 11
	s_cbranch_scc0 .LBB34_602
; %bb.601:
	global_load_ubyte v3, v[0:1], off
	s_mov_b64 s[0:1], -1
	s_mov_b64 s[30:31], 0
	s_waitcnt vmcnt(0)
	v_cmp_ne_u16_e32 vcc, 0, v3
	v_cndmask_b32_e64 v3, 0, 1.0, vcc
	v_lshrrev_b32_e32 v3, 16, v3
	s_branch .LBB34_603
.LBB34_602:
	s_mov_b64 s[30:31], -1
                                        ; implicit-def: $vgpr3
.LBB34_603:
	s_mov_b64 s[2:3], 0
.LBB34_604:
	s_and_b64 vcc, exec, s[2:3]
	s_cbranch_vccz .LBB34_653
; %bb.605:
	s_cmp_lt_i32 s34, 5
	s_cbranch_scc1 .LBB34_610
; %bb.606:
	s_cmp_lt_i32 s34, 8
	s_cbranch_scc1 .LBB34_611
; %bb.607:
	s_cmp_lt_i32 s34, 9
	s_cbranch_scc1 .LBB34_612
; %bb.608:
	s_cmp_gt_i32 s34, 9
	s_cbranch_scc0 .LBB34_613
; %bb.609:
	global_load_dwordx2 v[3:4], v[0:1], off
	s_movk_i32 s0, 0x7fff
	s_waitcnt vmcnt(0)
	v_cvt_f32_f64_e32 v3, v[3:4]
	v_mov_b32_e32 v4, 0x7fc0
	v_bfe_u32 v5, v3, 16, 1
	v_cmp_o_f32_e32 vcc, v3, v3
	v_add3_u32 v3, v3, v5, s0
	v_cndmask_b32_sdwa v3, v4, v3, vcc dst_sel:DWORD dst_unused:UNUSED_PAD src0_sel:DWORD src1_sel:WORD_1
	s_mov_b64 s[0:1], 0
	s_branch .LBB34_614
.LBB34_610:
	s_mov_b64 s[0:1], -1
                                        ; implicit-def: $vgpr3
	s_branch .LBB34_632
.LBB34_611:
	s_mov_b64 s[0:1], -1
                                        ; implicit-def: $vgpr3
	s_branch .LBB34_620
.LBB34_612:
	s_mov_b64 s[0:1], -1
                                        ; implicit-def: $vgpr3
	s_branch .LBB34_617
.LBB34_613:
	s_mov_b64 s[0:1], -1
                                        ; implicit-def: $vgpr3
.LBB34_614:
	s_andn2_b64 vcc, exec, s[0:1]
	s_cbranch_vccnz .LBB34_616
; %bb.615:
	global_load_dword v3, v[0:1], off
	s_movk_i32 s0, 0x7fff
	v_mov_b32_e32 v4, 0x7fc0
	s_waitcnt vmcnt(0)
	v_bfe_u32 v5, v3, 16, 1
	v_cmp_o_f32_e32 vcc, v3, v3
	v_add3_u32 v3, v3, v5, s0
	v_cndmask_b32_sdwa v3, v4, v3, vcc dst_sel:DWORD dst_unused:UNUSED_PAD src0_sel:DWORD src1_sel:WORD_1
.LBB34_616:
	s_mov_b64 s[0:1], 0
.LBB34_617:
	s_andn2_b64 vcc, exec, s[0:1]
	s_cbranch_vccnz .LBB34_619
; %bb.618:
	global_load_dword v3, v[0:1], off
	s_movk_i32 s0, 0x7fff
	v_mov_b32_e32 v5, 0x7fc0
	s_waitcnt vmcnt(0)
	v_cvt_f32_f16_e32 v4, v3
	v_cmp_o_f16_e32 vcc, v3, v3
	v_bfe_u32 v3, v4, 16, 1
	v_add3_u32 v3, v4, v3, s0
	v_cndmask_b32_sdwa v3, v5, v3, vcc dst_sel:DWORD dst_unused:UNUSED_PAD src0_sel:DWORD src1_sel:WORD_1
.LBB34_619:
	s_mov_b64 s[0:1], 0
.LBB34_620:
	s_andn2_b64 vcc, exec, s[0:1]
	s_cbranch_vccnz .LBB34_631
; %bb.621:
	s_cmp_lt_i32 s34, 6
	s_cbranch_scc1 .LBB34_624
; %bb.622:
	s_cmp_gt_i32 s34, 6
	s_cbranch_scc0 .LBB34_625
; %bb.623:
	global_load_dwordx2 v[3:4], v[0:1], off
	s_movk_i32 s0, 0x7fff
	s_waitcnt vmcnt(0)
	v_cvt_f32_f64_e32 v3, v[3:4]
	v_mov_b32_e32 v4, 0x7fc0
	v_bfe_u32 v5, v3, 16, 1
	v_cmp_o_f32_e32 vcc, v3, v3
	v_add3_u32 v3, v3, v5, s0
	v_cndmask_b32_sdwa v3, v4, v3, vcc dst_sel:DWORD dst_unused:UNUSED_PAD src0_sel:DWORD src1_sel:WORD_1
	s_mov_b64 s[0:1], 0
	s_branch .LBB34_626
.LBB34_624:
	s_mov_b64 s[0:1], -1
                                        ; implicit-def: $vgpr3
	s_branch .LBB34_629
.LBB34_625:
	s_mov_b64 s[0:1], -1
                                        ; implicit-def: $vgpr3
.LBB34_626:
	s_andn2_b64 vcc, exec, s[0:1]
	s_cbranch_vccnz .LBB34_628
; %bb.627:
	global_load_dword v3, v[0:1], off
	s_movk_i32 s0, 0x7fff
	v_mov_b32_e32 v4, 0x7fc0
	s_waitcnt vmcnt(0)
	v_bfe_u32 v5, v3, 16, 1
	v_cmp_o_f32_e32 vcc, v3, v3
	v_add3_u32 v3, v3, v5, s0
	v_cndmask_b32_sdwa v3, v4, v3, vcc dst_sel:DWORD dst_unused:UNUSED_PAD src0_sel:DWORD src1_sel:WORD_1
.LBB34_628:
	s_mov_b64 s[0:1], 0
.LBB34_629:
	s_andn2_b64 vcc, exec, s[0:1]
	s_cbranch_vccnz .LBB34_631
; %bb.630:
	global_load_ushort v3, v[0:1], off
	s_movk_i32 s0, 0x7fff
	v_mov_b32_e32 v5, 0x7fc0
	s_waitcnt vmcnt(0)
	v_cvt_f32_f16_e32 v4, v3
	v_cmp_o_f16_e32 vcc, v3, v3
	v_bfe_u32 v3, v4, 16, 1
	v_add3_u32 v3, v4, v3, s0
	v_cndmask_b32_sdwa v3, v5, v3, vcc dst_sel:DWORD dst_unused:UNUSED_PAD src0_sel:DWORD src1_sel:WORD_1
.LBB34_631:
	s_mov_b64 s[0:1], 0
.LBB34_632:
	s_andn2_b64 vcc, exec, s[0:1]
	s_cbranch_vccnz .LBB34_652
; %bb.633:
	s_cmp_lt_i32 s34, 2
	s_cbranch_scc1 .LBB34_637
; %bb.634:
	s_cmp_lt_i32 s34, 3
	s_cbranch_scc1 .LBB34_638
; %bb.635:
	s_cmp_gt_i32 s34, 3
	s_cbranch_scc0 .LBB34_639
; %bb.636:
	global_load_dwordx2 v[3:4], v[0:1], off
	s_movk_i32 s0, 0x7fff
	s_waitcnt vmcnt(0)
	v_xor_b32_e32 v6, v3, v4
	v_ffbh_i32_e32 v5, v4
	v_ashrrev_i32_e32 v6, 31, v6
	v_add_u32_e32 v5, -1, v5
	v_add_u32_e32 v6, 32, v6
	v_min_u32_e32 v5, v5, v6
	v_lshlrev_b64 v[3:4], v5, v[3:4]
	v_min_u32_e32 v3, 1, v3
	v_or_b32_e32 v3, v4, v3
	v_cvt_f32_i32_e32 v3, v3
	v_sub_u32_e32 v4, 32, v5
	v_ldexp_f32 v3, v3, v4
	v_bfe_u32 v4, v3, 16, 1
	v_add3_u32 v3, v3, v4, s0
	v_lshrrev_b32_e32 v3, 16, v3
	s_mov_b64 s[0:1], 0
	s_branch .LBB34_640
.LBB34_637:
	s_mov_b64 s[0:1], -1
                                        ; implicit-def: $vgpr3
	s_branch .LBB34_646
.LBB34_638:
	s_mov_b64 s[0:1], -1
                                        ; implicit-def: $vgpr3
	s_branch .LBB34_643
.LBB34_639:
	s_mov_b64 s[0:1], -1
                                        ; implicit-def: $vgpr3
.LBB34_640:
	s_andn2_b64 vcc, exec, s[0:1]
	s_cbranch_vccnz .LBB34_642
; %bb.641:
	global_load_dword v3, v[0:1], off
	s_movk_i32 s0, 0x7fff
	s_waitcnt vmcnt(0)
	v_cvt_f32_i32_e32 v3, v3
	v_bfe_u32 v4, v3, 16, 1
	v_add3_u32 v3, v3, v4, s0
	v_lshrrev_b32_e32 v3, 16, v3
.LBB34_642:
	s_mov_b64 s[0:1], 0
.LBB34_643:
	s_andn2_b64 vcc, exec, s[0:1]
	s_cbranch_vccnz .LBB34_645
; %bb.644:
	global_load_sshort v3, v[0:1], off
	s_movk_i32 s0, 0x7fff
	s_waitcnt vmcnt(0)
	v_cvt_f32_i32_e32 v3, v3
	v_bfe_u32 v4, v3, 16, 1
	v_add3_u32 v3, v3, v4, s0
	v_lshrrev_b32_e32 v3, 16, v3
.LBB34_645:
	s_mov_b64 s[0:1], 0
.LBB34_646:
	s_andn2_b64 vcc, exec, s[0:1]
	s_cbranch_vccnz .LBB34_652
; %bb.647:
	s_cmp_gt_i32 s34, 0
	s_cbranch_scc0 .LBB34_649
; %bb.648:
	global_load_sbyte v3, v[0:1], off
	s_movk_i32 s0, 0x7fff
	s_waitcnt vmcnt(0)
	v_cvt_f32_i32_e32 v3, v3
	v_bfe_u32 v4, v3, 16, 1
	v_add3_u32 v3, v3, v4, s0
	v_lshrrev_b32_e32 v3, 16, v3
	s_mov_b64 s[0:1], 0
	s_branch .LBB34_650
.LBB34_649:
	s_mov_b64 s[0:1], -1
                                        ; implicit-def: $vgpr3
.LBB34_650:
	s_andn2_b64 vcc, exec, s[0:1]
	s_cbranch_vccnz .LBB34_652
; %bb.651:
	global_load_ubyte v0, v[0:1], off
	s_movk_i32 s0, 0x7fff
	s_waitcnt vmcnt(0)
	v_cvt_f32_ubyte0_e32 v0, v0
	v_bfe_u32 v1, v0, 16, 1
	v_add3_u32 v0, v0, v1, s0
	v_lshrrev_b32_e32 v3, 16, v0
.LBB34_652:
	s_mov_b64 s[0:1], -1
.LBB34_653:
	s_andn2_b64 vcc, exec, s[0:1]
	s_cbranch_vccnz .LBB34_665
; %bb.654:
	s_waitcnt vmcnt(0)
	v_lshlrev_b32_e32 v0, 16, v3
	s_brev_b32 s0, 18
	v_and_b32_e32 v1, 0x7fffffff, v0
	v_cmp_nlt_f32_e64 s[0:1], |v0|, s0
                                        ; implicit-def: $vgpr3
                                        ; implicit-def: $vgpr4
	s_and_saveexec_b64 s[2:3], s[0:1]
	s_xor_b64 s[34:35], exec, s[2:3]
	s_cbranch_execz .LBB34_656
; %bb.655:
	v_and_b32_e32 v3, 0x7fffff, v1
	v_or_b32_e32 v12, 0x800000, v3
	s_mov_b32 s0, 0xfe5163ab
	v_mad_u64_u32 v[3:4], s[0:1], v12, s0, 0
	v_mov_b32_e32 v5, 0
	s_mov_b32 s0, 0x3c439041
	v_mad_u64_u32 v[6:7], s[0:1], v12, s0, v[4:5]
	s_mov_b32 s0, 0xdb629599
	v_not_b32_e32 v11, 63
	v_mov_b32_e32 v4, v7
	v_mad_u64_u32 v[7:8], s[0:1], v12, s0, v[4:5]
	s_mov_b32 s0, 0xf534ddc0
	v_not_b32_e32 v14, 31
	v_mov_b32_e32 v4, v8
	v_mad_u64_u32 v[8:9], s[0:1], v12, s0, v[4:5]
	v_lshrrev_b32_e32 v4, 23, v1
	v_add_u32_e32 v13, 0xffffff88, v4
	v_mov_b32_e32 v4, v9
	s_mov_b32 s0, 0xfc2757d1
	v_mad_u64_u32 v[9:10], s[0:1], v12, s0, v[4:5]
	v_cmp_lt_u32_e32 vcc, 63, v13
	v_cndmask_b32_e32 v4, 0, v11, vcc
	v_add_u32_e32 v13, v4, v13
	v_mov_b32_e32 v4, v10
	s_mov_b32 s0, 0x4e441529
	v_mad_u64_u32 v[10:11], s[0:1], v12, s0, v[4:5]
	v_cmp_lt_u32_e64 s[0:1], 31, v13
	v_cndmask_b32_e64 v4, 0, v14, s[0:1]
	v_add_u32_e32 v13, v4, v13
	v_mov_b32_e32 v4, v11
	s_mov_b32 s2, 0xa2f9836e
	v_mad_u64_u32 v[4:5], s[2:3], v12, s2, v[4:5]
	v_cmp_lt_u32_e64 s[2:3], 31, v13
	v_cndmask_b32_e64 v11, 0, v14, s[2:3]
	v_cndmask_b32_e32 v12, v10, v8, vcc
	v_cndmask_b32_e32 v4, v4, v9, vcc
	;; [unrolled: 1-line block ×3, first 2 shown]
	v_add_u32_e32 v11, v11, v13
	v_cndmask_b32_e64 v13, v4, v12, s[0:1]
	v_cndmask_b32_e64 v4, v5, v4, s[0:1]
	v_cndmask_b32_e32 v5, v9, v7, vcc
	v_cndmask_b32_e64 v9, v12, v5, s[0:1]
	v_cndmask_b32_e64 v4, v4, v13, s[2:3]
	;; [unrolled: 1-line block ×3, first 2 shown]
	v_sub_u32_e32 v12, 32, v11
	v_alignbit_b32 v13, v4, v10, v12
	v_cmp_eq_u32_e64 s[4:5], 0, v11
	v_cndmask_b32_e64 v11, v13, v4, s[4:5]
	v_cndmask_b32_e32 v4, v8, v6, vcc
	v_cndmask_b32_e64 v5, v5, v4, s[0:1]
	v_cndmask_b32_e64 v6, v9, v5, s[2:3]
	v_alignbit_b32 v8, v10, v6, v12
	v_cndmask_b32_e32 v3, v7, v3, vcc
	v_cndmask_b32_e64 v8, v8, v10, s[4:5]
	v_bfe_u32 v13, v11, 29, 1
	v_cndmask_b32_e64 v3, v4, v3, s[0:1]
	v_alignbit_b32 v9, v11, v8, 30
	v_sub_u32_e32 v14, 0, v13
	v_cndmask_b32_e64 v3, v5, v3, s[2:3]
	v_xor_b32_e32 v9, v9, v14
	v_alignbit_b32 v4, v6, v3, v12
	v_cndmask_b32_e64 v4, v4, v6, s[4:5]
	v_ffbh_u32_e32 v6, v9
	v_alignbit_b32 v5, v8, v4, 30
	v_min_u32_e32 v6, 32, v6
	v_alignbit_b32 v3, v4, v3, 30
	v_xor_b32_e32 v5, v5, v14
	v_sub_u32_e32 v7, 31, v6
	v_xor_b32_e32 v3, v3, v14
	v_alignbit_b32 v8, v9, v5, v7
	v_alignbit_b32 v3, v5, v3, v7
	;; [unrolled: 1-line block ×3, first 2 shown]
	v_ffbh_u32_e32 v5, v4
	v_min_u32_e32 v5, 32, v5
	v_lshrrev_b32_e32 v10, 29, v11
	v_not_b32_e32 v7, v5
	v_alignbit_b32 v3, v4, v3, v7
	v_lshlrev_b32_e32 v4, 31, v10
	v_or_b32_e32 v7, 0x33000000, v4
	v_add_lshl_u32 v5, v5, v6, 23
	v_lshrrev_b32_e32 v3, 9, v3
	v_sub_u32_e32 v5, v7, v5
	v_or_b32_e32 v4, 0.5, v4
	v_lshlrev_b32_e32 v6, 23, v6
	v_or_b32_e32 v3, v5, v3
	v_lshrrev_b32_e32 v5, 9, v8
	v_sub_u32_e32 v4, v4, v6
	v_or_b32_e32 v4, v5, v4
	s_mov_b32 s0, 0x3fc90fda
	v_mul_f32_e32 v5, 0x3fc90fda, v4
	v_fma_f32 v6, v4, s0, -v5
	v_fmac_f32_e32 v6, 0x33a22168, v4
	v_fmac_f32_e32 v6, 0x3fc90fda, v3
	v_lshrrev_b32_e32 v3, 30, v11
	v_add_f32_e32 v4, v5, v6
	v_add_u32_e32 v3, v13, v3
.LBB34_656:
	s_andn2_saveexec_b64 s[0:1], s[34:35]
	s_cbranch_execz .LBB34_658
; %bb.657:
	s_mov_b32 s2, 0x3f22f983
	v_mul_f32_e64 v3, |v0|, s2
	v_rndne_f32_e32 v5, v3
	s_mov_b32 s2, 0xbfc90fda
	v_cvt_i32_f32_e32 v3, v5
	v_fma_f32 v4, v5, s2, |v0|
	v_fmac_f32_e32 v4, 0xb3a22168, v5
	v_fmac_f32_e32 v4, 0xa7c234c4, v5
.LBB34_658:
	s_or_b64 exec, exec, s[0:1]
	v_mul_f32_e32 v5, v4, v4
	v_mov_b32_e32 v6, 0x3c0881c4
	v_fmac_f32_e32 v6, 0xb94c1982, v5
	v_mov_b32_e32 v7, 0xbe2aaa9d
	v_fmac_f32_e32 v7, v5, v6
	v_mul_f32_e32 v6, v5, v7
	v_fmac_f32_e32 v4, v4, v6
	v_mov_b32_e32 v6, 0xbab64f3b
	v_fmac_f32_e32 v6, 0x37d75334, v5
	v_mov_b32_e32 v7, 0x3d2aabf7
	;; [unrolled: 2-line block ×3, first 2 shown]
	v_fmac_f32_e32 v6, v5, v7
	v_fma_f32 v5, v5, v6, 1.0
	v_and_b32_e32 v6, 1, v3
	v_lshlrev_b32_e32 v3, 30, v3
	v_cmp_eq_u32_e32 vcc, 0, v6
	v_and_b32_e32 v3, 0x80000000, v3
	v_cndmask_b32_e32 v4, v5, v4, vcc
	v_xor_b32_e32 v1, v1, v3
	v_xor_b32_e32 v1, v1, v4
	s_movk_i32 s0, 0x1f8
	v_xor_b32_e32 v1, v1, v0
	v_mov_b32_e32 v3, 0x7fc00000
	v_cmp_class_f32_e64 vcc, v0, s0
	v_cndmask_b32_e32 v0, v3, v1, vcc
	v_bfe_u32 v1, v0, 16, 1
	s_movk_i32 s0, 0x7fff
	v_add3_u32 v1, v0, v1, s0
	v_cmp_o_f32_e32 vcc, v0, v0
	v_mul_lo_u32 v0, v2, s12
	v_mov_b32_e32 v3, 0x7fc0
	v_cndmask_b32_sdwa v3, v3, v1, vcc dst_sel:DWORD dst_unused:UNUSED_PAD src0_sel:DWORD src1_sel:WORD_1
	v_mov_b32_e32 v4, s9
	v_ashrrev_i32_e32 v1, 31, v0
	s_and_b32 s36, s33, 0xff
	v_add_co_u32_e32 v0, vcc, s8, v0
	s_cmp_lt_i32 s36, 11
	v_addc_co_u32_e32 v1, vcc, v4, v1, vcc
	s_cbranch_scc1 .LBB34_666
; %bb.659:
	s_and_b32 s37, 0xffff, s36
	s_cmp_gt_i32 s37, 25
	s_cbranch_scc0 .LBB34_667
; %bb.660:
	s_cmp_gt_i32 s37, 28
	s_cbranch_scc0 .LBB34_668
; %bb.661:
	;; [unrolled: 3-line block ×4, first 2 shown]
	s_mov_b64 s[4:5], 0
	s_mov_b64 s[0:1], -1
	s_cmp_eq_u32 s37, 46
	s_mov_b64 s[2:3], 0
	s_cbranch_scc0 .LBB34_671
; %bb.664:
	v_and_b32_e32 v4, 0xffff, v3
	global_store_dword v[0:1], v4, off
	s_mov_b64 s[2:3], -1
	s_mov_b64 s[0:1], 0
	s_branch .LBB34_671
.LBB34_665:
	s_mov_b64 s[4:5], 0
                                        ; implicit-def: $vgpr2
	s_mov_b64 s[0:1], s[24:25]
	s_branch .LBB34_782
.LBB34_666:
	s_mov_b64 s[4:5], -1
	s_mov_b64 s[2:3], 0
	s_mov_b64 s[0:1], s[24:25]
	s_branch .LBB34_740
.LBB34_667:
	s_mov_b64 s[4:5], -1
	s_mov_b64 s[2:3], 0
	s_mov_b64 s[0:1], s[24:25]
	s_branch .LBB34_698
.LBB34_668:
	s_mov_b64 s[4:5], -1
	s_mov_b64 s[2:3], 0
	s_mov_b64 s[0:1], s[24:25]
	s_branch .LBB34_681
.LBB34_669:
	s_mov_b64 s[4:5], -1
	s_mov_b64 s[2:3], 0
	s_mov_b64 s[0:1], s[24:25]
	s_branch .LBB34_677
.LBB34_670:
	s_mov_b64 s[4:5], -1
	s_mov_b64 s[2:3], 0
	s_mov_b64 s[0:1], s[24:25]
.LBB34_671:
	s_and_b64 vcc, exec, s[4:5]
	s_cbranch_vccz .LBB34_676
; %bb.672:
	s_cmp_eq_u32 s37, 44
	s_mov_b64 s[0:1], -1
	s_cbranch_scc0 .LBB34_676
; %bb.673:
	v_and_b32_e32 v5, 0xffff, v3
	v_bfe_u32 v4, v5, 7, 8
	s_movk_i32 s0, 0xff
	v_cmp_ne_u32_e32 vcc, s0, v4
	v_mov_b32_e32 v6, 0xff
	s_and_saveexec_b64 s[2:3], vcc
	s_cbranch_execz .LBB34_675
; %bb.674:
	v_lshlrev_b32_e32 v7, 16, v5
	s_mov_b32 s0, 0x3f0000
	v_lshrrev_b32_e32 v6, 7, v5
	v_and_b32_e32 v5, 64, v5
	v_and_or_b32 v4, v7, s0, v4
	v_cmp_ne_u32_e32 vcc, 0, v5
	v_cmp_ne_u32_e64 s[0:1], 0, v4
	s_and_b64 s[0:1], vcc, s[0:1]
	v_cndmask_b32_e64 v4, 0, 1, s[0:1]
	v_add_u32_e32 v6, v6, v4
.LBB34_675:
	s_or_b64 exec, exec, s[2:3]
	s_mov_b64 s[2:3], -1
	s_mov_b64 s[0:1], 0
	global_store_byte v[0:1], v6, off
.LBB34_676:
	s_mov_b64 s[4:5], 0
.LBB34_677:
	s_and_b64 vcc, exec, s[4:5]
	s_cbranch_vccz .LBB34_680
; %bb.678:
	s_cmp_eq_u32 s37, 29
	s_mov_b64 s[0:1], -1
	s_cbranch_scc0 .LBB34_680
; %bb.679:
	v_lshlrev_b32_e32 v4, 16, v3
	v_trunc_f32_e32 v4, v4
	v_mul_f32_e32 v5, 0x2f800000, v4
	v_floor_f32_e32 v6, v5
	v_fmac_f32_e32 v4, 0xcf800000, v6
	v_cvt_u32_f32_e32 v5, v6
	v_cvt_u32_f32_e32 v4, v4
	s_mov_b64 s[2:3], -1
	s_mov_b64 s[0:1], 0
	s_mov_b64 s[4:5], 0
	global_store_dwordx2 v[0:1], v[4:5], off
	s_branch .LBB34_681
.LBB34_680:
	s_mov_b64 s[4:5], 0
.LBB34_681:
	s_and_b64 vcc, exec, s[4:5]
	s_cbranch_vccz .LBB34_697
; %bb.682:
	s_cmp_lt_i32 s37, 27
	s_mov_b64 s[2:3], -1
	s_cbranch_scc1 .LBB34_688
; %bb.683:
	s_cmp_gt_i32 s37, 27
	s_cbranch_scc0 .LBB34_685
; %bb.684:
	v_lshlrev_b32_e32 v4, 16, v3
	v_cvt_u32_f32_e32 v4, v4
	s_mov_b64 s[2:3], 0
	global_store_dword v[0:1], v4, off
.LBB34_685:
	s_andn2_b64 vcc, exec, s[2:3]
	s_cbranch_vccnz .LBB34_687
; %bb.686:
	v_lshlrev_b32_e32 v4, 16, v3
	v_cvt_u32_f32_e32 v4, v4
	global_store_short v[0:1], v4, off
.LBB34_687:
	s_mov_b64 s[2:3], 0
.LBB34_688:
	s_andn2_b64 vcc, exec, s[2:3]
	s_cbranch_vccnz .LBB34_696
; %bb.689:
	v_lshlrev_b32_e32 v6, 16, v3
	v_and_b32_e32 v5, 0x7fffffff, v6
	s_mov_b32 s2, 0x43800000
	v_cmp_gt_u32_e32 vcc, s2, v5
	v_mov_b32_e32 v7, 0x80
	s_and_saveexec_b64 s[2:3], vcc
	s_cbranch_execz .LBB34_695
; %bb.690:
	s_mov_b32 s4, 0x3bffffff
	v_and_b32_e32 v4, 0xffff, v3
	v_cmp_lt_u32_e32 vcc, s4, v5
	s_mov_b64 s[4:5], 0
                                        ; implicit-def: $vgpr5
	s_and_saveexec_b64 s[34:35], vcc
	s_xor_b64 s[34:35], exec, s[34:35]
	s_cbranch_execz .LBB34_796
; %bb.691:
	v_bfe_u32 v5, v4, 4, 1
	s_mov_b32 s39, 0x487ffff
	v_add3_u32 v5, v6, v5, s39
	s_mov_b64 s[4:5], exec
	v_lshrrev_b32_e32 v5, 20, v5
                                        ; implicit-def: $vgpr6
	s_andn2_saveexec_b64 s[34:35], s[34:35]
	s_cbranch_execnz .LBB34_797
.LBB34_692:
	s_or_b64 exec, exec, s[34:35]
	v_mov_b32_e32 v7, 0
	s_and_saveexec_b64 s[34:35], s[4:5]
.LBB34_693:
	v_lshrrev_b32_e32 v4, 8, v4
	s_movk_i32 s4, 0x80
	v_and_or_b32 v7, v4, s4, v5
.LBB34_694:
	s_or_b64 exec, exec, s[34:35]
.LBB34_695:
	s_or_b64 exec, exec, s[2:3]
	global_store_byte v[0:1], v7, off
.LBB34_696:
	s_mov_b64 s[2:3], -1
.LBB34_697:
	s_mov_b64 s[4:5], 0
.LBB34_698:
	s_and_b64 vcc, exec, s[4:5]
	s_cbranch_vccz .LBB34_739
; %bb.699:
	s_cmp_gt_i32 s37, 22
	s_mov_b64 s[4:5], -1
	s_cbranch_scc0 .LBB34_731
; %bb.700:
	s_cmp_lt_i32 s37, 24
	s_mov_b64 s[2:3], -1
	s_cbranch_scc1 .LBB34_720
; %bb.701:
	s_cmp_gt_i32 s37, 24
	s_cbranch_scc0 .LBB34_709
; %bb.702:
	v_lshlrev_b32_e32 v6, 16, v3
	v_and_b32_e32 v5, 0x7fffffff, v6
	s_mov_b32 s2, 0x47800000
	v_cmp_gt_u32_e32 vcc, s2, v5
	v_mov_b32_e32 v7, 0x80
	s_and_saveexec_b64 s[2:3], vcc
	s_cbranch_execz .LBB34_708
; %bb.703:
	s_mov_b32 s4, 0x37ffffff
	v_and_b32_e32 v4, 0xffff, v3
	v_cmp_lt_u32_e32 vcc, s4, v5
	s_mov_b64 s[4:5], 0
                                        ; implicit-def: $vgpr5
	s_and_saveexec_b64 s[34:35], vcc
	s_xor_b64 s[34:35], exec, s[34:35]
	s_cbranch_execz .LBB34_799
; %bb.704:
	v_bfe_u32 v5, v4, 5, 1
	s_mov_b32 s39, 0x88fffff
	v_add3_u32 v5, v6, v5, s39
	s_mov_b64 s[4:5], exec
	v_lshrrev_b32_e32 v5, 21, v5
                                        ; implicit-def: $vgpr6
	s_andn2_saveexec_b64 s[34:35], s[34:35]
	s_cbranch_execnz .LBB34_800
.LBB34_705:
	s_or_b64 exec, exec, s[34:35]
	v_mov_b32_e32 v7, 0
	s_and_saveexec_b64 s[34:35], s[4:5]
.LBB34_706:
	v_lshrrev_b32_e32 v4, 8, v4
	s_movk_i32 s4, 0x80
	v_and_or_b32 v7, v4, s4, v5
.LBB34_707:
	s_or_b64 exec, exec, s[34:35]
.LBB34_708:
	s_or_b64 exec, exec, s[2:3]
	s_mov_b64 s[2:3], 0
	global_store_byte v[0:1], v7, off
.LBB34_709:
	s_and_b64 vcc, exec, s[2:3]
	s_cbranch_vccz .LBB34_719
; %bb.710:
	v_lshlrev_b32_e32 v6, 16, v3
	v_and_b32_e32 v7, 0x7fffffff, v6
	s_mov_b32 s2, 0x43f00000
	v_and_b32_e32 v4, 0xffff, v3
	v_cmp_gt_u32_e32 vcc, s2, v7
                                        ; implicit-def: $vgpr5
	s_and_saveexec_b64 s[2:3], vcc
	s_xor_b64 s[2:3], exec, s[2:3]
	s_cbranch_execz .LBB34_716
; %bb.711:
	s_mov_b32 s4, 0x3c7fffff
	v_cmp_lt_u32_e32 vcc, s4, v7
                                        ; implicit-def: $vgpr5
	s_and_saveexec_b64 s[4:5], vcc
	s_xor_b64 s[4:5], exec, s[4:5]
; %bb.712:
	v_bfe_u32 v5, v4, 4, 1
	s_mov_b32 s34, 0x407ffff
	v_add3_u32 v5, v6, v5, s34
	v_lshrrev_b32_e32 v6, 20, v5
	v_and_b32_e32 v5, 0xff00000, v5
	s_mov_b32 s34, 0x7f00000
	v_mov_b32_e32 v7, 0x7e
	v_cmp_ne_u32_e32 vcc, s34, v5
	v_cndmask_b32_e32 v5, v7, v6, vcc
                                        ; implicit-def: $vgpr6
; %bb.713:
	s_andn2_saveexec_b64 s[4:5], s[4:5]
; %bb.714:
	s_mov_b32 s34, 0x46800000
	v_add_f32_e64 v5, |v6|, s34
; %bb.715:
	s_or_b64 exec, exec, s[4:5]
                                        ; implicit-def: $vgpr7
.LBB34_716:
	s_andn2_saveexec_b64 s[2:3], s[2:3]
; %bb.717:
	s_mov_b32 s4, 0x7f800000
	v_mov_b32_e32 v5, 0x7e
	v_mov_b32_e32 v6, 0x7f
	v_cmp_lt_u32_e32 vcc, s4, v7
	v_cndmask_b32_e32 v5, v5, v6, vcc
; %bb.718:
	s_or_b64 exec, exec, s[2:3]
	v_lshrrev_b32_e32 v4, 8, v4
	s_movk_i32 s2, 0x80
	v_and_or_b32 v4, v4, s2, v5
	global_store_byte v[0:1], v4, off
.LBB34_719:
	s_mov_b64 s[2:3], 0
.LBB34_720:
	s_andn2_b64 vcc, exec, s[2:3]
	s_cbranch_vccnz .LBB34_730
; %bb.721:
	v_lshlrev_b32_e32 v6, 16, v3
	v_and_b32_e32 v7, 0x7fffffff, v6
	s_mov_b32 s2, 0x47800000
	v_and_b32_e32 v4, 0xffff, v3
	v_cmp_gt_u32_e32 vcc, s2, v7
                                        ; implicit-def: $vgpr5
	s_and_saveexec_b64 s[2:3], vcc
	s_xor_b64 s[2:3], exec, s[2:3]
	s_cbranch_execz .LBB34_727
; %bb.722:
	s_mov_b32 s4, 0x387fffff
	v_cmp_lt_u32_e32 vcc, s4, v7
                                        ; implicit-def: $vgpr5
	s_and_saveexec_b64 s[4:5], vcc
	s_xor_b64 s[4:5], exec, s[4:5]
; %bb.723:
	v_bfe_u32 v5, v4, 5, 1
	s_mov_b32 s34, 0x80fffff
	v_add3_u32 v5, v6, v5, s34
	v_lshrrev_b32_e32 v5, 21, v5
                                        ; implicit-def: $vgpr6
; %bb.724:
	s_andn2_saveexec_b64 s[4:5], s[4:5]
; %bb.725:
	s_mov_b32 s34, 0x43000000
	v_add_f32_e64 v5, |v6|, s34
; %bb.726:
	s_or_b64 exec, exec, s[4:5]
                                        ; implicit-def: $vgpr7
.LBB34_727:
	s_andn2_saveexec_b64 s[2:3], s[2:3]
; %bb.728:
	s_mov_b32 s4, 0x7f800000
	v_mov_b32_e32 v5, 0x7c
	v_mov_b32_e32 v6, 0x7f
	v_cmp_lt_u32_e32 vcc, s4, v7
	v_cndmask_b32_e32 v5, v5, v6, vcc
; %bb.729:
	s_or_b64 exec, exec, s[2:3]
	v_lshrrev_b32_e32 v4, 8, v4
	s_movk_i32 s2, 0x80
	v_and_or_b32 v4, v4, s2, v5
	global_store_byte v[0:1], v4, off
.LBB34_730:
	s_mov_b64 s[4:5], 0
	s_mov_b64 s[2:3], -1
.LBB34_731:
	s_andn2_b64 vcc, exec, s[4:5]
	s_cbranch_vccnz .LBB34_739
; %bb.732:
	s_cmp_gt_i32 s37, 14
	s_mov_b64 s[4:5], -1
	s_cbranch_scc0 .LBB34_736
; %bb.733:
	s_cmp_eq_u32 s37, 15
	s_mov_b64 s[0:1], -1
	s_cbranch_scc0 .LBB34_735
; %bb.734:
	global_store_short v[0:1], v3, off
	s_mov_b64 s[2:3], -1
	s_mov_b64 s[0:1], 0
.LBB34_735:
	s_mov_b64 s[4:5], 0
.LBB34_736:
	s_and_b64 vcc, exec, s[4:5]
	s_cbranch_vccz .LBB34_739
; %bb.737:
	s_cmp_eq_u32 s37, 11
	s_mov_b64 s[0:1], -1
	s_cbranch_scc0 .LBB34_739
; %bb.738:
	v_and_b32_e32 v4, 0x7fff, v3
	v_cmp_ne_u16_e32 vcc, 0, v4
	v_cndmask_b32_e64 v4, 0, 1, vcc
	s_mov_b64 s[2:3], -1
	s_mov_b64 s[0:1], 0
	global_store_byte v[0:1], v4, off
.LBB34_739:
	s_mov_b64 s[4:5], 0
.LBB34_740:
	s_and_b64 vcc, exec, s[4:5]
	s_cbranch_vccz .LBB34_779
; %bb.741:
	s_and_b32 s4, 0xffff, s36
	s_cmp_lt_i32 s4, 5
	s_mov_b64 s[2:3], -1
	s_cbranch_scc1 .LBB34_762
; %bb.742:
	s_cmp_lt_i32 s4, 8
	s_cbranch_scc1 .LBB34_752
; %bb.743:
	s_cmp_lt_i32 s4, 9
	s_cbranch_scc1 .LBB34_749
; %bb.744:
	s_cmp_gt_i32 s4, 9
	s_cbranch_scc0 .LBB34_746
; %bb.745:
	v_lshlrev_b32_e32 v4, 16, v3
	v_cvt_f64_f32_e32 v[4:5], v4
	v_mov_b32_e32 v6, 0
	v_mov_b32_e32 v7, v6
	s_mov_b64 s[2:3], 0
	global_store_dwordx4 v[0:1], v[4:7], off
.LBB34_746:
	s_andn2_b64 vcc, exec, s[2:3]
	s_cbranch_vccnz .LBB34_748
; %bb.747:
	v_lshlrev_b32_e32 v4, 16, v3
	v_mov_b32_e32 v5, 0
	global_store_dwordx2 v[0:1], v[4:5], off
.LBB34_748:
	s_mov_b64 s[2:3], 0
.LBB34_749:
	s_andn2_b64 vcc, exec, s[2:3]
	s_cbranch_vccnz .LBB34_751
; %bb.750:
	v_lshlrev_b32_e32 v4, 16, v3
	v_cvt_f16_f32_e32 v4, v4
	global_store_dword v[0:1], v4, off
.LBB34_751:
	s_mov_b64 s[2:3], 0
.LBB34_752:
	s_andn2_b64 vcc, exec, s[2:3]
	s_cbranch_vccnz .LBB34_761
; %bb.753:
	s_cmp_lt_i32 s4, 6
	s_mov_b64 s[2:3], -1
	s_cbranch_scc1 .LBB34_759
; %bb.754:
	s_cmp_gt_i32 s4, 6
	s_cbranch_scc0 .LBB34_756
; %bb.755:
	v_lshlrev_b32_e32 v4, 16, v3
	v_cvt_f64_f32_e32 v[4:5], v4
	s_mov_b64 s[2:3], 0
	global_store_dwordx2 v[0:1], v[4:5], off
.LBB34_756:
	s_andn2_b64 vcc, exec, s[2:3]
	s_cbranch_vccnz .LBB34_758
; %bb.757:
	v_lshlrev_b32_e32 v4, 16, v3
	global_store_dword v[0:1], v4, off
.LBB34_758:
	s_mov_b64 s[2:3], 0
.LBB34_759:
	s_andn2_b64 vcc, exec, s[2:3]
	s_cbranch_vccnz .LBB34_761
; %bb.760:
	v_lshlrev_b32_e32 v4, 16, v3
	v_cvt_f16_f32_e32 v4, v4
	global_store_short v[0:1], v4, off
.LBB34_761:
	s_mov_b64 s[2:3], 0
.LBB34_762:
	s_andn2_b64 vcc, exec, s[2:3]
	s_cbranch_vccnz .LBB34_778
; %bb.763:
	s_cmp_lt_i32 s4, 2
	s_mov_b64 s[2:3], -1
	s_cbranch_scc1 .LBB34_773
; %bb.764:
	s_cmp_lt_i32 s4, 3
	s_cbranch_scc1 .LBB34_770
; %bb.765:
	s_cmp_gt_i32 s4, 3
	s_cbranch_scc0 .LBB34_767
; %bb.766:
	v_lshlrev_b32_e32 v4, 16, v3
	v_trunc_f32_e32 v4, v4
	s_mov_b32 s2, 0x2f800000
	v_mul_f32_e64 v5, |v4|, s2
	v_floor_f32_e32 v5, v5
	s_mov_b32 s2, 0xcf800000
	v_cvt_u32_f32_e32 v6, v5
	v_fma_f32 v5, v5, s2, |v4|
	v_cvt_u32_f32_e32 v5, v5
	v_ashrrev_i32_e32 v7, 31, v4
	v_xor_b32_e32 v6, v6, v7
	s_mov_b64 s[2:3], 0
	v_xor_b32_e32 v4, v5, v7
	v_sub_co_u32_e32 v4, vcc, v4, v7
	v_subb_co_u32_e32 v5, vcc, v6, v7, vcc
	global_store_dwordx2 v[0:1], v[4:5], off
.LBB34_767:
	s_andn2_b64 vcc, exec, s[2:3]
	s_cbranch_vccnz .LBB34_769
; %bb.768:
	v_lshlrev_b32_e32 v4, 16, v3
	v_cvt_i32_f32_e32 v4, v4
	global_store_dword v[0:1], v4, off
.LBB34_769:
	s_mov_b64 s[2:3], 0
.LBB34_770:
	s_andn2_b64 vcc, exec, s[2:3]
	s_cbranch_vccnz .LBB34_772
; %bb.771:
	v_lshlrev_b32_e32 v4, 16, v3
	v_cvt_i32_f32_e32 v4, v4
	global_store_short v[0:1], v4, off
.LBB34_772:
	s_mov_b64 s[2:3], 0
.LBB34_773:
	s_andn2_b64 vcc, exec, s[2:3]
	s_cbranch_vccnz .LBB34_778
; %bb.774:
	s_mov_b64 s[2:3], -1
	s_cmp_gt_i32 s4, 0
	v_lshlrev_b32_e32 v3, 16, v3
	s_cbranch_scc0 .LBB34_776
; %bb.775:
	v_cvt_i32_f32_e32 v4, v3
	s_mov_b64 s[2:3], 0
	global_store_byte v[0:1], v4, off
.LBB34_776:
	s_andn2_b64 vcc, exec, s[2:3]
	s_cbranch_vccnz .LBB34_778
; %bb.777:
	v_trunc_f32_e32 v3, v3
	s_mov_b32 s2, 0x2f800000
	v_mul_f32_e64 v4, |v3|, s2
	v_floor_f32_e32 v4, v4
	s_mov_b32 s2, 0xcf800000
	v_fma_f32 v4, v4, s2, |v3|
	v_cvt_u32_f32_e32 v4, v4
	v_ashrrev_i32_e32 v3, 31, v3
	v_xor_b32_e32 v4, v4, v3
	v_sub_u32_e32 v3, v4, v3
	global_store_byte v[0:1], v3, off
.LBB34_778:
	s_mov_b64 s[2:3], -1
.LBB34_779:
	s_andn2_b64 vcc, exec, s[2:3]
	s_cbranch_vccnz .LBB34_781
; %bb.780:
	v_add_u32_e32 v2, 0x80, v2
	s_mov_b64 s[4:5], -1
	s_branch .LBB34_782
.LBB34_781:
	s_mov_b64 s[4:5], 0
                                        ; implicit-def: $vgpr2
.LBB34_782:
	s_andn2_b64 s[2:3], s[24:25], exec
	s_and_b64 s[0:1], s[0:1], exec
	s_or_b64 s[2:3], s[2:3], s[0:1]
	s_andn2_b64 s[0:1], s[22:23], exec
	s_and_b64 s[30:31], s[30:31], exec
	s_or_b64 s[0:1], s[0:1], s[30:31]
	s_orn2_b64 s[34:35], s[4:5], exec
.LBB34_783:
	s_or_b64 exec, exec, s[28:29]
	s_mov_b64 s[30:31], 0
	s_mov_b64 s[36:37], 0
	;; [unrolled: 1-line block ×3, first 2 shown]
                                        ; implicit-def: $vgpr0_vgpr1
                                        ; implicit-def: $vgpr4
	s_and_saveexec_b64 s[4:5], s[34:35]
	s_cbranch_execz .LBB34_868
; %bb.784:
	v_cmp_gt_i32_e32 vcc, s38, v2
	s_mov_b64 s[34:35], 0
	s_mov_b64 s[38:39], s[0:1]
	;; [unrolled: 1-line block ×3, first 2 shown]
                                        ; implicit-def: $vgpr0_vgpr1
                                        ; implicit-def: $vgpr4
	s_and_saveexec_b64 s[28:29], vcc
	s_cbranch_execz .LBB34_867
; %bb.785:
	v_mul_lo_u32 v0, v2, s13
	v_mov_b32_e32 v1, s11
	s_and_b32 s43, 0xffff, s42
	s_cmp_lt_i32 s43, 11
	s_waitcnt vmcnt(0)
	v_ashrrev_i32_e32 v3, 31, v0
	v_add_co_u32_e32 v0, vcc, s10, v0
	v_addc_co_u32_e32 v1, vcc, v1, v3, vcc
	s_cbranch_scc1 .LBB34_792
; %bb.786:
	s_cmp_gt_i32 s43, 25
	s_cbranch_scc0 .LBB34_793
; %bb.787:
	s_cmp_gt_i32 s43, 28
	s_cbranch_scc0 .LBB34_794
	;; [unrolled: 3-line block ×4, first 2 shown]
; %bb.790:
	s_cmp_eq_u32 s43, 46
	s_mov_b64 s[38:39], 0
	s_cbranch_scc0 .LBB34_801
; %bb.791:
	global_load_dword v4, v[0:1], off
	s_mov_b64 s[36:37], -1
	s_branch .LBB34_803
.LBB34_792:
	s_mov_b64 s[38:39], -1
                                        ; implicit-def: $vgpr4
	s_mov_b64 s[30:31], s[0:1]
	s_branch .LBB34_866
.LBB34_793:
	s_mov_b64 s[38:39], -1
	s_mov_b64 s[30:31], s[0:1]
                                        ; implicit-def: $vgpr4
	s_branch .LBB34_832
.LBB34_794:
	s_mov_b64 s[38:39], -1
	s_mov_b64 s[30:31], s[0:1]
                                        ; implicit-def: $vgpr4
	s_branch .LBB34_813
.LBB34_795:
	s_mov_b64 s[38:39], -1
	s_mov_b64 s[30:31], s[0:1]
                                        ; implicit-def: $vgpr4
	s_branch .LBB34_808
.LBB34_796:
	s_andn2_saveexec_b64 s[34:35], s[34:35]
	s_cbranch_execz .LBB34_692
.LBB34_797:
	s_mov_b32 s39, 0x46000000
	v_add_f32_e64 v5, |v6|, s39
	v_and_b32_e32 v5, 0xff, v5
	v_cmp_ne_u32_e32 vcc, 0, v5
	s_andn2_b64 s[4:5], s[4:5], exec
	s_and_b64 s[40:41], vcc, exec
	s_or_b64 s[4:5], s[4:5], s[40:41]
	s_or_b64 exec, exec, s[34:35]
	v_mov_b32_e32 v7, 0
	s_and_saveexec_b64 s[34:35], s[4:5]
	s_cbranch_execnz .LBB34_693
	s_branch .LBB34_694
.LBB34_798:
	s_mov_b64 s[38:39], -1
	s_mov_b64 s[30:31], s[0:1]
	s_branch .LBB34_802
.LBB34_799:
	s_andn2_saveexec_b64 s[34:35], s[34:35]
	s_cbranch_execz .LBB34_705
.LBB34_800:
	s_mov_b32 s39, 0x42800000
	v_add_f32_e64 v5, |v6|, s39
	v_and_b32_e32 v5, 0xff, v5
	v_cmp_ne_u32_e32 vcc, 0, v5
	s_andn2_b64 s[4:5], s[4:5], exec
	s_and_b64 s[40:41], vcc, exec
	s_or_b64 s[4:5], s[4:5], s[40:41]
	s_or_b64 exec, exec, s[34:35]
	v_mov_b32_e32 v7, 0
	s_and_saveexec_b64 s[34:35], s[4:5]
	s_cbranch_execnz .LBB34_706
	s_branch .LBB34_707
.LBB34_801:
	s_mov_b64 s[30:31], -1
.LBB34_802:
                                        ; implicit-def: $vgpr4
.LBB34_803:
	s_and_b64 vcc, exec, s[38:39]
	s_cbranch_vccz .LBB34_807
; %bb.804:
	s_cmp_eq_u32 s43, 44
	s_cbranch_scc0 .LBB34_806
; %bb.805:
	global_load_ubyte v3, v[0:1], off
	s_movk_i32 s36, 0xff
	s_waitcnt vmcnt(1)
	v_mov_b32_e32 v4, 0x7f800001
	v_mov_b32_e32 v5, 0x400000
	;; [unrolled: 1-line block ×3, first 2 shown]
	s_mov_b64 s[30:31], 0
	s_waitcnt vmcnt(0)
	v_lshlrev_b32_e32 v7, 23, v3
	v_cmp_ne_u32_e32 vcc, s36, v3
	v_cndmask_b32_e32 v4, v4, v7, vcc
	v_cmp_ne_u32_e32 vcc, 0, v3
	v_cndmask_b32_e32 v3, v5, v4, vcc
	v_add_u32_e32 v4, 0x7fff, v3
	v_cmp_o_f32_e32 vcc, v3, v3
	v_cndmask_b32_sdwa v4, v6, v4, vcc dst_sel:DWORD dst_unused:UNUSED_PAD src0_sel:DWORD src1_sel:WORD_1
	s_mov_b64 s[36:37], -1
	s_branch .LBB34_807
.LBB34_806:
	s_mov_b64 s[30:31], -1
                                        ; implicit-def: $vgpr4
.LBB34_807:
	s_mov_b64 s[38:39], 0
.LBB34_808:
	s_and_b64 vcc, exec, s[38:39]
	s_cbranch_vccz .LBB34_812
; %bb.809:
	s_cmp_eq_u32 s43, 29
	s_cbranch_scc0 .LBB34_811
; %bb.810:
	global_load_dwordx2 v[3:4], v[0:1], off
	s_movk_i32 s36, 0x7fff
	s_mov_b64 s[30:31], 0
	s_mov_b64 s[38:39], 0
	s_waitcnt vmcnt(0)
	v_ffbh_u32_e32 v5, v4
	v_min_u32_e32 v5, 32, v5
	v_lshlrev_b64 v[3:4], v5, v[3:4]
	v_min_u32_e32 v3, 1, v3
	v_or_b32_e32 v3, v4, v3
	v_cvt_f32_u32_e32 v3, v3
	v_sub_u32_e32 v4, 32, v5
	v_ldexp_f32 v3, v3, v4
	v_bfe_u32 v4, v3, 16, 1
	v_add3_u32 v3, v3, v4, s36
	v_lshrrev_b32_e32 v4, 16, v3
	s_mov_b64 s[36:37], -1
	s_branch .LBB34_813
.LBB34_811:
	s_mov_b64 s[30:31], -1
                                        ; implicit-def: $vgpr4
.LBB34_812:
	s_mov_b64 s[38:39], 0
.LBB34_813:
	s_and_b64 vcc, exec, s[38:39]
	s_cbranch_vccz .LBB34_831
; %bb.814:
	s_cmp_lt_i32 s43, 27
	s_cbranch_scc1 .LBB34_817
; %bb.815:
	s_cmp_gt_i32 s43, 27
	s_cbranch_scc0 .LBB34_818
; %bb.816:
	global_load_dword v3, v[0:1], off
	s_movk_i32 s36, 0x7fff
	s_waitcnt vmcnt(0)
	v_cvt_f32_u32_e32 v3, v3
	v_bfe_u32 v4, v3, 16, 1
	v_add3_u32 v3, v3, v4, s36
	v_lshrrev_b32_e32 v4, 16, v3
	s_mov_b64 s[36:37], 0
	s_branch .LBB34_819
.LBB34_817:
	s_mov_b64 s[36:37], -1
                                        ; implicit-def: $vgpr4
	s_branch .LBB34_822
.LBB34_818:
	s_mov_b64 s[36:37], -1
                                        ; implicit-def: $vgpr4
.LBB34_819:
	s_andn2_b64 vcc, exec, s[36:37]
	s_cbranch_vccnz .LBB34_821
; %bb.820:
	global_load_ushort v3, v[0:1], off
	s_movk_i32 s36, 0x7fff
	s_waitcnt vmcnt(0)
	v_cvt_f32_u32_e32 v3, v3
	v_bfe_u32 v4, v3, 16, 1
	v_add3_u32 v3, v3, v4, s36
	v_lshrrev_b32_e32 v4, 16, v3
.LBB34_821:
	s_mov_b64 s[36:37], 0
.LBB34_822:
	s_andn2_b64 vcc, exec, s[36:37]
	s_cbranch_vccnz .LBB34_830
; %bb.823:
	global_load_ubyte v3, v[0:1], off
	s_movk_i32 s36, 0x7f
	s_waitcnt vmcnt(0)
	v_cmp_lt_i16_e32 vcc, s36, v3
	s_mov_b64 s[36:37], 0
	s_and_saveexec_b64 s[38:39], vcc
	s_xor_b64 s[38:39], exec, s[38:39]
	s_cbranch_execz .LBB34_844
; %bb.824:
	s_movk_i32 s36, 0x80
	v_cmp_eq_u16_e32 vcc, s36, v3
	s_mov_b64 s[36:37], -1
	s_and_saveexec_b64 s[40:41], vcc
; %bb.825:
	s_xor_b64 s[36:37], exec, -1
; %bb.826:
	s_or_b64 exec, exec, s[40:41]
	s_and_b64 s[36:37], s[36:37], exec
	s_or_saveexec_b64 s[38:39], s[38:39]
	v_mov_b32_e32 v4, 0x7f800001
	s_xor_b64 exec, exec, s[38:39]
	s_cbranch_execnz .LBB34_845
.LBB34_827:
	s_or_b64 exec, exec, s[38:39]
	s_and_saveexec_b64 s[38:39], s[36:37]
	s_cbranch_execz .LBB34_829
.LBB34_828:
	v_lshlrev_b32_e32 v4, 24, v3
	v_and_b32_e32 v3, 0xffff, v3
	v_and_b32_e32 v5, 7, v3
	v_ffbh_u32_e32 v7, v5
	v_min_u32_e32 v7, 32, v7
	v_subrev_u32_e32 v8, 28, v7
	v_bfe_u32 v6, v3, 3, 4
	v_lshlrev_b32_e32 v3, v8, v3
	v_sub_u32_e32 v7, 29, v7
	v_and_b32_e32 v3, 7, v3
	v_cmp_eq_u32_e32 vcc, 0, v6
	v_cndmask_b32_e32 v6, v6, v7, vcc
	v_cndmask_b32_e32 v3, v5, v3, vcc
	v_mov_b32_e32 v5, 0x3b800000
	v_lshlrev_b32_e32 v3, 20, v3
	v_and_b32_e32 v4, 0x80000000, v4
	v_lshl_add_u32 v5, v6, 23, v5
	v_or3_b32 v4, v4, v5, v3
.LBB34_829:
	s_or_b64 exec, exec, s[38:39]
	v_bfe_u32 v3, v4, 16, 1
	s_movk_i32 s36, 0x7fff
	v_add3_u32 v3, v4, v3, s36
	v_cmp_o_f32_e32 vcc, v4, v4
	v_mov_b32_e32 v4, 0x7fc0
	v_cndmask_b32_sdwa v4, v4, v3, vcc dst_sel:DWORD dst_unused:UNUSED_PAD src0_sel:DWORD src1_sel:WORD_1
.LBB34_830:
	s_mov_b64 s[36:37], -1
.LBB34_831:
	s_mov_b64 s[38:39], 0
.LBB34_832:
	s_and_b64 vcc, exec, s[38:39]
	s_cbranch_vccz .LBB34_865
; %bb.833:
	s_cmp_gt_i32 s43, 22
	s_cbranch_scc0 .LBB34_843
; %bb.834:
	s_cmp_lt_i32 s43, 24
	s_cbranch_scc1 .LBB34_846
; %bb.835:
	s_cmp_gt_i32 s43, 24
	s_cbranch_scc0 .LBB34_847
; %bb.836:
	global_load_ubyte v3, v[0:1], off
	s_movk_i32 s34, 0x7f
	s_waitcnt vmcnt(0)
	v_cmp_lt_i16_e32 vcc, s34, v3
	s_mov_b64 s[34:35], 0
	s_and_saveexec_b64 s[36:37], vcc
	s_xor_b64 s[36:37], exec, s[36:37]
	s_cbranch_execz .LBB34_859
; %bb.837:
	s_movk_i32 s34, 0x80
	v_cmp_eq_u16_e32 vcc, s34, v3
	s_mov_b64 s[34:35], -1
	s_and_saveexec_b64 s[38:39], vcc
; %bb.838:
	s_xor_b64 s[34:35], exec, -1
; %bb.839:
	s_or_b64 exec, exec, s[38:39]
	s_and_b64 s[34:35], s[34:35], exec
	s_or_saveexec_b64 s[36:37], s[36:37]
	v_mov_b32_e32 v4, 0x7f800001
	s_xor_b64 exec, exec, s[36:37]
	s_cbranch_execnz .LBB34_860
.LBB34_840:
	s_or_b64 exec, exec, s[36:37]
	s_and_saveexec_b64 s[36:37], s[34:35]
	s_cbranch_execz .LBB34_842
.LBB34_841:
	v_lshlrev_b32_e32 v4, 24, v3
	v_and_b32_e32 v3, 0xffff, v3
	v_and_b32_e32 v5, 3, v3
	v_ffbh_u32_e32 v7, v5
	v_min_u32_e32 v7, 32, v7
	v_subrev_u32_e32 v8, 29, v7
	v_bfe_u32 v6, v3, 2, 5
	v_lshlrev_b32_e32 v3, v8, v3
	v_sub_u32_e32 v7, 30, v7
	v_and_b32_e32 v3, 3, v3
	v_cmp_eq_u32_e32 vcc, 0, v6
	v_cndmask_b32_e32 v6, v6, v7, vcc
	v_cndmask_b32_e32 v3, v5, v3, vcc
	v_mov_b32_e32 v5, 0x37800000
	v_lshlrev_b32_e32 v3, 21, v3
	v_and_b32_e32 v4, 0x80000000, v4
	v_lshl_add_u32 v5, v6, 23, v5
	v_or3_b32 v4, v4, v5, v3
.LBB34_842:
	s_or_b64 exec, exec, s[36:37]
	v_bfe_u32 v3, v4, 16, 1
	s_movk_i32 s34, 0x7fff
	v_add3_u32 v3, v4, v3, s34
	v_cmp_o_f32_e32 vcc, v4, v4
	v_mov_b32_e32 v4, 0x7fc0
	v_cndmask_b32_sdwa v4, v4, v3, vcc dst_sel:DWORD dst_unused:UNUSED_PAD src0_sel:DWORD src1_sel:WORD_1
	s_mov_b64 s[34:35], 0
	s_branch .LBB34_848
.LBB34_843:
	s_mov_b64 s[34:35], -1
                                        ; implicit-def: $vgpr4
	s_branch .LBB34_854
.LBB34_844:
	s_or_saveexec_b64 s[38:39], s[38:39]
	v_mov_b32_e32 v4, 0x7f800001
	s_xor_b64 exec, exec, s[38:39]
	s_cbranch_execz .LBB34_827
.LBB34_845:
	v_cmp_ne_u16_e32 vcc, 0, v3
	s_andn2_b64 s[36:37], s[36:37], exec
	s_and_b64 s[40:41], vcc, exec
	v_mov_b32_e32 v4, 0
	s_or_b64 s[36:37], s[36:37], s[40:41]
	s_or_b64 exec, exec, s[38:39]
	s_and_saveexec_b64 s[38:39], s[36:37]
	s_cbranch_execnz .LBB34_828
	s_branch .LBB34_829
.LBB34_846:
	s_mov_b64 s[34:35], -1
                                        ; implicit-def: $vgpr4
	s_branch .LBB34_851
.LBB34_847:
	s_mov_b64 s[34:35], -1
                                        ; implicit-def: $vgpr4
.LBB34_848:
	s_and_b64 vcc, exec, s[34:35]
	s_cbranch_vccz .LBB34_850
; %bb.849:
	global_load_ubyte v3, v[0:1], off
	s_mov_b32 s34, 0x7f800000
	s_brev_b32 s35, 1
	s_movk_i32 s36, 0x7fff
	s_waitcnt vmcnt(0)
	v_lshlrev_b32_e32 v3, 24, v3
	v_and_b32_e32 v4, 0x7f000000, v3
	v_ffbh_u32_e32 v5, v4
	v_min_u32_e32 v5, 32, v5
	v_sub_u32_e64 v5, v5, 4 clamp
	v_lshlrev_b32_e32 v7, v5, v4
	v_lshlrev_b32_e32 v5, 23, v5
	v_lshrrev_b32_e32 v7, 4, v7
	v_add_u32_e32 v6, 0x1000000, v4
	v_sub_u32_e32 v5, v7, v5
	v_ashrrev_i32_e32 v6, 8, v6
	v_add_u32_e32 v5, 0x3c000000, v5
	v_and_or_b32 v5, v6, s34, v5
	v_cmp_ne_u32_e32 vcc, 0, v4
	v_cndmask_b32_e32 v4, 0, v5, vcc
	v_and_or_b32 v3, v3, s35, v4
	v_bfe_u32 v4, v4, 16, 1
	v_add3_u32 v4, v3, v4, s36
	v_cmp_o_f32_e32 vcc, v3, v3
	v_mov_b32_e32 v3, 0x7fc0
	v_cndmask_b32_sdwa v4, v3, v4, vcc dst_sel:DWORD dst_unused:UNUSED_PAD src0_sel:DWORD src1_sel:WORD_1
.LBB34_850:
	s_mov_b64 s[34:35], 0
.LBB34_851:
	s_andn2_b64 vcc, exec, s[34:35]
	s_cbranch_vccnz .LBB34_853
; %bb.852:
	global_load_ubyte v3, v[0:1], off
	s_movk_i32 s34, 0x7f00
	s_brev_b32 s35, 16
	s_brev_b32 s36, 1
	s_movk_i32 s37, 0x7fff
	s_waitcnt vmcnt(0)
	v_lshlrev_b16_e32 v4, 8, v3
	v_lshlrev_b32_e32 v3, 25, v3
	v_lshrrev_b32_e32 v5, 4, v3
	v_and_or_b32 v6, v4, s34, 0.5
	v_or_b32_e32 v5, 0x70000000, v5
	v_add_f32_e32 v6, -0.5, v6
	v_mul_f32_e32 v5, 0x7800000, v5
	v_cmp_gt_u32_e32 vcc, s35, v3
	v_bfe_i32 v4, v4, 0, 16
	v_cndmask_b32_e32 v3, v5, v6, vcc
	v_and_or_b32 v4, v4, s36, v3
	v_bfe_u32 v3, v3, 16, 1
	v_add3_u32 v3, v4, v3, s37
	v_cmp_o_f32_e32 vcc, v4, v4
	v_mov_b32_e32 v4, 0x7fc0
	v_cndmask_b32_sdwa v4, v4, v3, vcc dst_sel:DWORD dst_unused:UNUSED_PAD src0_sel:DWORD src1_sel:WORD_1
.LBB34_853:
	s_mov_b64 s[34:35], 0
	s_mov_b64 s[36:37], -1
.LBB34_854:
	s_andn2_b64 vcc, exec, s[34:35]
	s_mov_b64 s[34:35], 0
	s_cbranch_vccnz .LBB34_865
; %bb.855:
	s_cmp_gt_i32 s43, 14
	s_cbranch_scc0 .LBB34_858
; %bb.856:
	s_cmp_eq_u32 s43, 15
	s_cbranch_scc0 .LBB34_861
; %bb.857:
	global_load_ushort v4, v[0:1], off
	s_mov_b64 s[30:31], 0
	s_mov_b64 s[36:37], -1
	s_branch .LBB34_862
.LBB34_858:
	s_mov_b64 s[38:39], -1
                                        ; implicit-def: $vgpr4
	s_branch .LBB34_863
.LBB34_859:
	s_or_saveexec_b64 s[36:37], s[36:37]
	v_mov_b32_e32 v4, 0x7f800001
	s_xor_b64 exec, exec, s[36:37]
	s_cbranch_execz .LBB34_840
.LBB34_860:
	v_cmp_ne_u16_e32 vcc, 0, v3
	s_andn2_b64 s[34:35], s[34:35], exec
	s_and_b64 s[38:39], vcc, exec
	v_mov_b32_e32 v4, 0
	s_or_b64 s[34:35], s[34:35], s[38:39]
	s_or_b64 exec, exec, s[36:37]
	s_and_saveexec_b64 s[36:37], s[34:35]
	s_cbranch_execnz .LBB34_841
	s_branch .LBB34_842
.LBB34_861:
	s_mov_b64 s[30:31], -1
                                        ; implicit-def: $vgpr4
.LBB34_862:
	s_mov_b64 s[38:39], 0
.LBB34_863:
	s_and_b64 vcc, exec, s[38:39]
	s_cbranch_vccz .LBB34_865
; %bb.864:
	s_cmp_lg_u32 s43, 11
	s_cselect_b64 s[38:39], -1, 0
	s_andn2_b64 s[30:31], s[30:31], exec
	s_and_b64 s[38:39], s[38:39], exec
	s_mov_b64 s[34:35], -1
	s_or_b64 s[30:31], s[30:31], s[38:39]
.LBB34_865:
	s_mov_b64 s[38:39], 0
.LBB34_866:
	s_and_b64 s[40:41], s[36:37], exec
	s_and_b64 s[36:37], s[38:39], exec
	s_andn2_b64 s[38:39], s[0:1], exec
	s_and_b64 s[30:31], s[30:31], exec
	s_and_b64 s[34:35], s[34:35], exec
	s_or_b64 s[38:39], s[38:39], s[30:31]
.LBB34_867:
	s_or_b64 exec, exec, s[28:29]
	s_and_b64 s[30:31], s[34:35], exec
	s_andn2_b64 s[0:1], s[0:1], exec
	s_and_b64 s[34:35], s[38:39], exec
	s_and_b64 s[28:29], s[40:41], exec
	;; [unrolled: 1-line block ×3, first 2 shown]
	s_or_b64 s[0:1], s[0:1], s[34:35]
.LBB34_868:
	s_or_b64 exec, exec, s[4:5]
	s_andn2_b64 s[4:5], s[24:25], exec
	s_and_b64 s[2:3], s[2:3], exec
	s_andn2_b64 s[22:23], s[22:23], exec
	s_and_b64 s[0:1], s[0:1], exec
	s_or_b64 s[24:25], s[4:5], s[2:3]
	s_and_b64 s[28:29], s[28:29], exec
	s_and_b64 s[4:5], s[36:37], exec
	;; [unrolled: 1-line block ×3, first 2 shown]
	s_or_b64 s[22:23], s[22:23], s[0:1]
.LBB34_869:
	s_or_b64 exec, exec, s[26:27]
	s_andn2_b64 s[0:1], s[16:17], exec
	s_and_b64 s[16:17], s[24:25], exec
	s_and_b64 s[24:25], s[2:3], exec
	s_andn2_b64 s[2:3], s[18:19], exec
	s_and_b64 s[18:19], s[22:23], exec
	s_or_b64 s[16:17], s[0:1], s[16:17]
	s_and_b64 s[0:1], s[28:29], exec
	s_and_b64 s[4:5], s[4:5], exec
	s_or_b64 s[18:19], s[2:3], s[18:19]
	s_or_b64 exec, exec, s[20:21]
	s_mov_b64 s[20:21], 0
	s_and_saveexec_b64 s[2:3], s[18:19]
	s_cbranch_execz .LBB34_265
.LBB34_870:
	s_mov_b64 s[20:21], exec
	s_andn2_b64 s[24:25], s[24:25], exec
	s_trap 2
	s_or_b64 exec, exec, s[2:3]
	s_and_saveexec_b64 s[2:3], s[24:25]
	s_xor_b64 s[2:3], exec, s[2:3]
	s_cbranch_execnz .LBB34_266
.LBB34_871:
	s_or_b64 exec, exec, s[2:3]
	s_and_saveexec_b64 s[2:3], s[4:5]
	s_cbranch_execz .LBB34_917
.LBB34_872:
	s_sext_i32_i16 s4, s42
	s_cmp_lt_i32 s4, 5
	s_cbranch_scc1 .LBB34_877
; %bb.873:
	s_cmp_lt_i32 s4, 8
	s_cbranch_scc1 .LBB34_878
; %bb.874:
	;; [unrolled: 3-line block ×3, first 2 shown]
	s_cmp_gt_i32 s4, 9
	s_cbranch_scc0 .LBB34_880
; %bb.876:
	global_load_dwordx2 v[3:4], v[0:1], off
	s_movk_i32 s4, 0x7fff
	s_waitcnt vmcnt(0)
	v_cvt_f32_f64_e32 v3, v[3:4]
	v_mov_b32_e32 v4, 0x7fc0
	v_bfe_u32 v5, v3, 16, 1
	v_cmp_o_f32_e32 vcc, v3, v3
	v_add3_u32 v3, v3, v5, s4
	v_cndmask_b32_sdwa v4, v4, v3, vcc dst_sel:DWORD dst_unused:UNUSED_PAD src0_sel:DWORD src1_sel:WORD_1
	s_mov_b64 s[4:5], 0
	s_branch .LBB34_881
.LBB34_877:
                                        ; implicit-def: $vgpr4
	s_branch .LBB34_898
.LBB34_878:
                                        ; implicit-def: $vgpr4
	s_branch .LBB34_887
.LBB34_879:
	s_mov_b64 s[4:5], -1
                                        ; implicit-def: $vgpr4
	s_branch .LBB34_884
.LBB34_880:
	s_mov_b64 s[4:5], -1
                                        ; implicit-def: $vgpr4
.LBB34_881:
	s_andn2_b64 vcc, exec, s[4:5]
	s_cbranch_vccnz .LBB34_883
; %bb.882:
	global_load_dword v3, v[0:1], off
	s_movk_i32 s4, 0x7fff
	s_waitcnt vmcnt(1)
	v_mov_b32_e32 v4, 0x7fc0
	s_waitcnt vmcnt(0)
	v_bfe_u32 v5, v3, 16, 1
	v_cmp_o_f32_e32 vcc, v3, v3
	v_add3_u32 v3, v3, v5, s4
	v_cndmask_b32_sdwa v4, v4, v3, vcc dst_sel:DWORD dst_unused:UNUSED_PAD src0_sel:DWORD src1_sel:WORD_1
.LBB34_883:
	s_mov_b64 s[4:5], 0
.LBB34_884:
	s_andn2_b64 vcc, exec, s[4:5]
	s_cbranch_vccnz .LBB34_886
; %bb.885:
	global_load_dword v3, v[0:1], off
	s_movk_i32 s4, 0x7fff
	v_mov_b32_e32 v5, 0x7fc0
	s_waitcnt vmcnt(0)
	v_cvt_f32_f16_e32 v4, v3
	v_cmp_o_f16_e32 vcc, v3, v3
	v_bfe_u32 v3, v4, 16, 1
	v_add3_u32 v3, v4, v3, s4
	v_cndmask_b32_sdwa v4, v5, v3, vcc dst_sel:DWORD dst_unused:UNUSED_PAD src0_sel:DWORD src1_sel:WORD_1
.LBB34_886:
	s_cbranch_execnz .LBB34_897
.LBB34_887:
	s_sext_i32_i16 s4, s42
	s_cmp_lt_i32 s4, 6
	s_cbranch_scc1 .LBB34_890
; %bb.888:
	s_cmp_gt_i32 s4, 6
	s_cbranch_scc0 .LBB34_891
; %bb.889:
	global_load_dwordx2 v[3:4], v[0:1], off
	s_movk_i32 s4, 0x7fff
	s_waitcnt vmcnt(0)
	v_cvt_f32_f64_e32 v3, v[3:4]
	v_mov_b32_e32 v4, 0x7fc0
	v_bfe_u32 v5, v3, 16, 1
	v_cmp_o_f32_e32 vcc, v3, v3
	v_add3_u32 v3, v3, v5, s4
	v_cndmask_b32_sdwa v4, v4, v3, vcc dst_sel:DWORD dst_unused:UNUSED_PAD src0_sel:DWORD src1_sel:WORD_1
	s_mov_b64 s[4:5], 0
	s_branch .LBB34_892
.LBB34_890:
	s_mov_b64 s[4:5], -1
                                        ; implicit-def: $vgpr4
	s_branch .LBB34_895
.LBB34_891:
	s_mov_b64 s[4:5], -1
                                        ; implicit-def: $vgpr4
.LBB34_892:
	s_andn2_b64 vcc, exec, s[4:5]
	s_cbranch_vccnz .LBB34_894
; %bb.893:
	global_load_dword v3, v[0:1], off
	s_movk_i32 s4, 0x7fff
	s_waitcnt vmcnt(1)
	v_mov_b32_e32 v4, 0x7fc0
	s_waitcnt vmcnt(0)
	v_bfe_u32 v5, v3, 16, 1
	v_cmp_o_f32_e32 vcc, v3, v3
	v_add3_u32 v3, v3, v5, s4
	v_cndmask_b32_sdwa v4, v4, v3, vcc dst_sel:DWORD dst_unused:UNUSED_PAD src0_sel:DWORD src1_sel:WORD_1
.LBB34_894:
	s_mov_b64 s[4:5], 0
.LBB34_895:
	s_andn2_b64 vcc, exec, s[4:5]
	s_cbranch_vccnz .LBB34_897
; %bb.896:
	global_load_ushort v3, v[0:1], off
	s_movk_i32 s4, 0x7fff
	v_mov_b32_e32 v5, 0x7fc0
	s_waitcnt vmcnt(0)
	v_cvt_f32_f16_e32 v4, v3
	v_cmp_o_f16_e32 vcc, v3, v3
	v_bfe_u32 v3, v4, 16, 1
	v_add3_u32 v3, v4, v3, s4
	v_cndmask_b32_sdwa v4, v5, v3, vcc dst_sel:DWORD dst_unused:UNUSED_PAD src0_sel:DWORD src1_sel:WORD_1
.LBB34_897:
	s_cbranch_execnz .LBB34_916
.LBB34_898:
	s_sext_i32_i16 s4, s42
	s_cmp_lt_i32 s4, 2
	s_cbranch_scc1 .LBB34_902
; %bb.899:
	s_cmp_lt_i32 s4, 3
	s_cbranch_scc1 .LBB34_903
; %bb.900:
	s_cmp_gt_i32 s4, 3
	s_cbranch_scc0 .LBB34_904
; %bb.901:
	global_load_dwordx2 v[3:4], v[0:1], off
	s_movk_i32 s4, 0x7fff
	s_waitcnt vmcnt(0)
	v_xor_b32_e32 v6, v3, v4
	v_ffbh_i32_e32 v5, v4
	v_ashrrev_i32_e32 v6, 31, v6
	v_add_u32_e32 v5, -1, v5
	v_add_u32_e32 v6, 32, v6
	v_min_u32_e32 v5, v5, v6
	v_lshlrev_b64 v[3:4], v5, v[3:4]
	v_min_u32_e32 v3, 1, v3
	v_or_b32_e32 v3, v4, v3
	v_cvt_f32_i32_e32 v3, v3
	v_sub_u32_e32 v4, 32, v5
	v_ldexp_f32 v3, v3, v4
	v_bfe_u32 v4, v3, 16, 1
	v_add3_u32 v3, v3, v4, s4
	v_lshrrev_b32_e32 v4, 16, v3
	s_mov_b64 s[4:5], 0
	s_branch .LBB34_905
.LBB34_902:
                                        ; implicit-def: $vgpr4
	s_branch .LBB34_911
.LBB34_903:
	s_mov_b64 s[4:5], -1
                                        ; implicit-def: $vgpr4
	s_branch .LBB34_908
.LBB34_904:
	s_mov_b64 s[4:5], -1
                                        ; implicit-def: $vgpr4
.LBB34_905:
	s_andn2_b64 vcc, exec, s[4:5]
	s_cbranch_vccnz .LBB34_907
; %bb.906:
	global_load_dword v3, v[0:1], off
	s_movk_i32 s4, 0x7fff
	s_waitcnt vmcnt(0)
	v_cvt_f32_i32_e32 v3, v3
	v_bfe_u32 v4, v3, 16, 1
	v_add3_u32 v3, v3, v4, s4
	v_lshrrev_b32_e32 v4, 16, v3
.LBB34_907:
	s_mov_b64 s[4:5], 0
.LBB34_908:
	s_andn2_b64 vcc, exec, s[4:5]
	s_cbranch_vccnz .LBB34_910
; %bb.909:
	global_load_sshort v3, v[0:1], off
	s_movk_i32 s4, 0x7fff
	s_waitcnt vmcnt(0)
	v_cvt_f32_i32_e32 v3, v3
	v_bfe_u32 v4, v3, 16, 1
	v_add3_u32 v3, v3, v4, s4
	v_lshrrev_b32_e32 v4, 16, v3
.LBB34_910:
	s_cbranch_execnz .LBB34_916
.LBB34_911:
	s_sext_i32_i16 s4, s42
	s_cmp_gt_i32 s4, 0
	s_cbranch_scc0 .LBB34_913
; %bb.912:
	global_load_sbyte v3, v[0:1], off
	s_movk_i32 s4, 0x7fff
	s_waitcnt vmcnt(0)
	v_cvt_f32_i32_e32 v3, v3
	v_bfe_u32 v4, v3, 16, 1
	v_add3_u32 v3, v3, v4, s4
	v_lshrrev_b32_e32 v4, 16, v3
	s_mov_b64 s[4:5], 0
	s_branch .LBB34_914
.LBB34_913:
	s_mov_b64 s[4:5], -1
                                        ; implicit-def: $vgpr4
.LBB34_914:
	s_andn2_b64 vcc, exec, s[4:5]
	s_cbranch_vccnz .LBB34_916
; %bb.915:
	global_load_ubyte v0, v[0:1], off
	s_movk_i32 s4, 0x7fff
	s_waitcnt vmcnt(0)
	v_cvt_f32_ubyte0_e32 v0, v0
	v_bfe_u32 v1, v0, 16, 1
	v_add3_u32 v0, v0, v1, s4
	v_lshrrev_b32_e32 v4, 16, v0
.LBB34_916:
	s_or_b64 s[0:1], s[0:1], exec
.LBB34_917:
	s_or_b64 exec, exec, s[2:3]
	s_mov_b64 s[4:5], 0
	s_mov_b64 s[2:3], 0
                                        ; implicit-def: $sgpr26
                                        ; implicit-def: $vgpr0_vgpr1
                                        ; implicit-def: $vgpr3
	s_and_saveexec_b64 s[18:19], s[0:1]
	s_cbranch_execz .LBB34_939
; %bb.918:
	s_waitcnt vmcnt(0)
	v_lshlrev_b32_e32 v0, 16, v4
	s_brev_b32 s0, 18
	v_and_b32_e32 v1, 0x7fffffff, v0
	v_cmp_nlt_f32_e64 s[0:1], |v0|, s0
                                        ; implicit-def: $vgpr3
                                        ; implicit-def: $vgpr4
	s_and_saveexec_b64 s[2:3], s[0:1]
	s_xor_b64 s[22:23], exec, s[2:3]
	s_cbranch_execz .LBB34_920
; %bb.919:
	v_and_b32_e32 v3, 0x7fffff, v1
	v_or_b32_e32 v12, 0x800000, v3
	s_mov_b32 s0, 0xfe5163ab
	v_mad_u64_u32 v[3:4], s[0:1], v12, s0, 0
	v_mov_b32_e32 v5, 0
	s_mov_b32 s0, 0x3c439041
	v_mad_u64_u32 v[6:7], s[0:1], v12, s0, v[4:5]
	s_mov_b32 s0, 0xdb629599
	v_not_b32_e32 v11, 63
	v_mov_b32_e32 v4, v7
	v_mad_u64_u32 v[7:8], s[0:1], v12, s0, v[4:5]
	s_mov_b32 s0, 0xf534ddc0
	v_not_b32_e32 v14, 31
	v_mov_b32_e32 v4, v8
	v_mad_u64_u32 v[8:9], s[0:1], v12, s0, v[4:5]
	v_lshrrev_b32_e32 v4, 23, v1
	v_add_u32_e32 v13, 0xffffff88, v4
	v_mov_b32_e32 v4, v9
	s_mov_b32 s0, 0xfc2757d1
	v_mad_u64_u32 v[9:10], s[0:1], v12, s0, v[4:5]
	v_cmp_lt_u32_e32 vcc, 63, v13
	v_cndmask_b32_e32 v4, 0, v11, vcc
	v_add_u32_e32 v13, v4, v13
	v_mov_b32_e32 v4, v10
	s_mov_b32 s0, 0x4e441529
	v_mad_u64_u32 v[10:11], s[0:1], v12, s0, v[4:5]
	v_cmp_lt_u32_e64 s[0:1], 31, v13
	v_cndmask_b32_e64 v4, 0, v14, s[0:1]
	v_add_u32_e32 v13, v4, v13
	v_mov_b32_e32 v4, v11
	s_mov_b32 s2, 0xa2f9836e
	v_mad_u64_u32 v[4:5], s[2:3], v12, s2, v[4:5]
	v_cmp_lt_u32_e64 s[2:3], 31, v13
	v_cndmask_b32_e64 v11, 0, v14, s[2:3]
	v_cndmask_b32_e32 v12, v10, v8, vcc
	v_cndmask_b32_e32 v4, v4, v9, vcc
	;; [unrolled: 1-line block ×3, first 2 shown]
	v_add_u32_e32 v11, v11, v13
	v_cndmask_b32_e64 v13, v4, v12, s[0:1]
	v_cndmask_b32_e64 v4, v5, v4, s[0:1]
	v_cndmask_b32_e32 v5, v9, v7, vcc
	v_cndmask_b32_e64 v9, v12, v5, s[0:1]
	v_cndmask_b32_e64 v4, v4, v13, s[2:3]
	;; [unrolled: 1-line block ×3, first 2 shown]
	v_sub_u32_e32 v12, 32, v11
	v_alignbit_b32 v13, v4, v10, v12
	v_cmp_eq_u32_e64 s[4:5], 0, v11
	v_cndmask_b32_e64 v11, v13, v4, s[4:5]
	v_cndmask_b32_e32 v4, v8, v6, vcc
	v_cndmask_b32_e64 v5, v5, v4, s[0:1]
	v_cndmask_b32_e64 v6, v9, v5, s[2:3]
	v_alignbit_b32 v8, v10, v6, v12
	v_cndmask_b32_e32 v3, v7, v3, vcc
	v_cndmask_b32_e64 v8, v8, v10, s[4:5]
	v_bfe_u32 v13, v11, 29, 1
	v_cndmask_b32_e64 v3, v4, v3, s[0:1]
	v_alignbit_b32 v9, v11, v8, 30
	v_sub_u32_e32 v14, 0, v13
	v_cndmask_b32_e64 v3, v5, v3, s[2:3]
	v_xor_b32_e32 v9, v9, v14
	v_alignbit_b32 v4, v6, v3, v12
	v_cndmask_b32_e64 v4, v4, v6, s[4:5]
	v_ffbh_u32_e32 v6, v9
	v_alignbit_b32 v5, v8, v4, 30
	v_min_u32_e32 v6, 32, v6
	v_alignbit_b32 v3, v4, v3, 30
	v_xor_b32_e32 v5, v5, v14
	v_sub_u32_e32 v7, 31, v6
	v_xor_b32_e32 v3, v3, v14
	v_alignbit_b32 v8, v9, v5, v7
	v_alignbit_b32 v3, v5, v3, v7
	;; [unrolled: 1-line block ×3, first 2 shown]
	v_ffbh_u32_e32 v5, v4
	v_min_u32_e32 v5, 32, v5
	v_lshrrev_b32_e32 v10, 29, v11
	v_not_b32_e32 v7, v5
	v_alignbit_b32 v3, v4, v3, v7
	v_lshlrev_b32_e32 v4, 31, v10
	v_or_b32_e32 v7, 0x33000000, v4
	v_add_lshl_u32 v5, v5, v6, 23
	v_lshrrev_b32_e32 v3, 9, v3
	v_sub_u32_e32 v5, v7, v5
	v_or_b32_e32 v4, 0.5, v4
	v_lshlrev_b32_e32 v6, 23, v6
	v_or_b32_e32 v3, v5, v3
	v_lshrrev_b32_e32 v5, 9, v8
	v_sub_u32_e32 v4, v4, v6
	v_or_b32_e32 v4, v5, v4
	s_mov_b32 s0, 0x3fc90fda
	v_mul_f32_e32 v5, 0x3fc90fda, v4
	v_fma_f32 v6, v4, s0, -v5
	v_fmac_f32_e32 v6, 0x33a22168, v4
	v_fmac_f32_e32 v6, 0x3fc90fda, v3
	v_lshrrev_b32_e32 v3, 30, v11
	v_add_f32_e32 v4, v5, v6
	v_add_u32_e32 v3, v13, v3
.LBB34_920:
	s_andn2_saveexec_b64 s[0:1], s[22:23]
	s_cbranch_execz .LBB34_922
; %bb.921:
	s_mov_b32 s2, 0x3f22f983
	v_mul_f32_e64 v3, |v0|, s2
	v_rndne_f32_e32 v5, v3
	s_mov_b32 s2, 0xbfc90fda
	v_cvt_i32_f32_e32 v3, v5
	v_fma_f32 v4, v5, s2, |v0|
	v_fmac_f32_e32 v4, 0xb3a22168, v5
	v_fmac_f32_e32 v4, 0xa7c234c4, v5
.LBB34_922:
	s_or_b64 exec, exec, s[0:1]
	v_mul_f32_e32 v5, v4, v4
	v_mov_b32_e32 v6, 0x3c0881c4
	v_fmac_f32_e32 v6, 0xb94c1982, v5
	v_mov_b32_e32 v7, 0xbe2aaa9d
	v_fmac_f32_e32 v7, v5, v6
	v_mul_f32_e32 v6, v5, v7
	v_fmac_f32_e32 v4, v4, v6
	v_mov_b32_e32 v6, 0xbab64f3b
	v_fmac_f32_e32 v6, 0x37d75334, v5
	v_mov_b32_e32 v7, 0x3d2aabf7
	v_fmac_f32_e32 v7, v5, v6
	v_mov_b32_e32 v6, 0xbf000004
	v_fmac_f32_e32 v6, v5, v7
	v_fma_f32 v5, v5, v6, 1.0
	v_and_b32_e32 v6, 1, v3
	v_lshlrev_b32_e32 v3, 30, v3
	v_cmp_eq_u32_e32 vcc, 0, v6
	v_and_b32_e32 v3, 0x80000000, v3
	v_cndmask_b32_e32 v4, v5, v4, vcc
	v_xor_b32_e32 v1, v1, v3
	v_xor_b32_e32 v1, v1, v4
	s_movk_i32 s0, 0x1f8
	v_xor_b32_e32 v1, v1, v0
	v_mov_b32_e32 v3, 0x7fc00000
	v_cmp_class_f32_e64 vcc, v0, s0
	v_cndmask_b32_e32 v0, v3, v1, vcc
	v_bfe_u32 v1, v0, 16, 1
	s_movk_i32 s0, 0x7fff
	v_add3_u32 v1, v0, v1, s0
	v_cmp_o_f32_e32 vcc, v0, v0
	v_mul_lo_u32 v0, v2, s12
	v_mov_b32_e32 v2, 0x7fc0
	v_cndmask_b32_sdwa v3, v2, v1, vcc dst_sel:DWORD dst_unused:UNUSED_PAD src0_sel:DWORD src1_sel:WORD_1
	v_mov_b32_e32 v2, s9
	v_ashrrev_i32_e32 v1, 31, v0
	s_and_b32 s26, s33, 0xff
	v_add_co_u32_e32 v0, vcc, s8, v0
	s_cmp_lt_i32 s26, 11
	v_addc_co_u32_e32 v1, vcc, v2, v1, vcc
	s_cbranch_scc1 .LBB34_942
; %bb.923:
	s_and_b32 s27, 0xffff, s26
	s_mov_b64 s[4:5], -1
	s_cmp_gt_i32 s27, 25
	s_mov_b64 s[0:1], s[16:17]
	s_cbranch_scc0 .LBB34_960
; %bb.924:
	s_mov_b64 s[2:3], -1
	s_cmp_gt_i32 s27, 28
	s_mov_b64 s[0:1], s[16:17]
	s_cbranch_scc0 .LBB34_944
; %bb.925:
	s_cmp_gt_i32 s27, 43
	s_mov_b64 s[0:1], s[16:17]
	s_cbranch_scc0 .LBB34_936
; %bb.926:
	;; [unrolled: 4-line block ×3, first 2 shown]
	s_cmp_eq_u32 s27, 46
	s_mov_b64 s[0:1], -1
	s_cbranch_scc0 .LBB34_929
; %bb.928:
	v_and_b32_e32 v2, 0xffff, v3
	global_store_dword v[0:1], v2, off
	s_mov_b64 s[0:1], 0
.LBB34_929:
	s_mov_b64 s[2:3], 0
.LBB34_930:
	s_and_b64 vcc, exec, s[2:3]
	s_cbranch_vccz .LBB34_935
; %bb.931:
	s_cmp_eq_u32 s27, 44
	s_mov_b64 s[0:1], -1
	s_cbranch_scc0 .LBB34_935
; %bb.932:
	v_and_b32_e32 v4, 0xffff, v3
	v_bfe_u32 v2, v4, 7, 8
	s_movk_i32 s0, 0xff
	v_cmp_ne_u32_e32 vcc, s0, v2
	v_mov_b32_e32 v5, 0xff
	s_and_saveexec_b64 s[2:3], vcc
	s_cbranch_execz .LBB34_934
; %bb.933:
	v_lshlrev_b32_e32 v6, 16, v4
	s_mov_b32 s0, 0x3f0000
	v_lshrrev_b32_e32 v5, 7, v4
	v_and_b32_e32 v4, 64, v4
	v_and_or_b32 v2, v6, s0, v2
	v_cmp_ne_u32_e32 vcc, 0, v4
	v_cmp_ne_u32_e64 s[0:1], 0, v2
	s_and_b64 s[0:1], vcc, s[0:1]
	v_cndmask_b32_e64 v2, 0, 1, s[0:1]
	v_add_u32_e32 v5, v5, v2
.LBB34_934:
	s_or_b64 exec, exec, s[2:3]
	s_mov_b64 s[0:1], 0
	global_store_byte v[0:1], v5, off
.LBB34_935:
	s_mov_b64 s[2:3], 0
.LBB34_936:
	s_and_b64 vcc, exec, s[2:3]
	s_cbranch_vccz .LBB34_943
; %bb.937:
	s_cmp_eq_u32 s27, 29
	s_mov_b64 s[0:1], -1
	s_cbranch_scc0 .LBB34_943
; %bb.938:
	v_lshlrev_b32_e32 v2, 16, v3
	v_trunc_f32_e32 v2, v2
	v_mul_f32_e32 v4, 0x2f800000, v2
	v_floor_f32_e32 v4, v4
	v_fmac_f32_e32 v2, 0xcf800000, v4
	v_cvt_u32_f32_e32 v5, v4
	v_cvt_u32_f32_e32 v4, v2
	s_mov_b64 s[0:1], 0
	s_mov_b64 s[2:3], 0
	global_store_dwordx2 v[0:1], v[4:5], off
	s_branch .LBB34_944
.LBB34_939:
	s_or_b64 exec, exec, s[18:19]
	s_and_saveexec_b64 s[0:1], s[16:17]
	s_cbranch_execnz .LBB34_1002
.LBB34_940:
	s_or_b64 exec, exec, s[0:1]
	s_and_saveexec_b64 s[0:1], s[4:5]
	s_xor_b64 s[0:1], exec, s[0:1]
	s_cbranch_execz .LBB34_1003
.LBB34_941:
	s_waitcnt vmcnt(0)
	v_and_b32_e32 v2, 0x7fff, v3
	v_cmp_ne_u16_e32 vcc, 0, v2
	v_cndmask_b32_e64 v2, 0, 1, vcc
	global_store_byte v[0:1], v2, off
	s_or_b64 exec, exec, s[0:1]
	s_and_saveexec_b64 s[0:1], s[2:3]
	s_xor_b64 s[0:1], exec, s[0:1]
	s_cbranch_execz .LBB34_1041
	s_branch .LBB34_1004
.LBB34_942:
	s_mov_b64 s[4:5], 0
	s_mov_b64 s[2:3], -1
	s_mov_b64 s[0:1], s[16:17]
	s_branch .LBB34_1001
.LBB34_943:
	s_mov_b64 s[2:3], 0
.LBB34_944:
	s_and_b64 vcc, exec, s[2:3]
	s_cbranch_vccz .LBB34_959
; %bb.945:
	s_cmp_lt_i32 s27, 27
	s_mov_b64 s[2:3], -1
	s_cbranch_scc1 .LBB34_951
; %bb.946:
	s_cmp_gt_i32 s27, 27
	s_cbranch_scc0 .LBB34_948
; %bb.947:
	v_lshlrev_b32_e32 v2, 16, v3
	v_cvt_u32_f32_e32 v2, v2
	s_mov_b64 s[2:3], 0
	global_store_dword v[0:1], v2, off
.LBB34_948:
	s_andn2_b64 vcc, exec, s[2:3]
	s_cbranch_vccnz .LBB34_950
; %bb.949:
	v_lshlrev_b32_e32 v2, 16, v3
	v_cvt_u32_f32_e32 v2, v2
	global_store_short v[0:1], v2, off
.LBB34_950:
	s_mov_b64 s[2:3], 0
.LBB34_951:
	s_andn2_b64 vcc, exec, s[2:3]
	s_cbranch_vccnz .LBB34_959
; %bb.952:
	v_lshlrev_b32_e32 v5, 16, v3
	v_and_b32_e32 v4, 0x7fffffff, v5
	s_mov_b32 s2, 0x43800000
	v_cmp_gt_u32_e32 vcc, s2, v4
	v_mov_b32_e32 v6, 0x80
	s_and_saveexec_b64 s[2:3], vcc
	s_cbranch_execz .LBB34_958
; %bb.953:
	s_mov_b32 s4, 0x3bffffff
	v_and_b32_e32 v2, 0xffff, v3
	v_cmp_lt_u32_e32 vcc, s4, v4
	s_mov_b64 s[4:5], 0
                                        ; implicit-def: $vgpr4
	s_and_saveexec_b64 s[22:23], vcc
	s_xor_b64 s[22:23], exec, s[22:23]
	s_cbranch_execz .LBB34_1056
; %bb.954:
	v_bfe_u32 v4, v2, 4, 1
	s_mov_b32 s24, 0x487ffff
	v_add3_u32 v4, v5, v4, s24
	s_mov_b64 s[4:5], exec
	v_lshrrev_b32_e32 v4, 20, v4
                                        ; implicit-def: $vgpr5
	s_andn2_saveexec_b64 s[22:23], s[22:23]
	s_cbranch_execnz .LBB34_1057
.LBB34_955:
	s_or_b64 exec, exec, s[22:23]
	v_mov_b32_e32 v6, 0
	s_and_saveexec_b64 s[22:23], s[4:5]
.LBB34_956:
	v_lshrrev_b32_e32 v2, 8, v2
	s_movk_i32 s4, 0x80
	v_and_or_b32 v6, v2, s4, v4
.LBB34_957:
	s_or_b64 exec, exec, s[22:23]
.LBB34_958:
	s_or_b64 exec, exec, s[2:3]
	global_store_byte v[0:1], v6, off
.LBB34_959:
	s_mov_b64 s[4:5], 0
.LBB34_960:
	s_mov_b64 s[2:3], 0
	s_and_b64 vcc, exec, s[4:5]
	s_cbranch_vccz .LBB34_1000
; %bb.961:
	s_cmp_gt_i32 s27, 22
	s_mov_b64 s[4:5], -1
	s_cbranch_scc0 .LBB34_993
; %bb.962:
	s_cmp_lt_i32 s27, 24
	s_cbranch_scc1 .LBB34_982
; %bb.963:
	s_cmp_gt_i32 s27, 24
	s_cbranch_scc0 .LBB34_971
; %bb.964:
	v_lshlrev_b32_e32 v5, 16, v3
	v_and_b32_e32 v4, 0x7fffffff, v5
	s_mov_b32 s4, 0x47800000
	v_cmp_gt_u32_e32 vcc, s4, v4
	v_mov_b32_e32 v6, 0x80
	s_and_saveexec_b64 s[4:5], vcc
	s_cbranch_execz .LBB34_970
; %bb.965:
	s_mov_b32 s22, 0x37ffffff
	v_and_b32_e32 v2, 0xffff, v3
	v_cmp_lt_u32_e32 vcc, s22, v4
	s_mov_b64 s[22:23], 0
                                        ; implicit-def: $vgpr4
	s_and_saveexec_b64 s[24:25], vcc
	s_xor_b64 s[24:25], exec, s[24:25]
	s_cbranch_execz .LBB34_1185
; %bb.966:
	v_bfe_u32 v4, v2, 5, 1
	s_mov_b32 s28, 0x88fffff
	v_add3_u32 v4, v5, v4, s28
	s_mov_b64 s[22:23], exec
	v_lshrrev_b32_e32 v4, 21, v4
                                        ; implicit-def: $vgpr5
	s_andn2_saveexec_b64 s[24:25], s[24:25]
	s_cbranch_execnz .LBB34_1186
.LBB34_967:
	s_or_b64 exec, exec, s[24:25]
	v_mov_b32_e32 v6, 0
	s_and_saveexec_b64 s[24:25], s[22:23]
.LBB34_968:
	v_lshrrev_b32_e32 v2, 8, v2
	s_movk_i32 s22, 0x80
	v_and_or_b32 v6, v2, s22, v4
.LBB34_969:
	s_or_b64 exec, exec, s[24:25]
.LBB34_970:
	s_or_b64 exec, exec, s[4:5]
	s_mov_b64 s[4:5], 0
	global_store_byte v[0:1], v6, off
.LBB34_971:
	s_and_b64 vcc, exec, s[4:5]
	s_cbranch_vccz .LBB34_981
; %bb.972:
	v_lshlrev_b32_e32 v5, 16, v3
	v_and_b32_e32 v6, 0x7fffffff, v5
	s_mov_b32 s4, 0x43f00000
	v_and_b32_e32 v2, 0xffff, v3
	v_cmp_gt_u32_e32 vcc, s4, v6
                                        ; implicit-def: $vgpr4
	s_and_saveexec_b64 s[4:5], vcc
	s_xor_b64 s[4:5], exec, s[4:5]
	s_cbranch_execz .LBB34_978
; %bb.973:
	s_mov_b32 s22, 0x3c7fffff
	v_cmp_lt_u32_e32 vcc, s22, v6
                                        ; implicit-def: $vgpr4
	s_and_saveexec_b64 s[22:23], vcc
	s_xor_b64 s[22:23], exec, s[22:23]
; %bb.974:
	v_bfe_u32 v4, v2, 4, 1
	s_mov_b32 s24, 0x407ffff
	v_add3_u32 v4, v5, v4, s24
	v_lshrrev_b32_e32 v5, 20, v4
	v_and_b32_e32 v4, 0xff00000, v4
	s_mov_b32 s24, 0x7f00000
	v_mov_b32_e32 v6, 0x7e
	v_cmp_ne_u32_e32 vcc, s24, v4
	v_cndmask_b32_e32 v4, v6, v5, vcc
                                        ; implicit-def: $vgpr5
; %bb.975:
	s_andn2_saveexec_b64 s[22:23], s[22:23]
; %bb.976:
	s_mov_b32 s24, 0x46800000
	v_add_f32_e64 v4, |v5|, s24
; %bb.977:
	s_or_b64 exec, exec, s[22:23]
                                        ; implicit-def: $vgpr6
.LBB34_978:
	s_andn2_saveexec_b64 s[4:5], s[4:5]
; %bb.979:
	s_mov_b32 s22, 0x7f800000
	v_mov_b32_e32 v4, 0x7e
	v_mov_b32_e32 v5, 0x7f
	v_cmp_lt_u32_e32 vcc, s22, v6
	v_cndmask_b32_e32 v4, v4, v5, vcc
; %bb.980:
	s_or_b64 exec, exec, s[4:5]
	v_lshrrev_b32_e32 v2, 8, v2
	s_movk_i32 s4, 0x80
	v_and_or_b32 v2, v2, s4, v4
	global_store_byte v[0:1], v2, off
.LBB34_981:
	s_mov_b64 s[4:5], 0
.LBB34_982:
	s_andn2_b64 vcc, exec, s[4:5]
	s_cbranch_vccnz .LBB34_992
; %bb.983:
	v_lshlrev_b32_e32 v5, 16, v3
	v_and_b32_e32 v6, 0x7fffffff, v5
	s_mov_b32 s4, 0x47800000
	v_and_b32_e32 v2, 0xffff, v3
	v_cmp_gt_u32_e32 vcc, s4, v6
                                        ; implicit-def: $vgpr4
	s_and_saveexec_b64 s[4:5], vcc
	s_xor_b64 s[4:5], exec, s[4:5]
	s_cbranch_execz .LBB34_989
; %bb.984:
	s_mov_b32 s22, 0x387fffff
	v_cmp_lt_u32_e32 vcc, s22, v6
                                        ; implicit-def: $vgpr4
	s_and_saveexec_b64 s[22:23], vcc
	s_xor_b64 s[22:23], exec, s[22:23]
; %bb.985:
	v_bfe_u32 v4, v2, 5, 1
	s_mov_b32 s24, 0x80fffff
	v_add3_u32 v4, v5, v4, s24
	v_lshrrev_b32_e32 v4, 21, v4
                                        ; implicit-def: $vgpr5
; %bb.986:
	s_andn2_saveexec_b64 s[22:23], s[22:23]
; %bb.987:
	s_mov_b32 s24, 0x43000000
	v_add_f32_e64 v4, |v5|, s24
; %bb.988:
	s_or_b64 exec, exec, s[22:23]
                                        ; implicit-def: $vgpr6
.LBB34_989:
	s_andn2_saveexec_b64 s[4:5], s[4:5]
; %bb.990:
	s_mov_b32 s22, 0x7f800000
	v_mov_b32_e32 v4, 0x7c
	v_mov_b32_e32 v5, 0x7f
	v_cmp_lt_u32_e32 vcc, s22, v6
	v_cndmask_b32_e32 v4, v4, v5, vcc
; %bb.991:
	s_or_b64 exec, exec, s[4:5]
	v_lshrrev_b32_e32 v2, 8, v2
	s_movk_i32 s4, 0x80
	v_and_or_b32 v2, v2, s4, v4
	global_store_byte v[0:1], v2, off
.LBB34_992:
	s_mov_b64 s[4:5], 0
.LBB34_993:
	s_andn2_b64 vcc, exec, s[4:5]
	s_mov_b64 s[4:5], 0
	s_cbranch_vccnz .LBB34_1001
; %bb.994:
	s_cmp_gt_i32 s27, 14
	s_mov_b64 s[22:23], -1
	s_cbranch_scc0 .LBB34_998
; %bb.995:
	s_cmp_eq_u32 s27, 15
	s_mov_b64 s[0:1], -1
	s_cbranch_scc0 .LBB34_997
; %bb.996:
	global_store_short v[0:1], v3, off
	s_mov_b64 s[0:1], 0
.LBB34_997:
	s_mov_b64 s[22:23], 0
.LBB34_998:
	s_and_b64 vcc, exec, s[22:23]
	s_cbranch_vccz .LBB34_1001
; %bb.999:
	s_cmp_lg_u32 s27, 11
	s_cselect_b64 s[22:23], -1, 0
	s_andn2_b64 s[0:1], s[0:1], exec
	s_and_b64 s[22:23], s[22:23], exec
	s_mov_b64 s[4:5], -1
	s_or_b64 s[0:1], s[0:1], s[22:23]
	s_branch .LBB34_1001
.LBB34_1000:
	s_mov_b64 s[4:5], 0
.LBB34_1001:
	s_andn2_b64 s[16:17], s[16:17], exec
	s_and_b64 s[0:1], s[0:1], exec
	s_and_b64 s[2:3], s[2:3], exec
	;; [unrolled: 1-line block ×3, first 2 shown]
	s_or_b64 s[16:17], s[16:17], s[0:1]
	s_or_b64 exec, exec, s[18:19]
	s_and_saveexec_b64 s[0:1], s[16:17]
	s_cbranch_execz .LBB34_940
.LBB34_1002:
	s_or_b64 s[20:21], s[20:21], exec
	s_andn2_b64 s[4:5], s[4:5], exec
	s_trap 2
	s_or_b64 exec, exec, s[0:1]
	s_and_saveexec_b64 s[0:1], s[4:5]
	s_xor_b64 s[0:1], exec, s[0:1]
	s_cbranch_execnz .LBB34_941
.LBB34_1003:
	s_or_b64 exec, exec, s[0:1]
	s_and_saveexec_b64 s[0:1], s[2:3]
	s_xor_b64 s[0:1], exec, s[0:1]
	s_cbranch_execz .LBB34_1041
.LBB34_1004:
	s_sext_i32_i16 s4, s26
	s_cmp_lt_i32 s4, 5
	s_mov_b64 s[2:3], -1
	s_cbranch_scc1 .LBB34_1025
; %bb.1005:
	s_cmp_lt_i32 s4, 8
	s_cbranch_scc1 .LBB34_1015
; %bb.1006:
	s_cmp_lt_i32 s4, 9
	s_cbranch_scc1 .LBB34_1012
; %bb.1007:
	s_cmp_gt_i32 s4, 9
	s_cbranch_scc0 .LBB34_1009
; %bb.1008:
	s_waitcnt vmcnt(0)
	v_lshlrev_b32_e32 v2, 16, v3
	v_cvt_f64_f32_e32 v[4:5], v2
	v_mov_b32_e32 v6, 0
	v_mov_b32_e32 v7, v6
	s_mov_b64 s[2:3], 0
	global_store_dwordx4 v[0:1], v[4:7], off
.LBB34_1009:
	s_andn2_b64 vcc, exec, s[2:3]
	s_cbranch_vccnz .LBB34_1011
; %bb.1010:
	s_waitcnt vmcnt(0)
	v_lshlrev_b32_e32 v4, 16, v3
	v_mov_b32_e32 v5, 0
	global_store_dwordx2 v[0:1], v[4:5], off
.LBB34_1011:
	s_mov_b64 s[2:3], 0
.LBB34_1012:
	s_andn2_b64 vcc, exec, s[2:3]
	s_cbranch_vccnz .LBB34_1014
; %bb.1013:
	s_waitcnt vmcnt(0)
	v_lshlrev_b32_e32 v2, 16, v3
	v_cvt_f16_f32_e32 v2, v2
	global_store_dword v[0:1], v2, off
.LBB34_1014:
	s_mov_b64 s[2:3], 0
.LBB34_1015:
	s_andn2_b64 vcc, exec, s[2:3]
	s_cbranch_vccnz .LBB34_1024
; %bb.1016:
	s_sext_i32_i16 s4, s26
	s_cmp_lt_i32 s4, 6
	s_mov_b64 s[2:3], -1
	s_cbranch_scc1 .LBB34_1022
; %bb.1017:
	s_cmp_gt_i32 s4, 6
	s_cbranch_scc0 .LBB34_1019
; %bb.1018:
	s_waitcnt vmcnt(0)
	v_lshlrev_b32_e32 v2, 16, v3
	v_cvt_f64_f32_e32 v[4:5], v2
	s_mov_b64 s[2:3], 0
	global_store_dwordx2 v[0:1], v[4:5], off
.LBB34_1019:
	s_andn2_b64 vcc, exec, s[2:3]
	s_cbranch_vccnz .LBB34_1021
; %bb.1020:
	s_waitcnt vmcnt(0)
	v_lshlrev_b32_e32 v2, 16, v3
	global_store_dword v[0:1], v2, off
.LBB34_1021:
	s_mov_b64 s[2:3], 0
.LBB34_1022:
	s_andn2_b64 vcc, exec, s[2:3]
	s_cbranch_vccnz .LBB34_1024
; %bb.1023:
	s_waitcnt vmcnt(0)
	v_lshlrev_b32_e32 v2, 16, v3
	v_cvt_f16_f32_e32 v2, v2
	global_store_short v[0:1], v2, off
.LBB34_1024:
	s_mov_b64 s[2:3], 0
.LBB34_1025:
	s_andn2_b64 vcc, exec, s[2:3]
	s_cbranch_vccnz .LBB34_1041
; %bb.1026:
	s_sext_i32_i16 s4, s26
	s_cmp_lt_i32 s4, 2
	s_mov_b64 s[2:3], -1
	s_cbranch_scc1 .LBB34_1036
; %bb.1027:
	s_cmp_lt_i32 s4, 3
	s_cbranch_scc1 .LBB34_1033
; %bb.1028:
	s_cmp_gt_i32 s4, 3
	s_cbranch_scc0 .LBB34_1030
; %bb.1029:
	s_waitcnt vmcnt(0)
	v_lshlrev_b32_e32 v2, 16, v3
	v_trunc_f32_e32 v2, v2
	s_mov_b32 s2, 0x2f800000
	v_mul_f32_e64 v4, |v2|, s2
	v_floor_f32_e32 v4, v4
	s_mov_b32 s2, 0xcf800000
	v_cvt_u32_f32_e32 v5, v4
	v_fma_f32 v4, v4, s2, |v2|
	v_cvt_u32_f32_e32 v4, v4
	v_ashrrev_i32_e32 v2, 31, v2
	v_xor_b32_e32 v5, v5, v2
	s_mov_b64 s[2:3], 0
	v_xor_b32_e32 v4, v4, v2
	v_sub_co_u32_e32 v4, vcc, v4, v2
	v_subb_co_u32_e32 v5, vcc, v5, v2, vcc
	global_store_dwordx2 v[0:1], v[4:5], off
.LBB34_1030:
	s_andn2_b64 vcc, exec, s[2:3]
	s_cbranch_vccnz .LBB34_1032
; %bb.1031:
	s_waitcnt vmcnt(0)
	v_lshlrev_b32_e32 v2, 16, v3
	v_cvt_i32_f32_e32 v2, v2
	global_store_dword v[0:1], v2, off
.LBB34_1032:
	s_mov_b64 s[2:3], 0
.LBB34_1033:
	s_andn2_b64 vcc, exec, s[2:3]
	s_cbranch_vccnz .LBB34_1035
; %bb.1034:
	s_waitcnt vmcnt(0)
	v_lshlrev_b32_e32 v2, 16, v3
	v_cvt_i32_f32_e32 v2, v2
	global_store_short v[0:1], v2, off
.LBB34_1035:
	s_mov_b64 s[2:3], 0
.LBB34_1036:
	s_andn2_b64 vcc, exec, s[2:3]
	s_cbranch_vccnz .LBB34_1041
; %bb.1037:
	s_sext_i32_i16 s4, s26
	s_mov_b64 s[2:3], -1
	s_cmp_gt_i32 s4, 0
	s_waitcnt vmcnt(0)
	v_lshlrev_b32_e32 v2, 16, v3
	s_cbranch_scc0 .LBB34_1039
; %bb.1038:
	v_cvt_i32_f32_e32 v3, v2
	s_mov_b64 s[2:3], 0
	global_store_byte v[0:1], v3, off
.LBB34_1039:
	s_andn2_b64 vcc, exec, s[2:3]
	s_cbranch_vccnz .LBB34_1041
; %bb.1040:
	v_trunc_f32_e32 v2, v2
	s_mov_b32 s2, 0x2f800000
	v_mul_f32_e64 v3, |v2|, s2
	v_floor_f32_e32 v3, v3
	s_mov_b32 s2, 0xcf800000
	v_fma_f32 v3, v3, s2, |v2|
	v_cvt_u32_f32_e32 v3, v3
	v_ashrrev_i32_e32 v2, 31, v2
	v_xor_b32_e32 v3, v3, v2
	v_sub_u32_e32 v2, v3, v2
	global_store_byte v[0:1], v2, off
.LBB34_1041:
	s_or_b64 exec, exec, s[0:1]
	s_and_b64 s[16:17], s[20:21], exec
                                        ; implicit-def: $vgpr2
.LBB34_1042:
	s_or_saveexec_b64 s[6:7], s[6:7]
	s_mov_b64 s[0:1], 0
                                        ; implicit-def: $sgpr20
                                        ; implicit-def: $vgpr0_vgpr1
                                        ; implicit-def: $vgpr3
	s_xor_b64 exec, exec, s[6:7]
	s_cbranch_execz .LBB34_2006
; %bb.1043:
	v_mul_lo_u32 v7, s13, v2
	v_mov_b32_e32 v1, s11
	s_and_b32 s22, 0xffff, s42
	s_cmp_lt_i32 s22, 11
	s_waitcnt vmcnt(0)
	v_ashrrev_i32_e32 v3, 31, v7
	v_add_co_u32_e32 v0, vcc, s10, v7
	v_addc_co_u32_e32 v1, vcc, v1, v3, vcc
	s_cbranch_scc1 .LBB34_1050
; %bb.1044:
	s_cmp_gt_i32 s22, 25
	s_mov_b64 s[2:3], 0
	s_cbranch_scc0 .LBB34_1052
; %bb.1045:
	s_cmp_gt_i32 s22, 28
	s_cbranch_scc0 .LBB34_1053
; %bb.1046:
	s_cmp_gt_i32 s22, 43
	;; [unrolled: 3-line block ×3, first 2 shown]
	s_cbranch_scc0 .LBB34_1055
; %bb.1048:
	s_cmp_eq_u32 s22, 46
	s_cbranch_scc0 .LBB34_1058
; %bb.1049:
	global_load_dword v3, v[0:1], off
	s_mov_b64 s[4:5], -1
	s_branch .LBB34_1059
.LBB34_1050:
	s_mov_b64 s[4:5], 0
                                        ; implicit-def: $vgpr3
	s_mov_b64 s[18:19], s[16:17]
	s_cbranch_execnz .LBB34_1122
.LBB34_1051:
	s_andn2_b64 vcc, exec, s[4:5]
	s_cbranch_vccz .LBB34_1167
	s_branch .LBB34_2004
.LBB34_1052:
	s_mov_b64 s[4:5], 0
                                        ; implicit-def: $vgpr3
	s_cbranch_execnz .LBB34_1087
	s_branch .LBB34_1118
.LBB34_1053:
	s_mov_b64 s[14:15], -1
	s_mov_b64 s[4:5], 0
                                        ; implicit-def: $vgpr3
	s_branch .LBB34_1068
.LBB34_1054:
	s_mov_b64 s[4:5], 0
                                        ; implicit-def: $vgpr3
	s_cbranch_execnz .LBB34_1064
	s_branch .LBB34_1067
.LBB34_1055:
	s_mov_b64 s[14:15], -1
	s_mov_b64 s[4:5], 0
                                        ; implicit-def: $vgpr3
	s_branch .LBB34_1059
.LBB34_1056:
	s_andn2_saveexec_b64 s[22:23], s[22:23]
	s_cbranch_execz .LBB34_955
.LBB34_1057:
	s_mov_b32 s24, 0x46000000
	v_add_f32_e64 v4, |v5|, s24
	v_and_b32_e32 v4, 0xff, v4
	v_cmp_ne_u32_e32 vcc, 0, v4
	s_andn2_b64 s[4:5], s[4:5], exec
	s_and_b64 s[24:25], vcc, exec
	s_or_b64 s[4:5], s[4:5], s[24:25]
	s_or_b64 exec, exec, s[22:23]
	v_mov_b32_e32 v6, 0
	s_and_saveexec_b64 s[22:23], s[4:5]
	s_cbranch_execnz .LBB34_956
	s_branch .LBB34_957
.LBB34_1058:
	s_mov_b64 s[0:1], -1
                                        ; implicit-def: $vgpr3
	s_mov_b64 s[4:5], 0
.LBB34_1059:
	s_and_b64 vcc, exec, s[14:15]
	s_cbranch_vccz .LBB34_1062
; %bb.1060:
	s_cmp_eq_u32 s22, 44
	s_cbranch_scc0 .LBB34_1063
; %bb.1061:
	global_load_ubyte v3, v[0:1], off
	s_movk_i32 s4, 0xff
	v_mov_b32_e32 v4, 0x7f800001
	v_mov_b32_e32 v5, 0x400000
	;; [unrolled: 1-line block ×3, first 2 shown]
	s_mov_b64 s[0:1], 0
	s_waitcnt vmcnt(0)
	v_lshlrev_b32_e32 v8, 23, v3
	v_cmp_ne_u32_e32 vcc, s4, v3
	v_cndmask_b32_e32 v4, v4, v8, vcc
	v_cmp_ne_u32_e32 vcc, 0, v3
	v_cndmask_b32_e32 v3, v5, v4, vcc
	v_add_u32_e32 v4, 0x7fff, v3
	v_cmp_o_f32_e32 vcc, v3, v3
	v_cndmask_b32_sdwa v3, v6, v4, vcc dst_sel:DWORD dst_unused:UNUSED_PAD src0_sel:DWORD src1_sel:WORD_1
	s_mov_b64 s[4:5], -1
.LBB34_1062:
	s_branch .LBB34_1067
.LBB34_1063:
	s_mov_b64 s[0:1], -1
                                        ; implicit-def: $vgpr3
	s_branch .LBB34_1067
.LBB34_1064:
	s_cmp_eq_u32 s22, 29
	s_cbranch_scc0 .LBB34_1066
; %bb.1065:
	global_load_dwordx2 v[3:4], v[0:1], off
	s_movk_i32 s4, 0x7fff
	s_mov_b64 s[0:1], 0
	s_mov_b64 s[14:15], 0
	s_waitcnt vmcnt(0)
	v_ffbh_u32_e32 v5, v4
	v_min_u32_e32 v5, 32, v5
	v_lshlrev_b64 v[3:4], v5, v[3:4]
	v_min_u32_e32 v3, 1, v3
	v_or_b32_e32 v3, v4, v3
	v_cvt_f32_u32_e32 v3, v3
	v_sub_u32_e32 v4, 32, v5
	v_ldexp_f32 v3, v3, v4
	v_bfe_u32 v4, v3, 16, 1
	v_add3_u32 v3, v3, v4, s4
	v_lshrrev_b32_e32 v3, 16, v3
	s_mov_b64 s[4:5], -1
	s_branch .LBB34_1068
.LBB34_1066:
	s_mov_b64 s[0:1], -1
                                        ; implicit-def: $vgpr3
.LBB34_1067:
	s_mov_b64 s[14:15], 0
.LBB34_1068:
	s_and_b64 vcc, exec, s[14:15]
	s_cbranch_vccz .LBB34_1086
; %bb.1069:
	s_cmp_lt_i32 s22, 27
	s_cbranch_scc1 .LBB34_1072
; %bb.1070:
	s_cmp_gt_i32 s22, 27
	s_cbranch_scc0 .LBB34_1073
; %bb.1071:
	global_load_dword v3, v[0:1], off
	s_movk_i32 s4, 0x7fff
	s_waitcnt vmcnt(0)
	v_cvt_f32_u32_e32 v3, v3
	v_bfe_u32 v4, v3, 16, 1
	v_add3_u32 v3, v3, v4, s4
	v_lshrrev_b32_e32 v3, 16, v3
	s_mov_b64 s[4:5], 0
	s_branch .LBB34_1074
.LBB34_1072:
	s_mov_b64 s[4:5], -1
                                        ; implicit-def: $vgpr3
	s_branch .LBB34_1077
.LBB34_1073:
	s_mov_b64 s[4:5], -1
                                        ; implicit-def: $vgpr3
.LBB34_1074:
	s_andn2_b64 vcc, exec, s[4:5]
	s_cbranch_vccnz .LBB34_1076
; %bb.1075:
	global_load_ushort v3, v[0:1], off
	s_movk_i32 s4, 0x7fff
	s_waitcnt vmcnt(0)
	v_cvt_f32_u32_e32 v3, v3
	v_bfe_u32 v4, v3, 16, 1
	v_add3_u32 v3, v3, v4, s4
	v_lshrrev_b32_e32 v3, 16, v3
.LBB34_1076:
	s_mov_b64 s[4:5], 0
.LBB34_1077:
	s_andn2_b64 vcc, exec, s[4:5]
	s_cbranch_vccnz .LBB34_1085
; %bb.1078:
	global_load_ubyte v3, v[0:1], off
	s_movk_i32 s4, 0x7f
	s_waitcnt vmcnt(0)
	v_cmp_lt_i16_e32 vcc, s4, v3
	s_mov_b64 s[4:5], 0
	s_and_saveexec_b64 s[14:15], vcc
	s_xor_b64 s[14:15], exec, s[14:15]
	s_cbranch_execz .LBB34_1098
; %bb.1079:
	s_movk_i32 s4, 0x80
	v_cmp_eq_u16_e32 vcc, s4, v3
	s_mov_b64 s[4:5], -1
	s_and_saveexec_b64 s[18:19], vcc
; %bb.1080:
	s_xor_b64 s[4:5], exec, -1
; %bb.1081:
	s_or_b64 exec, exec, s[18:19]
	s_and_b64 s[4:5], s[4:5], exec
	s_or_saveexec_b64 s[14:15], s[14:15]
	v_mov_b32_e32 v4, 0x7f800001
	s_xor_b64 exec, exec, s[14:15]
	s_cbranch_execnz .LBB34_1099
.LBB34_1082:
	s_or_b64 exec, exec, s[14:15]
	s_and_saveexec_b64 s[14:15], s[4:5]
	s_cbranch_execz .LBB34_1084
.LBB34_1083:
	v_lshlrev_b32_e32 v4, 24, v3
	v_and_b32_e32 v3, 0xffff, v3
	v_and_b32_e32 v5, 7, v3
	v_ffbh_u32_e32 v8, v5
	v_min_u32_e32 v8, 32, v8
	v_subrev_u32_e32 v9, 28, v8
	v_bfe_u32 v6, v3, 3, 4
	v_lshlrev_b32_e32 v3, v9, v3
	v_sub_u32_e32 v8, 29, v8
	v_and_b32_e32 v3, 7, v3
	v_cmp_eq_u32_e32 vcc, 0, v6
	v_cndmask_b32_e32 v6, v6, v8, vcc
	v_cndmask_b32_e32 v3, v5, v3, vcc
	v_mov_b32_e32 v5, 0x3b800000
	v_lshlrev_b32_e32 v3, 20, v3
	v_and_b32_e32 v4, 0x80000000, v4
	v_lshl_add_u32 v5, v6, 23, v5
	v_or3_b32 v4, v4, v5, v3
.LBB34_1084:
	s_or_b64 exec, exec, s[14:15]
	v_bfe_u32 v3, v4, 16, 1
	s_movk_i32 s4, 0x7fff
	v_add3_u32 v3, v4, v3, s4
	v_cmp_o_f32_e32 vcc, v4, v4
	v_mov_b32_e32 v4, 0x7fc0
	v_cndmask_b32_sdwa v3, v4, v3, vcc dst_sel:DWORD dst_unused:UNUSED_PAD src0_sel:DWORD src1_sel:WORD_1
.LBB34_1085:
	s_mov_b64 s[4:5], -1
.LBB34_1086:
	s_branch .LBB34_1118
.LBB34_1087:
	s_cmp_gt_i32 s22, 22
	s_cbranch_scc0 .LBB34_1097
; %bb.1088:
	s_cmp_lt_i32 s22, 24
	s_cbranch_scc1 .LBB34_1100
; %bb.1089:
	s_cmp_gt_i32 s22, 24
	s_cbranch_scc0 .LBB34_1101
; %bb.1090:
	global_load_ubyte v3, v[0:1], off
	s_movk_i32 s2, 0x7f
	s_waitcnt vmcnt(0)
	v_cmp_lt_i16_e32 vcc, s2, v3
	s_mov_b64 s[2:3], 0
	s_and_saveexec_b64 s[4:5], vcc
	s_xor_b64 s[4:5], exec, s[4:5]
	s_cbranch_execz .LBB34_1112
; %bb.1091:
	s_movk_i32 s2, 0x80
	v_cmp_eq_u16_e32 vcc, s2, v3
	s_mov_b64 s[2:3], -1
	s_and_saveexec_b64 s[14:15], vcc
; %bb.1092:
	s_xor_b64 s[2:3], exec, -1
; %bb.1093:
	s_or_b64 exec, exec, s[14:15]
	s_and_b64 s[2:3], s[2:3], exec
	s_or_saveexec_b64 s[4:5], s[4:5]
	v_mov_b32_e32 v4, 0x7f800001
	s_xor_b64 exec, exec, s[4:5]
	s_cbranch_execnz .LBB34_1113
.LBB34_1094:
	s_or_b64 exec, exec, s[4:5]
	s_and_saveexec_b64 s[4:5], s[2:3]
	s_cbranch_execz .LBB34_1096
.LBB34_1095:
	v_lshlrev_b32_e32 v4, 24, v3
	v_and_b32_e32 v3, 0xffff, v3
	v_and_b32_e32 v5, 3, v3
	v_ffbh_u32_e32 v8, v5
	v_min_u32_e32 v8, 32, v8
	v_subrev_u32_e32 v9, 29, v8
	v_bfe_u32 v6, v3, 2, 5
	v_lshlrev_b32_e32 v3, v9, v3
	v_sub_u32_e32 v8, 30, v8
	v_and_b32_e32 v3, 3, v3
	v_cmp_eq_u32_e32 vcc, 0, v6
	v_cndmask_b32_e32 v6, v6, v8, vcc
	v_cndmask_b32_e32 v3, v5, v3, vcc
	v_mov_b32_e32 v5, 0x37800000
	v_lshlrev_b32_e32 v3, 21, v3
	v_and_b32_e32 v4, 0x80000000, v4
	v_lshl_add_u32 v5, v6, 23, v5
	v_or3_b32 v4, v4, v5, v3
.LBB34_1096:
	s_or_b64 exec, exec, s[4:5]
	v_bfe_u32 v3, v4, 16, 1
	s_movk_i32 s2, 0x7fff
	v_add3_u32 v3, v4, v3, s2
	v_cmp_o_f32_e32 vcc, v4, v4
	v_mov_b32_e32 v4, 0x7fc0
	v_cndmask_b32_sdwa v3, v4, v3, vcc dst_sel:DWORD dst_unused:UNUSED_PAD src0_sel:DWORD src1_sel:WORD_1
	s_mov_b64 s[2:3], 0
	s_branch .LBB34_1102
.LBB34_1097:
                                        ; implicit-def: $vgpr3
	s_mov_b64 s[2:3], 0
	s_branch .LBB34_1108
.LBB34_1098:
	s_or_saveexec_b64 s[14:15], s[14:15]
	v_mov_b32_e32 v4, 0x7f800001
	s_xor_b64 exec, exec, s[14:15]
	s_cbranch_execz .LBB34_1082
.LBB34_1099:
	v_cmp_ne_u16_e32 vcc, 0, v3
	s_andn2_b64 s[4:5], s[4:5], exec
	s_and_b64 s[18:19], vcc, exec
	v_mov_b32_e32 v4, 0
	s_or_b64 s[4:5], s[4:5], s[18:19]
	s_or_b64 exec, exec, s[14:15]
	s_and_saveexec_b64 s[14:15], s[4:5]
	s_cbranch_execnz .LBB34_1083
	s_branch .LBB34_1084
.LBB34_1100:
	s_mov_b64 s[2:3], -1
                                        ; implicit-def: $vgpr3
	s_branch .LBB34_1105
.LBB34_1101:
	s_mov_b64 s[2:3], -1
                                        ; implicit-def: $vgpr3
.LBB34_1102:
	s_and_b64 vcc, exec, s[2:3]
	s_cbranch_vccz .LBB34_1104
; %bb.1103:
	global_load_ubyte v3, v[0:1], off
	s_mov_b32 s2, 0x7f800000
	s_brev_b32 s3, 1
	s_movk_i32 s4, 0x7fff
	s_waitcnt vmcnt(0)
	v_lshlrev_b32_e32 v3, 24, v3
	v_and_b32_e32 v4, 0x7f000000, v3
	v_ffbh_u32_e32 v5, v4
	v_min_u32_e32 v5, 32, v5
	v_sub_u32_e64 v5, v5, 4 clamp
	v_lshlrev_b32_e32 v8, v5, v4
	v_lshlrev_b32_e32 v5, 23, v5
	v_lshrrev_b32_e32 v8, 4, v8
	v_add_u32_e32 v6, 0x1000000, v4
	v_sub_u32_e32 v5, v8, v5
	v_ashrrev_i32_e32 v6, 8, v6
	v_add_u32_e32 v5, 0x3c000000, v5
	v_and_or_b32 v5, v6, s2, v5
	v_cmp_ne_u32_e32 vcc, 0, v4
	v_cndmask_b32_e32 v4, 0, v5, vcc
	v_and_or_b32 v3, v3, s3, v4
	v_bfe_u32 v4, v4, 16, 1
	v_add3_u32 v4, v3, v4, s4
	v_cmp_o_f32_e32 vcc, v3, v3
	v_mov_b32_e32 v3, 0x7fc0
	v_cndmask_b32_sdwa v3, v3, v4, vcc dst_sel:DWORD dst_unused:UNUSED_PAD src0_sel:DWORD src1_sel:WORD_1
.LBB34_1104:
	s_mov_b64 s[2:3], 0
.LBB34_1105:
	s_andn2_b64 vcc, exec, s[2:3]
	s_cbranch_vccnz .LBB34_1107
; %bb.1106:
	global_load_ubyte v3, v[0:1], off
	s_movk_i32 s2, 0x7f00
	s_brev_b32 s3, 16
	s_brev_b32 s4, 1
	s_movk_i32 s5, 0x7fff
	s_waitcnt vmcnt(0)
	v_lshlrev_b16_e32 v4, 8, v3
	v_lshlrev_b32_e32 v3, 25, v3
	v_lshrrev_b32_e32 v5, 4, v3
	v_and_or_b32 v6, v4, s2, 0.5
	v_or_b32_e32 v5, 0x70000000, v5
	v_add_f32_e32 v6, -0.5, v6
	v_mul_f32_e32 v5, 0x7800000, v5
	v_cmp_gt_u32_e32 vcc, s3, v3
	v_bfe_i32 v4, v4, 0, 16
	v_cndmask_b32_e32 v3, v5, v6, vcc
	v_and_or_b32 v4, v4, s4, v3
	v_bfe_u32 v3, v3, 16, 1
	v_add3_u32 v3, v4, v3, s5
	v_cmp_o_f32_e32 vcc, v4, v4
	v_mov_b32_e32 v4, 0x7fc0
	v_cndmask_b32_sdwa v3, v4, v3, vcc dst_sel:DWORD dst_unused:UNUSED_PAD src0_sel:DWORD src1_sel:WORD_1
.LBB34_1107:
	s_mov_b64 s[4:5], -1
	s_mov_b64 s[2:3], 0
	s_cbranch_execnz .LBB34_1118
.LBB34_1108:
	s_cmp_gt_i32 s22, 14
	s_cbranch_scc0 .LBB34_1111
; %bb.1109:
	s_cmp_eq_u32 s22, 15
	s_cbranch_scc0 .LBB34_1114
; %bb.1110:
	global_load_ushort v3, v[0:1], off
	s_mov_b64 s[0:1], 0
	s_mov_b64 s[4:5], -1
	s_branch .LBB34_1115
.LBB34_1111:
	s_mov_b64 s[14:15], -1
                                        ; implicit-def: $vgpr3
	s_branch .LBB34_1116
.LBB34_1112:
	s_or_saveexec_b64 s[4:5], s[4:5]
	v_mov_b32_e32 v4, 0x7f800001
	s_xor_b64 exec, exec, s[4:5]
	s_cbranch_execz .LBB34_1094
.LBB34_1113:
	v_cmp_ne_u16_e32 vcc, 0, v3
	s_andn2_b64 s[2:3], s[2:3], exec
	s_and_b64 s[14:15], vcc, exec
	v_mov_b32_e32 v4, 0
	s_or_b64 s[2:3], s[2:3], s[14:15]
	s_or_b64 exec, exec, s[4:5]
	s_and_saveexec_b64 s[4:5], s[2:3]
	s_cbranch_execnz .LBB34_1095
	s_branch .LBB34_1096
.LBB34_1114:
	s_mov_b64 s[0:1], -1
                                        ; implicit-def: $vgpr3
.LBB34_1115:
	s_mov_b64 s[14:15], 0
.LBB34_1116:
	s_and_b64 vcc, exec, s[14:15]
	s_cbranch_vccz .LBB34_1118
; %bb.1117:
	s_cmp_lg_u32 s22, 11
	s_mov_b64 s[2:3], -1
	s_cselect_b64 s[0:1], -1, 0
.LBB34_1118:
	s_and_b64 vcc, exec, s[0:1]
	s_mov_b64 s[18:19], s[16:17]
	s_cbranch_vccnz .LBB34_1183
; %bb.1119:
	s_andn2_b64 vcc, exec, s[2:3]
	s_cbranch_vccnz .LBB34_1121
.LBB34_1120:
	global_load_ubyte v3, v[0:1], off
	s_mov_b64 s[4:5], -1
	s_waitcnt vmcnt(0)
	v_cmp_ne_u16_e32 vcc, 0, v3
	v_cndmask_b32_e64 v3, 0, 1.0, vcc
	v_lshrrev_b32_e32 v3, 16, v3
.LBB34_1121:
	s_branch .LBB34_1051
.LBB34_1122:
	s_cmp_lt_i32 s22, 5
	s_cbranch_scc1 .LBB34_1127
; %bb.1123:
	s_cmp_lt_i32 s22, 8
	s_cbranch_scc1 .LBB34_1128
; %bb.1124:
	;; [unrolled: 3-line block ×3, first 2 shown]
	s_cmp_gt_i32 s22, 9
	s_cbranch_scc0 .LBB34_1130
; %bb.1126:
	global_load_dwordx2 v[3:4], v[0:1], off
	s_movk_i32 s0, 0x7fff
	s_waitcnt vmcnt(0)
	v_cvt_f32_f64_e32 v3, v[3:4]
	v_mov_b32_e32 v4, 0x7fc0
	v_bfe_u32 v5, v3, 16, 1
	v_cmp_o_f32_e32 vcc, v3, v3
	v_add3_u32 v3, v3, v5, s0
	v_cndmask_b32_sdwa v3, v4, v3, vcc dst_sel:DWORD dst_unused:UNUSED_PAD src0_sel:DWORD src1_sel:WORD_1
	s_mov_b64 s[0:1], 0
	s_branch .LBB34_1131
.LBB34_1127:
                                        ; implicit-def: $vgpr3
	s_branch .LBB34_1148
.LBB34_1128:
                                        ; implicit-def: $vgpr3
	s_branch .LBB34_1137
.LBB34_1129:
	s_mov_b64 s[0:1], -1
                                        ; implicit-def: $vgpr3
	s_branch .LBB34_1134
.LBB34_1130:
	s_mov_b64 s[0:1], -1
                                        ; implicit-def: $vgpr3
.LBB34_1131:
	s_andn2_b64 vcc, exec, s[0:1]
	s_cbranch_vccnz .LBB34_1133
; %bb.1132:
	global_load_dword v3, v[0:1], off
	s_movk_i32 s0, 0x7fff
	v_mov_b32_e32 v4, 0x7fc0
	s_waitcnt vmcnt(0)
	v_bfe_u32 v5, v3, 16, 1
	v_cmp_o_f32_e32 vcc, v3, v3
	v_add3_u32 v3, v3, v5, s0
	v_cndmask_b32_sdwa v3, v4, v3, vcc dst_sel:DWORD dst_unused:UNUSED_PAD src0_sel:DWORD src1_sel:WORD_1
.LBB34_1133:
	s_mov_b64 s[0:1], 0
.LBB34_1134:
	s_andn2_b64 vcc, exec, s[0:1]
	s_cbranch_vccnz .LBB34_1136
; %bb.1135:
	global_load_dword v3, v[0:1], off
	s_movk_i32 s0, 0x7fff
	v_mov_b32_e32 v5, 0x7fc0
	s_waitcnt vmcnt(0)
	v_cvt_f32_f16_e32 v4, v3
	v_cmp_o_f16_e32 vcc, v3, v3
	v_bfe_u32 v3, v4, 16, 1
	v_add3_u32 v3, v4, v3, s0
	v_cndmask_b32_sdwa v3, v5, v3, vcc dst_sel:DWORD dst_unused:UNUSED_PAD src0_sel:DWORD src1_sel:WORD_1
.LBB34_1136:
	s_cbranch_execnz .LBB34_1147
.LBB34_1137:
	s_cmp_lt_i32 s22, 6
	s_cbranch_scc1 .LBB34_1140
; %bb.1138:
	s_cmp_gt_i32 s22, 6
	s_cbranch_scc0 .LBB34_1141
; %bb.1139:
	global_load_dwordx2 v[3:4], v[0:1], off
	s_movk_i32 s0, 0x7fff
	s_waitcnt vmcnt(0)
	v_cvt_f32_f64_e32 v3, v[3:4]
	v_mov_b32_e32 v4, 0x7fc0
	v_bfe_u32 v5, v3, 16, 1
	v_cmp_o_f32_e32 vcc, v3, v3
	v_add3_u32 v3, v3, v5, s0
	v_cndmask_b32_sdwa v3, v4, v3, vcc dst_sel:DWORD dst_unused:UNUSED_PAD src0_sel:DWORD src1_sel:WORD_1
	s_mov_b64 s[0:1], 0
	s_branch .LBB34_1142
.LBB34_1140:
	s_mov_b64 s[0:1], -1
                                        ; implicit-def: $vgpr3
	s_branch .LBB34_1145
.LBB34_1141:
	s_mov_b64 s[0:1], -1
                                        ; implicit-def: $vgpr3
.LBB34_1142:
	s_andn2_b64 vcc, exec, s[0:1]
	s_cbranch_vccnz .LBB34_1144
; %bb.1143:
	global_load_dword v3, v[0:1], off
	s_movk_i32 s0, 0x7fff
	v_mov_b32_e32 v4, 0x7fc0
	s_waitcnt vmcnt(0)
	v_bfe_u32 v5, v3, 16, 1
	v_cmp_o_f32_e32 vcc, v3, v3
	v_add3_u32 v3, v3, v5, s0
	v_cndmask_b32_sdwa v3, v4, v3, vcc dst_sel:DWORD dst_unused:UNUSED_PAD src0_sel:DWORD src1_sel:WORD_1
.LBB34_1144:
	s_mov_b64 s[0:1], 0
.LBB34_1145:
	s_andn2_b64 vcc, exec, s[0:1]
	s_cbranch_vccnz .LBB34_1147
; %bb.1146:
	global_load_ushort v3, v[0:1], off
	s_movk_i32 s0, 0x7fff
	v_mov_b32_e32 v5, 0x7fc0
	s_waitcnt vmcnt(0)
	v_cvt_f32_f16_e32 v4, v3
	v_cmp_o_f16_e32 vcc, v3, v3
	v_bfe_u32 v3, v4, 16, 1
	v_add3_u32 v3, v4, v3, s0
	v_cndmask_b32_sdwa v3, v5, v3, vcc dst_sel:DWORD dst_unused:UNUSED_PAD src0_sel:DWORD src1_sel:WORD_1
.LBB34_1147:
	s_cbranch_execnz .LBB34_1166
.LBB34_1148:
	s_cmp_lt_i32 s22, 2
	s_cbranch_scc1 .LBB34_1152
; %bb.1149:
	s_cmp_lt_i32 s22, 3
	s_cbranch_scc1 .LBB34_1153
; %bb.1150:
	s_cmp_gt_i32 s22, 3
	s_cbranch_scc0 .LBB34_1154
; %bb.1151:
	global_load_dwordx2 v[3:4], v[0:1], off
	s_movk_i32 s0, 0x7fff
	s_waitcnt vmcnt(0)
	v_xor_b32_e32 v6, v3, v4
	v_ffbh_i32_e32 v5, v4
	v_ashrrev_i32_e32 v6, 31, v6
	v_add_u32_e32 v5, -1, v5
	v_add_u32_e32 v6, 32, v6
	v_min_u32_e32 v5, v5, v6
	v_lshlrev_b64 v[3:4], v5, v[3:4]
	v_min_u32_e32 v3, 1, v3
	v_or_b32_e32 v3, v4, v3
	v_cvt_f32_i32_e32 v3, v3
	v_sub_u32_e32 v4, 32, v5
	v_ldexp_f32 v3, v3, v4
	v_bfe_u32 v4, v3, 16, 1
	v_add3_u32 v3, v3, v4, s0
	v_lshrrev_b32_e32 v3, 16, v3
	s_mov_b64 s[0:1], 0
	s_branch .LBB34_1155
.LBB34_1152:
                                        ; implicit-def: $vgpr3
	s_branch .LBB34_1161
.LBB34_1153:
	s_mov_b64 s[0:1], -1
                                        ; implicit-def: $vgpr3
	s_branch .LBB34_1158
.LBB34_1154:
	s_mov_b64 s[0:1], -1
                                        ; implicit-def: $vgpr3
.LBB34_1155:
	s_andn2_b64 vcc, exec, s[0:1]
	s_cbranch_vccnz .LBB34_1157
; %bb.1156:
	global_load_dword v3, v[0:1], off
	s_movk_i32 s0, 0x7fff
	s_waitcnt vmcnt(0)
	v_cvt_f32_i32_e32 v3, v3
	v_bfe_u32 v4, v3, 16, 1
	v_add3_u32 v3, v3, v4, s0
	v_lshrrev_b32_e32 v3, 16, v3
.LBB34_1157:
	s_mov_b64 s[0:1], 0
.LBB34_1158:
	s_andn2_b64 vcc, exec, s[0:1]
	s_cbranch_vccnz .LBB34_1160
; %bb.1159:
	global_load_sshort v3, v[0:1], off
	s_movk_i32 s0, 0x7fff
	s_waitcnt vmcnt(0)
	v_cvt_f32_i32_e32 v3, v3
	v_bfe_u32 v4, v3, 16, 1
	v_add3_u32 v3, v3, v4, s0
	v_lshrrev_b32_e32 v3, 16, v3
.LBB34_1160:
	s_cbranch_execnz .LBB34_1166
.LBB34_1161:
	s_cmp_gt_i32 s22, 0
	s_cbranch_scc0 .LBB34_1163
; %bb.1162:
	global_load_sbyte v3, v[0:1], off
	s_movk_i32 s0, 0x7fff
	s_waitcnt vmcnt(0)
	v_cvt_f32_i32_e32 v3, v3
	v_bfe_u32 v4, v3, 16, 1
	v_add3_u32 v3, v3, v4, s0
	v_lshrrev_b32_e32 v3, 16, v3
	s_mov_b64 s[0:1], 0
	s_branch .LBB34_1164
.LBB34_1163:
	s_mov_b64 s[0:1], -1
                                        ; implicit-def: $vgpr3
.LBB34_1164:
	s_andn2_b64 vcc, exec, s[0:1]
	s_cbranch_vccnz .LBB34_1166
; %bb.1165:
	global_load_ubyte v0, v[0:1], off
	s_movk_i32 s0, 0x7fff
	s_waitcnt vmcnt(0)
	v_cvt_f32_ubyte0_e32 v0, v0
	v_bfe_u32 v1, v0, 16, 1
	v_add3_u32 v0, v0, v1, s0
	v_lshrrev_b32_e32 v3, 16, v0
.LBB34_1166:
.LBB34_1167:
	s_waitcnt vmcnt(0)
	v_lshlrev_b32_e32 v3, 16, v3
	s_brev_b32 s0, 18
	v_and_b32_e32 v4, 0x7fffffff, v3
	v_cmp_nlt_f32_e64 s[0:1], |v3|, s0
                                        ; implicit-def: $vgpr5
                                        ; implicit-def: $vgpr6
	s_and_saveexec_b64 s[2:3], s[0:1]
	s_xor_b64 s[14:15], exec, s[2:3]
	s_cbranch_execz .LBB34_1169
; %bb.1168:
	v_and_b32_e32 v0, 0x7fffff, v4
	v_or_b32_e32 v14, 0x800000, v0
	s_mov_b32 s0, 0xfe5163ab
	v_mad_u64_u32 v[0:1], s[0:1], v14, s0, 0
	v_mov_b32_e32 v6, 0
	s_mov_b32 s0, 0x3c439041
	v_mov_b32_e32 v5, v1
	v_mad_u64_u32 v[8:9], s[0:1], v14, s0, v[5:6]
	s_mov_b32 s0, 0xdb629599
	v_lshrrev_b32_e32 v1, 23, v4
	v_mov_b32_e32 v5, v9
	v_mad_u64_u32 v[9:10], s[0:1], v14, s0, v[5:6]
	s_mov_b32 s0, 0xf534ddc0
	v_add_u32_e32 v1, 0xffffff88, v1
	v_mov_b32_e32 v5, v10
	v_mad_u64_u32 v[10:11], s[0:1], v14, s0, v[5:6]
	s_mov_b32 s0, 0xfc2757d1
	v_not_b32_e32 v13, 63
	v_mov_b32_e32 v5, v11
	v_mad_u64_u32 v[11:12], s[0:1], v14, s0, v[5:6]
	v_cmp_lt_u32_e32 vcc, 63, v1
	v_cndmask_b32_e32 v5, 0, v13, vcc
	v_add_u32_e32 v1, v5, v1
	v_mov_b32_e32 v5, v12
	s_mov_b32 s0, 0x4e441529
	v_mad_u64_u32 v[12:13], s[0:1], v14, s0, v[5:6]
	v_not_b32_e32 v15, 31
	v_cmp_lt_u32_e64 s[0:1], 31, v1
	v_cndmask_b32_e64 v5, 0, v15, s[0:1]
	v_add_u32_e32 v1, v5, v1
	v_mov_b32_e32 v5, v13
	s_mov_b32 s2, 0xa2f9836e
	v_mad_u64_u32 v[5:6], s[2:3], v14, s2, v[5:6]
	v_cmp_lt_u32_e64 s[2:3], 31, v1
	v_cndmask_b32_e64 v13, 0, v15, s[2:3]
	v_add_u32_e32 v1, v13, v1
	v_cndmask_b32_e32 v13, v12, v10, vcc
	v_cndmask_b32_e32 v5, v5, v11, vcc
	;; [unrolled: 1-line block ×3, first 2 shown]
	v_cndmask_b32_e64 v14, v5, v13, s[0:1]
	v_cndmask_b32_e64 v5, v6, v5, s[0:1]
	v_cndmask_b32_e32 v6, v11, v9, vcc
	v_cndmask_b32_e64 v11, v13, v6, s[0:1]
	v_cndmask_b32_e64 v5, v5, v14, s[2:3]
	;; [unrolled: 1-line block ×3, first 2 shown]
	v_sub_u32_e32 v13, 32, v1
	v_alignbit_b32 v14, v5, v12, v13
	v_cmp_eq_u32_e64 s[4:5], 0, v1
	v_cndmask_b32_e64 v1, v14, v5, s[4:5]
	v_cndmask_b32_e32 v5, v10, v8, vcc
	v_cndmask_b32_e64 v6, v6, v5, s[0:1]
	v_cndmask_b32_e64 v8, v11, v6, s[2:3]
	v_alignbit_b32 v10, v12, v8, v13
	v_cndmask_b32_e32 v0, v9, v0, vcc
	v_cndmask_b32_e64 v10, v10, v12, s[4:5]
	v_bfe_u32 v14, v1, 29, 1
	v_cndmask_b32_e64 v0, v5, v0, s[0:1]
	v_alignbit_b32 v11, v1, v10, 30
	v_sub_u32_e32 v15, 0, v14
	v_cndmask_b32_e64 v0, v6, v0, s[2:3]
	v_xor_b32_e32 v11, v11, v15
	v_alignbit_b32 v5, v8, v0, v13
	v_cndmask_b32_e64 v5, v5, v8, s[4:5]
	v_ffbh_u32_e32 v8, v11
	v_alignbit_b32 v6, v10, v5, 30
	v_min_u32_e32 v8, 32, v8
	v_alignbit_b32 v0, v5, v0, 30
	v_xor_b32_e32 v6, v6, v15
	v_sub_u32_e32 v9, 31, v8
	v_xor_b32_e32 v0, v0, v15
	v_alignbit_b32 v10, v11, v6, v9
	v_alignbit_b32 v0, v6, v0, v9
	;; [unrolled: 1-line block ×3, first 2 shown]
	v_ffbh_u32_e32 v6, v5
	v_min_u32_e32 v6, 32, v6
	v_lshrrev_b32_e32 v12, 29, v1
	v_not_b32_e32 v9, v6
	v_alignbit_b32 v0, v5, v0, v9
	v_lshlrev_b32_e32 v5, 31, v12
	v_or_b32_e32 v9, 0x33000000, v5
	v_add_lshl_u32 v6, v6, v8, 23
	v_lshrrev_b32_e32 v0, 9, v0
	v_sub_u32_e32 v6, v9, v6
	v_or_b32_e32 v5, 0.5, v5
	v_lshlrev_b32_e32 v8, 23, v8
	v_or_b32_e32 v0, v6, v0
	v_lshrrev_b32_e32 v6, 9, v10
	v_sub_u32_e32 v5, v5, v8
	v_or_b32_e32 v5, v6, v5
	s_mov_b32 s0, 0x3fc90fda
	v_mul_f32_e32 v6, 0x3fc90fda, v5
	v_fma_f32 v8, v5, s0, -v6
	v_fmac_f32_e32 v8, 0x33a22168, v5
	v_fmac_f32_e32 v8, 0x3fc90fda, v0
	v_lshrrev_b32_e32 v0, 30, v1
	v_add_f32_e32 v6, v6, v8
	v_add_u32_e32 v5, v14, v0
.LBB34_1169:
	s_andn2_saveexec_b64 s[0:1], s[14:15]
	s_cbranch_execz .LBB34_1171
; %bb.1170:
	s_mov_b32 s2, 0x3f22f983
	v_mul_f32_e64 v0, |v3|, s2
	v_rndne_f32_e32 v0, v0
	s_mov_b32 s2, 0xbfc90fda
	v_cvt_i32_f32_e32 v5, v0
	v_fma_f32 v6, v0, s2, |v3|
	v_fmac_f32_e32 v6, 0xb3a22168, v0
	v_fmac_f32_e32 v6, 0xa7c234c4, v0
.LBB34_1171:
	s_or_b64 exec, exec, s[0:1]
	s_lshl_b32 s13, s13, 7
	v_add_u32_e32 v11, s13, v7
	v_ashrrev_i32_e32 v1, 31, v11
	v_mov_b32_e32 v7, s11
	v_add_co_u32_e32 v0, vcc, s10, v11
	s_cmp_lt_i32 s22, 11
	v_addc_co_u32_e32 v1, vcc, v7, v1, vcc
	s_cbranch_scc1 .LBB34_1178
; %bb.1172:
	s_cmp_gt_i32 s22, 25
	s_mov_b64 s[2:3], 0
	s_cbranch_scc0 .LBB34_1180
; %bb.1173:
	s_cmp_gt_i32 s22, 28
	s_cbranch_scc0 .LBB34_1181
; %bb.1174:
	s_cmp_gt_i32 s22, 43
	;; [unrolled: 3-line block ×3, first 2 shown]
	s_cbranch_scc0 .LBB34_1184
; %bb.1176:
	s_cmp_eq_u32 s22, 46
	s_mov_b64 s[14:15], 0
	s_cbranch_scc0 .LBB34_1187
; %bb.1177:
	global_load_dword v7, v[0:1], off
	s_mov_b64 s[0:1], 0
	s_mov_b64 s[4:5], -1
	s_branch .LBB34_1188
.LBB34_1178:
	s_mov_b64 s[4:5], 0
                                        ; implicit-def: $vgpr7
	s_cbranch_execnz .LBB34_1253
.LBB34_1179:
	s_andn2_b64 vcc, exec, s[4:5]
	s_cbranch_vccnz .LBB34_2004
	s_branch .LBB34_1300
.LBB34_1180:
	s_mov_b64 s[4:5], 0
	s_mov_b64 s[0:1], 0
                                        ; implicit-def: $vgpr7
	s_cbranch_execnz .LBB34_1217
	s_branch .LBB34_1249
.LBB34_1181:
	s_mov_b64 s[14:15], -1
	s_mov_b64 s[4:5], 0
	s_mov_b64 s[0:1], 0
                                        ; implicit-def: $vgpr7
	s_branch .LBB34_1198
.LBB34_1182:
	s_mov_b64 s[14:15], -1
	s_mov_b64 s[4:5], 0
	s_mov_b64 s[0:1], 0
                                        ; implicit-def: $vgpr7
	s_branch .LBB34_1193
.LBB34_1183:
	s_or_b64 s[18:19], s[16:17], exec
	s_trap 2
	s_cbranch_execz .LBB34_1120
	s_branch .LBB34_1121
.LBB34_1184:
	s_mov_b64 s[14:15], -1
	s_mov_b64 s[4:5], 0
	s_mov_b64 s[0:1], 0
                                        ; implicit-def: $vgpr7
	s_branch .LBB34_1188
.LBB34_1185:
	s_andn2_saveexec_b64 s[24:25], s[24:25]
	s_cbranch_execz .LBB34_967
.LBB34_1186:
	s_mov_b32 s28, 0x42800000
	v_add_f32_e64 v4, |v5|, s28
	v_and_b32_e32 v4, 0xff, v4
	v_cmp_ne_u32_e32 vcc, 0, v4
	s_andn2_b64 s[22:23], s[22:23], exec
	s_and_b64 s[28:29], vcc, exec
	s_or_b64 s[22:23], s[22:23], s[28:29]
	s_or_b64 exec, exec, s[24:25]
	v_mov_b32_e32 v6, 0
	s_and_saveexec_b64 s[24:25], s[22:23]
	s_cbranch_execnz .LBB34_968
	s_branch .LBB34_969
.LBB34_1187:
	s_mov_b64 s[0:1], -1
                                        ; implicit-def: $vgpr7
	s_mov_b64 s[4:5], 0
.LBB34_1188:
	s_and_b64 vcc, exec, s[14:15]
	s_cbranch_vccz .LBB34_1192
; %bb.1189:
	s_cmp_eq_u32 s22, 44
	s_cbranch_scc0 .LBB34_1191
; %bb.1190:
	global_load_ubyte v7, v[0:1], off
	s_movk_i32 s4, 0xff
	v_mov_b32_e32 v8, 0x7f800001
	v_mov_b32_e32 v9, 0x400000
	;; [unrolled: 1-line block ×3, first 2 shown]
	s_mov_b64 s[0:1], 0
	s_waitcnt vmcnt(0)
	v_lshlrev_b32_e32 v12, 23, v7
	v_cmp_ne_u32_e32 vcc, s4, v7
	v_cndmask_b32_e32 v8, v8, v12, vcc
	v_cmp_ne_u32_e32 vcc, 0, v7
	v_cndmask_b32_e32 v7, v9, v8, vcc
	v_add_u32_e32 v8, 0x7fff, v7
	v_cmp_o_f32_e32 vcc, v7, v7
	v_cndmask_b32_sdwa v7, v10, v8, vcc dst_sel:DWORD dst_unused:UNUSED_PAD src0_sel:DWORD src1_sel:WORD_1
	s_mov_b64 s[4:5], -1
	s_branch .LBB34_1192
.LBB34_1191:
	s_mov_b64 s[0:1], -1
                                        ; implicit-def: $vgpr7
.LBB34_1192:
	s_mov_b64 s[14:15], 0
.LBB34_1193:
	s_and_b64 vcc, exec, s[14:15]
	s_cbranch_vccz .LBB34_1197
; %bb.1194:
	s_cmp_eq_u32 s22, 29
	s_cbranch_scc0 .LBB34_1196
; %bb.1195:
	global_load_dwordx2 v[7:8], v[0:1], off
	s_movk_i32 s4, 0x7fff
	s_mov_b64 s[0:1], 0
	s_mov_b64 s[14:15], 0
	s_waitcnt vmcnt(0)
	v_ffbh_u32_e32 v9, v8
	v_min_u32_e32 v9, 32, v9
	v_lshlrev_b64 v[7:8], v9, v[7:8]
	v_min_u32_e32 v7, 1, v7
	v_or_b32_e32 v7, v8, v7
	v_cvt_f32_u32_e32 v7, v7
	v_sub_u32_e32 v8, 32, v9
	v_ldexp_f32 v7, v7, v8
	v_bfe_u32 v8, v7, 16, 1
	v_add3_u32 v7, v7, v8, s4
	v_lshrrev_b32_e32 v7, 16, v7
	s_mov_b64 s[4:5], -1
	s_branch .LBB34_1198
.LBB34_1196:
	s_mov_b64 s[0:1], -1
                                        ; implicit-def: $vgpr7
.LBB34_1197:
	s_mov_b64 s[14:15], 0
.LBB34_1198:
	s_and_b64 vcc, exec, s[14:15]
	s_cbranch_vccz .LBB34_1216
; %bb.1199:
	s_cmp_lt_i32 s22, 27
	s_cbranch_scc1 .LBB34_1202
; %bb.1200:
	s_cmp_gt_i32 s22, 27
	s_cbranch_scc0 .LBB34_1203
; %bb.1201:
	global_load_dword v7, v[0:1], off
	s_movk_i32 s4, 0x7fff
	s_waitcnt vmcnt(0)
	v_cvt_f32_u32_e32 v7, v7
	v_bfe_u32 v8, v7, 16, 1
	v_add3_u32 v7, v7, v8, s4
	v_lshrrev_b32_e32 v7, 16, v7
	s_mov_b64 s[4:5], 0
	s_branch .LBB34_1204
.LBB34_1202:
	s_mov_b64 s[4:5], -1
                                        ; implicit-def: $vgpr7
	s_branch .LBB34_1207
.LBB34_1203:
	s_mov_b64 s[4:5], -1
                                        ; implicit-def: $vgpr7
.LBB34_1204:
	s_andn2_b64 vcc, exec, s[4:5]
	s_cbranch_vccnz .LBB34_1206
; %bb.1205:
	global_load_ushort v7, v[0:1], off
	s_movk_i32 s4, 0x7fff
	s_waitcnt vmcnt(0)
	v_cvt_f32_u32_e32 v7, v7
	v_bfe_u32 v8, v7, 16, 1
	v_add3_u32 v7, v7, v8, s4
	v_lshrrev_b32_e32 v7, 16, v7
.LBB34_1206:
	s_mov_b64 s[4:5], 0
.LBB34_1207:
	s_andn2_b64 vcc, exec, s[4:5]
	s_cbranch_vccnz .LBB34_1215
; %bb.1208:
	global_load_ubyte v7, v[0:1], off
	s_movk_i32 s4, 0x7f
	s_waitcnt vmcnt(0)
	v_cmp_lt_i16_e32 vcc, s4, v7
	s_mov_b64 s[4:5], 0
	s_and_saveexec_b64 s[14:15], vcc
	s_xor_b64 s[14:15], exec, s[14:15]
	s_cbranch_execz .LBB34_1228
; %bb.1209:
	s_movk_i32 s4, 0x80
	v_cmp_eq_u16_e32 vcc, s4, v7
	s_mov_b64 s[4:5], -1
	s_and_saveexec_b64 s[20:21], vcc
; %bb.1210:
	s_xor_b64 s[4:5], exec, -1
; %bb.1211:
	s_or_b64 exec, exec, s[20:21]
	s_and_b64 s[4:5], s[4:5], exec
	s_or_saveexec_b64 s[14:15], s[14:15]
	v_mov_b32_e32 v8, 0x7f800001
	s_xor_b64 exec, exec, s[14:15]
	s_cbranch_execnz .LBB34_1229
.LBB34_1212:
	s_or_b64 exec, exec, s[14:15]
	s_and_saveexec_b64 s[14:15], s[4:5]
	s_cbranch_execz .LBB34_1214
.LBB34_1213:
	v_lshlrev_b32_e32 v8, 24, v7
	v_and_b32_e32 v7, 0xffff, v7
	v_and_b32_e32 v9, 7, v7
	v_ffbh_u32_e32 v12, v9
	v_min_u32_e32 v12, 32, v12
	v_subrev_u32_e32 v13, 28, v12
	v_bfe_u32 v10, v7, 3, 4
	v_lshlrev_b32_e32 v7, v13, v7
	v_sub_u32_e32 v12, 29, v12
	v_and_b32_e32 v7, 7, v7
	v_cmp_eq_u32_e32 vcc, 0, v10
	v_cndmask_b32_e32 v10, v10, v12, vcc
	v_cndmask_b32_e32 v7, v9, v7, vcc
	v_mov_b32_e32 v9, 0x3b800000
	v_lshlrev_b32_e32 v7, 20, v7
	v_and_b32_e32 v8, 0x80000000, v8
	v_lshl_add_u32 v9, v10, 23, v9
	v_or3_b32 v8, v8, v9, v7
.LBB34_1214:
	s_or_b64 exec, exec, s[14:15]
	v_bfe_u32 v7, v8, 16, 1
	s_movk_i32 s4, 0x7fff
	v_add3_u32 v7, v8, v7, s4
	v_cmp_o_f32_e32 vcc, v8, v8
	v_mov_b32_e32 v8, 0x7fc0
	v_cndmask_b32_sdwa v7, v8, v7, vcc dst_sel:DWORD dst_unused:UNUSED_PAD src0_sel:DWORD src1_sel:WORD_1
.LBB34_1215:
	s_mov_b64 s[4:5], -1
.LBB34_1216:
	s_branch .LBB34_1249
.LBB34_1217:
	s_cmp_gt_i32 s22, 22
	s_cbranch_scc0 .LBB34_1227
; %bb.1218:
	s_cmp_lt_i32 s22, 24
	s_cbranch_scc1 .LBB34_1230
; %bb.1219:
	s_cmp_gt_i32 s22, 24
	s_cbranch_scc0 .LBB34_1231
; %bb.1220:
	global_load_ubyte v7, v[0:1], off
	s_movk_i32 s2, 0x7f
	s_waitcnt vmcnt(0)
	v_cmp_lt_i16_e32 vcc, s2, v7
	s_mov_b64 s[2:3], 0
	s_and_saveexec_b64 s[4:5], vcc
	s_xor_b64 s[4:5], exec, s[4:5]
	s_cbranch_execz .LBB34_1243
; %bb.1221:
	s_movk_i32 s2, 0x80
	v_cmp_eq_u16_e32 vcc, s2, v7
	s_mov_b64 s[2:3], -1
	s_and_saveexec_b64 s[14:15], vcc
; %bb.1222:
	s_xor_b64 s[2:3], exec, -1
; %bb.1223:
	s_or_b64 exec, exec, s[14:15]
	s_and_b64 s[2:3], s[2:3], exec
	s_or_saveexec_b64 s[4:5], s[4:5]
	v_mov_b32_e32 v8, 0x7f800001
	s_xor_b64 exec, exec, s[4:5]
	s_cbranch_execnz .LBB34_1244
.LBB34_1224:
	s_or_b64 exec, exec, s[4:5]
	s_and_saveexec_b64 s[4:5], s[2:3]
	s_cbranch_execz .LBB34_1226
.LBB34_1225:
	v_lshlrev_b32_e32 v8, 24, v7
	v_and_b32_e32 v7, 0xffff, v7
	v_and_b32_e32 v9, 3, v7
	v_ffbh_u32_e32 v12, v9
	v_min_u32_e32 v12, 32, v12
	v_subrev_u32_e32 v13, 29, v12
	v_bfe_u32 v10, v7, 2, 5
	v_lshlrev_b32_e32 v7, v13, v7
	v_sub_u32_e32 v12, 30, v12
	v_and_b32_e32 v7, 3, v7
	v_cmp_eq_u32_e32 vcc, 0, v10
	v_cndmask_b32_e32 v10, v10, v12, vcc
	v_cndmask_b32_e32 v7, v9, v7, vcc
	v_mov_b32_e32 v9, 0x37800000
	v_lshlrev_b32_e32 v7, 21, v7
	v_and_b32_e32 v8, 0x80000000, v8
	v_lshl_add_u32 v9, v10, 23, v9
	v_or3_b32 v8, v8, v9, v7
.LBB34_1226:
	s_or_b64 exec, exec, s[4:5]
	v_bfe_u32 v7, v8, 16, 1
	s_movk_i32 s2, 0x7fff
	v_add3_u32 v7, v8, v7, s2
	v_cmp_o_f32_e32 vcc, v8, v8
	v_mov_b32_e32 v8, 0x7fc0
	v_cndmask_b32_sdwa v7, v8, v7, vcc dst_sel:DWORD dst_unused:UNUSED_PAD src0_sel:DWORD src1_sel:WORD_1
	s_mov_b64 s[2:3], 0
	s_branch .LBB34_1232
.LBB34_1227:
	s_mov_b64 s[2:3], -1
                                        ; implicit-def: $vgpr7
	s_branch .LBB34_1238
.LBB34_1228:
	s_or_saveexec_b64 s[14:15], s[14:15]
	v_mov_b32_e32 v8, 0x7f800001
	s_xor_b64 exec, exec, s[14:15]
	s_cbranch_execz .LBB34_1212
.LBB34_1229:
	v_cmp_ne_u16_e32 vcc, 0, v7
	s_andn2_b64 s[4:5], s[4:5], exec
	s_and_b64 s[20:21], vcc, exec
	v_mov_b32_e32 v8, 0
	s_or_b64 s[4:5], s[4:5], s[20:21]
	s_or_b64 exec, exec, s[14:15]
	s_and_saveexec_b64 s[14:15], s[4:5]
	s_cbranch_execnz .LBB34_1213
	s_branch .LBB34_1214
.LBB34_1230:
	s_mov_b64 s[2:3], -1
                                        ; implicit-def: $vgpr7
	s_branch .LBB34_1235
.LBB34_1231:
	s_mov_b64 s[2:3], -1
                                        ; implicit-def: $vgpr7
.LBB34_1232:
	s_and_b64 vcc, exec, s[2:3]
	s_cbranch_vccz .LBB34_1234
; %bb.1233:
	global_load_ubyte v7, v[0:1], off
	s_mov_b32 s2, 0x7f800000
	s_brev_b32 s3, 1
	s_movk_i32 s4, 0x7fff
	s_waitcnt vmcnt(0)
	v_lshlrev_b32_e32 v7, 24, v7
	v_and_b32_e32 v8, 0x7f000000, v7
	v_ffbh_u32_e32 v9, v8
	v_min_u32_e32 v9, 32, v9
	v_sub_u32_e64 v9, v9, 4 clamp
	v_lshlrev_b32_e32 v12, v9, v8
	v_lshlrev_b32_e32 v9, 23, v9
	v_lshrrev_b32_e32 v12, 4, v12
	v_add_u32_e32 v10, 0x1000000, v8
	v_sub_u32_e32 v9, v12, v9
	v_ashrrev_i32_e32 v10, 8, v10
	v_add_u32_e32 v9, 0x3c000000, v9
	v_and_or_b32 v9, v10, s2, v9
	v_cmp_ne_u32_e32 vcc, 0, v8
	v_cndmask_b32_e32 v8, 0, v9, vcc
	v_and_or_b32 v7, v7, s3, v8
	v_bfe_u32 v8, v8, 16, 1
	v_add3_u32 v8, v7, v8, s4
	v_cmp_o_f32_e32 vcc, v7, v7
	v_mov_b32_e32 v7, 0x7fc0
	v_cndmask_b32_sdwa v7, v7, v8, vcc dst_sel:DWORD dst_unused:UNUSED_PAD src0_sel:DWORD src1_sel:WORD_1
.LBB34_1234:
	s_mov_b64 s[2:3], 0
.LBB34_1235:
	s_andn2_b64 vcc, exec, s[2:3]
	s_cbranch_vccnz .LBB34_1237
; %bb.1236:
	global_load_ubyte v7, v[0:1], off
	s_movk_i32 s2, 0x7f00
	s_brev_b32 s3, 16
	s_brev_b32 s4, 1
	s_movk_i32 s5, 0x7fff
	s_waitcnt vmcnt(0)
	v_lshlrev_b16_e32 v8, 8, v7
	v_lshlrev_b32_e32 v7, 25, v7
	v_lshrrev_b32_e32 v9, 4, v7
	v_and_or_b32 v10, v8, s2, 0.5
	v_or_b32_e32 v9, 0x70000000, v9
	v_add_f32_e32 v10, -0.5, v10
	v_mul_f32_e32 v9, 0x7800000, v9
	v_cmp_gt_u32_e32 vcc, s3, v7
	v_bfe_i32 v8, v8, 0, 16
	v_cndmask_b32_e32 v7, v9, v10, vcc
	v_and_or_b32 v8, v8, s4, v7
	v_bfe_u32 v7, v7, 16, 1
	v_add3_u32 v7, v8, v7, s5
	v_cmp_o_f32_e32 vcc, v8, v8
	v_mov_b32_e32 v8, 0x7fc0
	v_cndmask_b32_sdwa v7, v8, v7, vcc dst_sel:DWORD dst_unused:UNUSED_PAD src0_sel:DWORD src1_sel:WORD_1
.LBB34_1237:
	s_mov_b64 s[2:3], 0
	s_mov_b64 s[4:5], -1
.LBB34_1238:
	s_andn2_b64 vcc, exec, s[2:3]
	s_mov_b64 s[2:3], 0
	s_cbranch_vccnz .LBB34_1249
; %bb.1239:
	s_cmp_gt_i32 s22, 14
	s_cbranch_scc0 .LBB34_1242
; %bb.1240:
	s_cmp_eq_u32 s22, 15
	s_cbranch_scc0 .LBB34_1245
; %bb.1241:
	global_load_ushort v7, v[0:1], off
	s_mov_b64 s[0:1], 0
	s_mov_b64 s[4:5], -1
	s_branch .LBB34_1246
.LBB34_1242:
	s_mov_b64 s[14:15], -1
                                        ; implicit-def: $vgpr7
	s_branch .LBB34_1247
.LBB34_1243:
	s_or_saveexec_b64 s[4:5], s[4:5]
	v_mov_b32_e32 v8, 0x7f800001
	s_xor_b64 exec, exec, s[4:5]
	s_cbranch_execz .LBB34_1224
.LBB34_1244:
	v_cmp_ne_u16_e32 vcc, 0, v7
	s_andn2_b64 s[2:3], s[2:3], exec
	s_and_b64 s[14:15], vcc, exec
	v_mov_b32_e32 v8, 0
	s_or_b64 s[2:3], s[2:3], s[14:15]
	s_or_b64 exec, exec, s[4:5]
	s_and_saveexec_b64 s[4:5], s[2:3]
	s_cbranch_execnz .LBB34_1225
	s_branch .LBB34_1226
.LBB34_1245:
	s_mov_b64 s[0:1], -1
                                        ; implicit-def: $vgpr7
.LBB34_1246:
	s_mov_b64 s[14:15], 0
.LBB34_1247:
	s_and_b64 vcc, exec, s[14:15]
	s_cbranch_vccz .LBB34_1249
; %bb.1248:
	s_cmp_lg_u32 s22, 11
	s_mov_b64 s[2:3], -1
	s_cselect_b64 s[0:1], -1, 0
.LBB34_1249:
	s_and_b64 vcc, exec, s[0:1]
	s_cbranch_vccnz .LBB34_1316
; %bb.1250:
	s_andn2_b64 vcc, exec, s[2:3]
	s_cbranch_vccnz .LBB34_1252
.LBB34_1251:
	global_load_ubyte v7, v[0:1], off
	s_mov_b64 s[4:5], -1
	s_waitcnt vmcnt(0)
	v_cmp_ne_u16_e32 vcc, 0, v7
	v_cndmask_b32_e64 v7, 0, 1.0, vcc
	v_lshrrev_b32_e32 v7, 16, v7
.LBB34_1252:
	s_branch .LBB34_1179
.LBB34_1253:
	s_cmp_lt_i32 s22, 5
	s_cbranch_scc1 .LBB34_1258
; %bb.1254:
	s_cmp_lt_i32 s22, 8
	s_cbranch_scc1 .LBB34_1259
; %bb.1255:
	;; [unrolled: 3-line block ×3, first 2 shown]
	s_cmp_gt_i32 s22, 9
	s_cbranch_scc0 .LBB34_1261
; %bb.1257:
	global_load_dwordx2 v[7:8], v[0:1], off
	s_movk_i32 s0, 0x7fff
	s_waitcnt vmcnt(0)
	v_cvt_f32_f64_e32 v7, v[7:8]
	v_mov_b32_e32 v8, 0x7fc0
	v_bfe_u32 v9, v7, 16, 1
	v_cmp_o_f32_e32 vcc, v7, v7
	v_add3_u32 v7, v7, v9, s0
	v_cndmask_b32_sdwa v7, v8, v7, vcc dst_sel:DWORD dst_unused:UNUSED_PAD src0_sel:DWORD src1_sel:WORD_1
	s_mov_b64 s[0:1], 0
	s_branch .LBB34_1262
.LBB34_1258:
                                        ; implicit-def: $vgpr7
	s_branch .LBB34_1280
.LBB34_1259:
	s_mov_b64 s[0:1], -1
                                        ; implicit-def: $vgpr7
	s_branch .LBB34_1268
.LBB34_1260:
	s_mov_b64 s[0:1], -1
                                        ; implicit-def: $vgpr7
	s_branch .LBB34_1265
.LBB34_1261:
	s_mov_b64 s[0:1], -1
                                        ; implicit-def: $vgpr7
.LBB34_1262:
	s_andn2_b64 vcc, exec, s[0:1]
	s_cbranch_vccnz .LBB34_1264
; %bb.1263:
	global_load_dword v7, v[0:1], off
	s_movk_i32 s0, 0x7fff
	v_mov_b32_e32 v8, 0x7fc0
	s_waitcnt vmcnt(0)
	v_bfe_u32 v9, v7, 16, 1
	v_cmp_o_f32_e32 vcc, v7, v7
	v_add3_u32 v7, v7, v9, s0
	v_cndmask_b32_sdwa v7, v8, v7, vcc dst_sel:DWORD dst_unused:UNUSED_PAD src0_sel:DWORD src1_sel:WORD_1
.LBB34_1264:
	s_mov_b64 s[0:1], 0
.LBB34_1265:
	s_andn2_b64 vcc, exec, s[0:1]
	s_cbranch_vccnz .LBB34_1267
; %bb.1266:
	global_load_dword v7, v[0:1], off
	s_movk_i32 s0, 0x7fff
	v_mov_b32_e32 v9, 0x7fc0
	s_waitcnt vmcnt(0)
	v_cvt_f32_f16_e32 v8, v7
	v_cmp_o_f16_e32 vcc, v7, v7
	v_bfe_u32 v7, v8, 16, 1
	v_add3_u32 v7, v8, v7, s0
	v_cndmask_b32_sdwa v7, v9, v7, vcc dst_sel:DWORD dst_unused:UNUSED_PAD src0_sel:DWORD src1_sel:WORD_1
.LBB34_1267:
	s_mov_b64 s[0:1], 0
.LBB34_1268:
	s_andn2_b64 vcc, exec, s[0:1]
	s_cbranch_vccnz .LBB34_1279
; %bb.1269:
	s_cmp_lt_i32 s22, 6
	s_cbranch_scc1 .LBB34_1272
; %bb.1270:
	s_cmp_gt_i32 s22, 6
	s_cbranch_scc0 .LBB34_1273
; %bb.1271:
	global_load_dwordx2 v[7:8], v[0:1], off
	s_movk_i32 s0, 0x7fff
	s_waitcnt vmcnt(0)
	v_cvt_f32_f64_e32 v7, v[7:8]
	v_mov_b32_e32 v8, 0x7fc0
	v_bfe_u32 v9, v7, 16, 1
	v_cmp_o_f32_e32 vcc, v7, v7
	v_add3_u32 v7, v7, v9, s0
	v_cndmask_b32_sdwa v7, v8, v7, vcc dst_sel:DWORD dst_unused:UNUSED_PAD src0_sel:DWORD src1_sel:WORD_1
	s_mov_b64 s[0:1], 0
	s_branch .LBB34_1274
.LBB34_1272:
	s_mov_b64 s[0:1], -1
                                        ; implicit-def: $vgpr7
	s_branch .LBB34_1277
.LBB34_1273:
	s_mov_b64 s[0:1], -1
                                        ; implicit-def: $vgpr7
.LBB34_1274:
	s_andn2_b64 vcc, exec, s[0:1]
	s_cbranch_vccnz .LBB34_1276
; %bb.1275:
	global_load_dword v7, v[0:1], off
	s_movk_i32 s0, 0x7fff
	v_mov_b32_e32 v8, 0x7fc0
	s_waitcnt vmcnt(0)
	v_bfe_u32 v9, v7, 16, 1
	v_cmp_o_f32_e32 vcc, v7, v7
	v_add3_u32 v7, v7, v9, s0
	v_cndmask_b32_sdwa v7, v8, v7, vcc dst_sel:DWORD dst_unused:UNUSED_PAD src0_sel:DWORD src1_sel:WORD_1
.LBB34_1276:
	s_mov_b64 s[0:1], 0
.LBB34_1277:
	s_andn2_b64 vcc, exec, s[0:1]
	s_cbranch_vccnz .LBB34_1279
; %bb.1278:
	global_load_ushort v7, v[0:1], off
	s_movk_i32 s0, 0x7fff
	v_mov_b32_e32 v9, 0x7fc0
	s_waitcnt vmcnt(0)
	v_cvt_f32_f16_e32 v8, v7
	v_cmp_o_f16_e32 vcc, v7, v7
	v_bfe_u32 v7, v8, 16, 1
	v_add3_u32 v7, v8, v7, s0
	v_cndmask_b32_sdwa v7, v9, v7, vcc dst_sel:DWORD dst_unused:UNUSED_PAD src0_sel:DWORD src1_sel:WORD_1
.LBB34_1279:
	s_cbranch_execnz .LBB34_1299
.LBB34_1280:
	s_cmp_lt_i32 s22, 2
	s_cbranch_scc1 .LBB34_1284
; %bb.1281:
	s_cmp_lt_i32 s22, 3
	s_cbranch_scc1 .LBB34_1285
; %bb.1282:
	s_cmp_gt_i32 s22, 3
	s_cbranch_scc0 .LBB34_1286
; %bb.1283:
	global_load_dwordx2 v[7:8], v[0:1], off
	s_movk_i32 s0, 0x7fff
	s_waitcnt vmcnt(0)
	v_xor_b32_e32 v10, v7, v8
	v_ffbh_i32_e32 v9, v8
	v_ashrrev_i32_e32 v10, 31, v10
	v_add_u32_e32 v9, -1, v9
	v_add_u32_e32 v10, 32, v10
	v_min_u32_e32 v9, v9, v10
	v_lshlrev_b64 v[7:8], v9, v[7:8]
	v_min_u32_e32 v7, 1, v7
	v_or_b32_e32 v7, v8, v7
	v_cvt_f32_i32_e32 v7, v7
	v_sub_u32_e32 v8, 32, v9
	v_ldexp_f32 v7, v7, v8
	v_bfe_u32 v8, v7, 16, 1
	v_add3_u32 v7, v7, v8, s0
	v_lshrrev_b32_e32 v7, 16, v7
	s_mov_b64 s[0:1], 0
	s_branch .LBB34_1287
.LBB34_1284:
	s_mov_b64 s[0:1], -1
                                        ; implicit-def: $vgpr7
	s_branch .LBB34_1293
.LBB34_1285:
	s_mov_b64 s[0:1], -1
                                        ; implicit-def: $vgpr7
	s_branch .LBB34_1290
.LBB34_1286:
	s_mov_b64 s[0:1], -1
                                        ; implicit-def: $vgpr7
.LBB34_1287:
	s_andn2_b64 vcc, exec, s[0:1]
	s_cbranch_vccnz .LBB34_1289
; %bb.1288:
	global_load_dword v7, v[0:1], off
	s_movk_i32 s0, 0x7fff
	s_waitcnt vmcnt(0)
	v_cvt_f32_i32_e32 v7, v7
	v_bfe_u32 v8, v7, 16, 1
	v_add3_u32 v7, v7, v8, s0
	v_lshrrev_b32_e32 v7, 16, v7
.LBB34_1289:
	s_mov_b64 s[0:1], 0
.LBB34_1290:
	s_andn2_b64 vcc, exec, s[0:1]
	s_cbranch_vccnz .LBB34_1292
; %bb.1291:
	global_load_sshort v7, v[0:1], off
	s_movk_i32 s0, 0x7fff
	s_waitcnt vmcnt(0)
	v_cvt_f32_i32_e32 v7, v7
	v_bfe_u32 v8, v7, 16, 1
	v_add3_u32 v7, v7, v8, s0
	v_lshrrev_b32_e32 v7, 16, v7
.LBB34_1292:
	s_mov_b64 s[0:1], 0
.LBB34_1293:
	s_andn2_b64 vcc, exec, s[0:1]
	s_cbranch_vccnz .LBB34_1299
; %bb.1294:
	s_cmp_gt_i32 s22, 0
	s_cbranch_scc0 .LBB34_1296
; %bb.1295:
	global_load_sbyte v7, v[0:1], off
	s_movk_i32 s0, 0x7fff
	s_waitcnt vmcnt(0)
	v_cvt_f32_i32_e32 v7, v7
	v_bfe_u32 v8, v7, 16, 1
	v_add3_u32 v7, v7, v8, s0
	v_lshrrev_b32_e32 v7, 16, v7
	s_mov_b64 s[0:1], 0
	s_branch .LBB34_1297
.LBB34_1296:
	s_mov_b64 s[0:1], -1
                                        ; implicit-def: $vgpr7
.LBB34_1297:
	s_andn2_b64 vcc, exec, s[0:1]
	s_cbranch_vccnz .LBB34_1299
; %bb.1298:
	global_load_ubyte v0, v[0:1], off
	s_movk_i32 s0, 0x7fff
	s_waitcnt vmcnt(0)
	v_cvt_f32_ubyte0_e32 v0, v0
	v_bfe_u32 v1, v0, 16, 1
	v_add3_u32 v0, v0, v1, s0
	v_lshrrev_b32_e32 v7, 16, v0
.LBB34_1299:
.LBB34_1300:
	s_waitcnt vmcnt(0)
	v_lshlrev_b32_e32 v7, 16, v7
	s_brev_b32 s0, 18
	v_and_b32_e32 v8, 0x7fffffff, v7
	v_cmp_nlt_f32_e64 s[0:1], |v7|, s0
                                        ; implicit-def: $vgpr9
                                        ; implicit-def: $vgpr10
	s_and_saveexec_b64 s[2:3], s[0:1]
	s_xor_b64 s[14:15], exec, s[2:3]
	s_cbranch_execz .LBB34_1302
; %bb.1301:
	v_and_b32_e32 v0, 0x7fffff, v8
	v_or_b32_e32 v18, 0x800000, v0
	s_mov_b32 s0, 0xfe5163ab
	v_mad_u64_u32 v[0:1], s[0:1], v18, s0, 0
	v_mov_b32_e32 v10, 0
	s_mov_b32 s0, 0x3c439041
	v_mov_b32_e32 v9, v1
	v_mad_u64_u32 v[12:13], s[0:1], v18, s0, v[9:10]
	s_mov_b32 s0, 0xdb629599
	v_lshrrev_b32_e32 v1, 23, v8
	v_mov_b32_e32 v9, v13
	v_mad_u64_u32 v[13:14], s[0:1], v18, s0, v[9:10]
	s_mov_b32 s0, 0xf534ddc0
	v_add_u32_e32 v1, 0xffffff88, v1
	v_mov_b32_e32 v9, v14
	v_mad_u64_u32 v[14:15], s[0:1], v18, s0, v[9:10]
	s_mov_b32 s0, 0xfc2757d1
	v_not_b32_e32 v17, 63
	v_mov_b32_e32 v9, v15
	v_mad_u64_u32 v[15:16], s[0:1], v18, s0, v[9:10]
	v_cmp_lt_u32_e32 vcc, 63, v1
	v_cndmask_b32_e32 v9, 0, v17, vcc
	v_add_u32_e32 v1, v9, v1
	v_mov_b32_e32 v9, v16
	s_mov_b32 s0, 0x4e441529
	v_mad_u64_u32 v[16:17], s[0:1], v18, s0, v[9:10]
	v_not_b32_e32 v19, 31
	v_cmp_lt_u32_e64 s[0:1], 31, v1
	v_cndmask_b32_e64 v9, 0, v19, s[0:1]
	v_add_u32_e32 v1, v9, v1
	v_mov_b32_e32 v9, v17
	s_mov_b32 s2, 0xa2f9836e
	v_mad_u64_u32 v[9:10], s[2:3], v18, s2, v[9:10]
	v_cmp_lt_u32_e64 s[2:3], 31, v1
	v_cndmask_b32_e64 v17, 0, v19, s[2:3]
	v_add_u32_e32 v1, v17, v1
	v_cndmask_b32_e32 v17, v16, v14, vcc
	v_cndmask_b32_e32 v9, v9, v15, vcc
	;; [unrolled: 1-line block ×3, first 2 shown]
	v_cndmask_b32_e64 v18, v9, v17, s[0:1]
	v_cndmask_b32_e64 v9, v10, v9, s[0:1]
	v_cndmask_b32_e32 v10, v15, v13, vcc
	v_cndmask_b32_e64 v15, v17, v10, s[0:1]
	v_cndmask_b32_e64 v9, v9, v18, s[2:3]
	;; [unrolled: 1-line block ×3, first 2 shown]
	v_sub_u32_e32 v17, 32, v1
	v_alignbit_b32 v18, v9, v16, v17
	v_cmp_eq_u32_e64 s[4:5], 0, v1
	v_cndmask_b32_e64 v1, v18, v9, s[4:5]
	v_cndmask_b32_e32 v9, v14, v12, vcc
	v_cndmask_b32_e64 v10, v10, v9, s[0:1]
	v_cndmask_b32_e64 v12, v15, v10, s[2:3]
	v_alignbit_b32 v14, v16, v12, v17
	v_cndmask_b32_e32 v0, v13, v0, vcc
	v_cndmask_b32_e64 v14, v14, v16, s[4:5]
	v_bfe_u32 v18, v1, 29, 1
	v_cndmask_b32_e64 v0, v9, v0, s[0:1]
	v_alignbit_b32 v15, v1, v14, 30
	v_sub_u32_e32 v19, 0, v18
	v_cndmask_b32_e64 v0, v10, v0, s[2:3]
	v_xor_b32_e32 v15, v15, v19
	v_alignbit_b32 v9, v12, v0, v17
	v_cndmask_b32_e64 v9, v9, v12, s[4:5]
	v_ffbh_u32_e32 v12, v15
	v_alignbit_b32 v10, v14, v9, 30
	v_min_u32_e32 v12, 32, v12
	v_alignbit_b32 v0, v9, v0, 30
	v_xor_b32_e32 v10, v10, v19
	v_sub_u32_e32 v13, 31, v12
	v_xor_b32_e32 v0, v0, v19
	v_alignbit_b32 v14, v15, v10, v13
	v_alignbit_b32 v0, v10, v0, v13
	v_alignbit_b32 v9, v14, v0, 9
	v_ffbh_u32_e32 v10, v9
	v_min_u32_e32 v10, 32, v10
	v_lshrrev_b32_e32 v16, 29, v1
	v_not_b32_e32 v13, v10
	v_alignbit_b32 v0, v9, v0, v13
	v_lshlrev_b32_e32 v9, 31, v16
	v_or_b32_e32 v13, 0x33000000, v9
	v_add_lshl_u32 v10, v10, v12, 23
	v_lshrrev_b32_e32 v0, 9, v0
	v_sub_u32_e32 v10, v13, v10
	v_or_b32_e32 v9, 0.5, v9
	v_lshlrev_b32_e32 v12, 23, v12
	v_or_b32_e32 v0, v10, v0
	v_lshrrev_b32_e32 v10, 9, v14
	v_sub_u32_e32 v9, v9, v12
	v_or_b32_e32 v9, v10, v9
	s_mov_b32 s0, 0x3fc90fda
	v_mul_f32_e32 v10, 0x3fc90fda, v9
	v_fma_f32 v12, v9, s0, -v10
	v_fmac_f32_e32 v12, 0x33a22168, v9
	v_fmac_f32_e32 v12, 0x3fc90fda, v0
	v_lshrrev_b32_e32 v0, 30, v1
	v_add_f32_e32 v10, v10, v12
	v_add_u32_e32 v9, v18, v0
.LBB34_1302:
	s_andn2_saveexec_b64 s[0:1], s[14:15]
	s_cbranch_execz .LBB34_1304
; %bb.1303:
	s_mov_b32 s2, 0x3f22f983
	v_mul_f32_e64 v0, |v7|, s2
	v_rndne_f32_e32 v0, v0
	s_mov_b32 s2, 0xbfc90fda
	v_cvt_i32_f32_e32 v9, v0
	v_fma_f32 v10, v0, s2, |v7|
	v_fmac_f32_e32 v10, 0xb3a22168, v0
	v_fmac_f32_e32 v10, 0xa7c234c4, v0
.LBB34_1304:
	s_or_b64 exec, exec, s[0:1]
	v_add_u32_e32 v15, s13, v11
	v_ashrrev_i32_e32 v1, 31, v15
	v_mov_b32_e32 v11, s11
	v_add_co_u32_e32 v0, vcc, s10, v15
	s_cmp_lt_i32 s22, 11
	v_addc_co_u32_e32 v1, vcc, v11, v1, vcc
	s_cbranch_scc1 .LBB34_1311
; %bb.1305:
	s_cmp_gt_i32 s22, 25
	s_mov_b64 s[2:3], 0
	s_cbranch_scc0 .LBB34_1313
; %bb.1306:
	s_cmp_gt_i32 s22, 28
	s_cbranch_scc0 .LBB34_1314
; %bb.1307:
	s_cmp_gt_i32 s22, 43
	;; [unrolled: 3-line block ×3, first 2 shown]
	s_cbranch_scc0 .LBB34_1317
; %bb.1309:
	s_cmp_eq_u32 s22, 46
	s_mov_b64 s[14:15], 0
	s_cbranch_scc0 .LBB34_1318
; %bb.1310:
	global_load_dword v11, v[0:1], off
	s_mov_b64 s[0:1], 0
	s_mov_b64 s[4:5], -1
	s_branch .LBB34_1319
.LBB34_1311:
	s_mov_b64 s[4:5], 0
                                        ; implicit-def: $vgpr11
	s_cbranch_execnz .LBB34_1385
.LBB34_1312:
	s_andn2_b64 vcc, exec, s[4:5]
	s_cbranch_vccnz .LBB34_2004
	s_branch .LBB34_1433
.LBB34_1313:
	s_mov_b64 s[14:15], -1
	s_mov_b64 s[4:5], 0
	s_mov_b64 s[0:1], 0
                                        ; implicit-def: $vgpr11
	s_branch .LBB34_1348
.LBB34_1314:
	s_mov_b64 s[14:15], -1
	s_mov_b64 s[4:5], 0
	s_mov_b64 s[0:1], 0
                                        ; implicit-def: $vgpr11
	s_branch .LBB34_1329
.LBB34_1315:
	s_mov_b64 s[14:15], -1
	s_mov_b64 s[4:5], 0
	s_mov_b64 s[0:1], 0
                                        ; implicit-def: $vgpr11
	s_branch .LBB34_1324
.LBB34_1316:
	s_trap 2
	s_or_b64 s[18:19], s[18:19], exec
	s_cbranch_execz .LBB34_1251
	s_branch .LBB34_1252
.LBB34_1317:
	s_mov_b64 s[14:15], -1
	s_mov_b64 s[4:5], 0
	s_mov_b64 s[0:1], 0
                                        ; implicit-def: $vgpr11
	s_branch .LBB34_1319
.LBB34_1318:
	s_mov_b64 s[0:1], -1
                                        ; implicit-def: $vgpr11
	s_mov_b64 s[4:5], 0
.LBB34_1319:
	s_and_b64 vcc, exec, s[14:15]
	s_cbranch_vccz .LBB34_1323
; %bb.1320:
	s_cmp_eq_u32 s22, 44
	s_cbranch_scc0 .LBB34_1322
; %bb.1321:
	global_load_ubyte v11, v[0:1], off
	s_movk_i32 s4, 0xff
	v_mov_b32_e32 v12, 0x7f800001
	v_mov_b32_e32 v13, 0x400000
	;; [unrolled: 1-line block ×3, first 2 shown]
	s_mov_b64 s[0:1], 0
	s_waitcnt vmcnt(0)
	v_lshlrev_b32_e32 v16, 23, v11
	v_cmp_ne_u32_e32 vcc, s4, v11
	v_cndmask_b32_e32 v12, v12, v16, vcc
	v_cmp_ne_u32_e32 vcc, 0, v11
	v_cndmask_b32_e32 v11, v13, v12, vcc
	v_add_u32_e32 v12, 0x7fff, v11
	v_cmp_o_f32_e32 vcc, v11, v11
	v_cndmask_b32_sdwa v11, v14, v12, vcc dst_sel:DWORD dst_unused:UNUSED_PAD src0_sel:DWORD src1_sel:WORD_1
	s_mov_b64 s[4:5], -1
	s_branch .LBB34_1323
.LBB34_1322:
	s_mov_b64 s[0:1], -1
                                        ; implicit-def: $vgpr11
.LBB34_1323:
	s_mov_b64 s[14:15], 0
.LBB34_1324:
	s_and_b64 vcc, exec, s[14:15]
	s_cbranch_vccz .LBB34_1328
; %bb.1325:
	s_cmp_eq_u32 s22, 29
	s_cbranch_scc0 .LBB34_1327
; %bb.1326:
	global_load_dwordx2 v[11:12], v[0:1], off
	s_movk_i32 s4, 0x7fff
	s_mov_b64 s[0:1], 0
	s_mov_b64 s[14:15], 0
	s_waitcnt vmcnt(0)
	v_ffbh_u32_e32 v13, v12
	v_min_u32_e32 v13, 32, v13
	v_lshlrev_b64 v[11:12], v13, v[11:12]
	v_min_u32_e32 v11, 1, v11
	v_or_b32_e32 v11, v12, v11
	v_cvt_f32_u32_e32 v11, v11
	v_sub_u32_e32 v12, 32, v13
	v_ldexp_f32 v11, v11, v12
	v_bfe_u32 v12, v11, 16, 1
	v_add3_u32 v11, v11, v12, s4
	v_lshrrev_b32_e32 v11, 16, v11
	s_mov_b64 s[4:5], -1
	s_branch .LBB34_1329
.LBB34_1327:
	s_mov_b64 s[0:1], -1
                                        ; implicit-def: $vgpr11
.LBB34_1328:
	s_mov_b64 s[14:15], 0
.LBB34_1329:
	s_and_b64 vcc, exec, s[14:15]
	s_cbranch_vccz .LBB34_1347
; %bb.1330:
	s_cmp_lt_i32 s22, 27
	s_cbranch_scc1 .LBB34_1333
; %bb.1331:
	s_cmp_gt_i32 s22, 27
	s_cbranch_scc0 .LBB34_1334
; %bb.1332:
	global_load_dword v11, v[0:1], off
	s_movk_i32 s4, 0x7fff
	s_waitcnt vmcnt(0)
	v_cvt_f32_u32_e32 v11, v11
	v_bfe_u32 v12, v11, 16, 1
	v_add3_u32 v11, v11, v12, s4
	v_lshrrev_b32_e32 v11, 16, v11
	s_mov_b64 s[4:5], 0
	s_branch .LBB34_1335
.LBB34_1333:
	s_mov_b64 s[4:5], -1
                                        ; implicit-def: $vgpr11
	s_branch .LBB34_1338
.LBB34_1334:
	s_mov_b64 s[4:5], -1
                                        ; implicit-def: $vgpr11
.LBB34_1335:
	s_andn2_b64 vcc, exec, s[4:5]
	s_cbranch_vccnz .LBB34_1337
; %bb.1336:
	global_load_ushort v11, v[0:1], off
	s_movk_i32 s4, 0x7fff
	s_waitcnt vmcnt(0)
	v_cvt_f32_u32_e32 v11, v11
	v_bfe_u32 v12, v11, 16, 1
	v_add3_u32 v11, v11, v12, s4
	v_lshrrev_b32_e32 v11, 16, v11
.LBB34_1337:
	s_mov_b64 s[4:5], 0
.LBB34_1338:
	s_andn2_b64 vcc, exec, s[4:5]
	s_cbranch_vccnz .LBB34_1346
; %bb.1339:
	global_load_ubyte v11, v[0:1], off
	s_movk_i32 s4, 0x7f
	s_waitcnt vmcnt(0)
	v_cmp_lt_i16_e32 vcc, s4, v11
	s_mov_b64 s[4:5], 0
	s_and_saveexec_b64 s[14:15], vcc
	s_xor_b64 s[14:15], exec, s[14:15]
	s_cbranch_execz .LBB34_1360
; %bb.1340:
	s_movk_i32 s4, 0x80
	v_cmp_eq_u16_e32 vcc, s4, v11
	s_mov_b64 s[4:5], -1
	s_and_saveexec_b64 s[20:21], vcc
; %bb.1341:
	s_xor_b64 s[4:5], exec, -1
; %bb.1342:
	s_or_b64 exec, exec, s[20:21]
	s_and_b64 s[4:5], s[4:5], exec
	s_or_saveexec_b64 s[14:15], s[14:15]
	v_mov_b32_e32 v12, 0x7f800001
	s_xor_b64 exec, exec, s[14:15]
	s_cbranch_execnz .LBB34_1361
.LBB34_1343:
	s_or_b64 exec, exec, s[14:15]
	s_and_saveexec_b64 s[14:15], s[4:5]
	s_cbranch_execz .LBB34_1345
.LBB34_1344:
	v_lshlrev_b32_e32 v12, 24, v11
	v_and_b32_e32 v11, 0xffff, v11
	v_and_b32_e32 v13, 7, v11
	v_ffbh_u32_e32 v16, v13
	v_min_u32_e32 v16, 32, v16
	v_subrev_u32_e32 v17, 28, v16
	v_bfe_u32 v14, v11, 3, 4
	v_lshlrev_b32_e32 v11, v17, v11
	v_sub_u32_e32 v16, 29, v16
	v_and_b32_e32 v11, 7, v11
	v_cmp_eq_u32_e32 vcc, 0, v14
	v_cndmask_b32_e32 v14, v14, v16, vcc
	v_cndmask_b32_e32 v11, v13, v11, vcc
	v_mov_b32_e32 v13, 0x3b800000
	v_lshlrev_b32_e32 v11, 20, v11
	v_and_b32_e32 v12, 0x80000000, v12
	v_lshl_add_u32 v13, v14, 23, v13
	v_or3_b32 v12, v12, v13, v11
.LBB34_1345:
	s_or_b64 exec, exec, s[14:15]
	v_bfe_u32 v11, v12, 16, 1
	s_movk_i32 s4, 0x7fff
	v_add3_u32 v11, v12, v11, s4
	v_cmp_o_f32_e32 vcc, v12, v12
	v_mov_b32_e32 v12, 0x7fc0
	v_cndmask_b32_sdwa v11, v12, v11, vcc dst_sel:DWORD dst_unused:UNUSED_PAD src0_sel:DWORD src1_sel:WORD_1
.LBB34_1346:
	s_mov_b64 s[4:5], -1
.LBB34_1347:
	s_mov_b64 s[14:15], 0
.LBB34_1348:
	s_and_b64 vcc, exec, s[14:15]
	s_cbranch_vccz .LBB34_1381
; %bb.1349:
	s_cmp_gt_i32 s22, 22
	s_cbranch_scc0 .LBB34_1359
; %bb.1350:
	s_cmp_lt_i32 s22, 24
	s_cbranch_scc1 .LBB34_1362
; %bb.1351:
	s_cmp_gt_i32 s22, 24
	s_cbranch_scc0 .LBB34_1363
; %bb.1352:
	global_load_ubyte v11, v[0:1], off
	s_movk_i32 s2, 0x7f
	s_waitcnt vmcnt(0)
	v_cmp_lt_i16_e32 vcc, s2, v11
	s_mov_b64 s[2:3], 0
	s_and_saveexec_b64 s[4:5], vcc
	s_xor_b64 s[4:5], exec, s[4:5]
	s_cbranch_execz .LBB34_1375
; %bb.1353:
	s_movk_i32 s2, 0x80
	v_cmp_eq_u16_e32 vcc, s2, v11
	s_mov_b64 s[2:3], -1
	s_and_saveexec_b64 s[14:15], vcc
; %bb.1354:
	s_xor_b64 s[2:3], exec, -1
; %bb.1355:
	s_or_b64 exec, exec, s[14:15]
	s_and_b64 s[2:3], s[2:3], exec
	s_or_saveexec_b64 s[4:5], s[4:5]
	v_mov_b32_e32 v12, 0x7f800001
	s_xor_b64 exec, exec, s[4:5]
	s_cbranch_execnz .LBB34_1376
.LBB34_1356:
	s_or_b64 exec, exec, s[4:5]
	s_and_saveexec_b64 s[4:5], s[2:3]
	s_cbranch_execz .LBB34_1358
.LBB34_1357:
	v_lshlrev_b32_e32 v12, 24, v11
	v_and_b32_e32 v11, 0xffff, v11
	v_and_b32_e32 v13, 3, v11
	v_ffbh_u32_e32 v16, v13
	v_min_u32_e32 v16, 32, v16
	v_subrev_u32_e32 v17, 29, v16
	v_bfe_u32 v14, v11, 2, 5
	v_lshlrev_b32_e32 v11, v17, v11
	v_sub_u32_e32 v16, 30, v16
	v_and_b32_e32 v11, 3, v11
	v_cmp_eq_u32_e32 vcc, 0, v14
	v_cndmask_b32_e32 v14, v14, v16, vcc
	v_cndmask_b32_e32 v11, v13, v11, vcc
	v_mov_b32_e32 v13, 0x37800000
	v_lshlrev_b32_e32 v11, 21, v11
	v_and_b32_e32 v12, 0x80000000, v12
	v_lshl_add_u32 v13, v14, 23, v13
	v_or3_b32 v12, v12, v13, v11
.LBB34_1358:
	s_or_b64 exec, exec, s[4:5]
	v_bfe_u32 v11, v12, 16, 1
	s_movk_i32 s2, 0x7fff
	v_add3_u32 v11, v12, v11, s2
	v_cmp_o_f32_e32 vcc, v12, v12
	v_mov_b32_e32 v12, 0x7fc0
	v_cndmask_b32_sdwa v11, v12, v11, vcc dst_sel:DWORD dst_unused:UNUSED_PAD src0_sel:DWORD src1_sel:WORD_1
	s_mov_b64 s[2:3], 0
	s_branch .LBB34_1364
.LBB34_1359:
	s_mov_b64 s[2:3], -1
                                        ; implicit-def: $vgpr11
	s_branch .LBB34_1370
.LBB34_1360:
	s_or_saveexec_b64 s[14:15], s[14:15]
	v_mov_b32_e32 v12, 0x7f800001
	s_xor_b64 exec, exec, s[14:15]
	s_cbranch_execz .LBB34_1343
.LBB34_1361:
	v_cmp_ne_u16_e32 vcc, 0, v11
	s_andn2_b64 s[4:5], s[4:5], exec
	s_and_b64 s[20:21], vcc, exec
	v_mov_b32_e32 v12, 0
	s_or_b64 s[4:5], s[4:5], s[20:21]
	s_or_b64 exec, exec, s[14:15]
	s_and_saveexec_b64 s[14:15], s[4:5]
	s_cbranch_execnz .LBB34_1344
	s_branch .LBB34_1345
.LBB34_1362:
	s_mov_b64 s[2:3], -1
                                        ; implicit-def: $vgpr11
	s_branch .LBB34_1367
.LBB34_1363:
	s_mov_b64 s[2:3], -1
                                        ; implicit-def: $vgpr11
.LBB34_1364:
	s_and_b64 vcc, exec, s[2:3]
	s_cbranch_vccz .LBB34_1366
; %bb.1365:
	global_load_ubyte v11, v[0:1], off
	s_mov_b32 s2, 0x7f800000
	s_brev_b32 s3, 1
	s_movk_i32 s4, 0x7fff
	s_waitcnt vmcnt(0)
	v_lshlrev_b32_e32 v11, 24, v11
	v_and_b32_e32 v12, 0x7f000000, v11
	v_ffbh_u32_e32 v13, v12
	v_min_u32_e32 v13, 32, v13
	v_sub_u32_e64 v13, v13, 4 clamp
	v_lshlrev_b32_e32 v16, v13, v12
	v_lshlrev_b32_e32 v13, 23, v13
	v_lshrrev_b32_e32 v16, 4, v16
	v_add_u32_e32 v14, 0x1000000, v12
	v_sub_u32_e32 v13, v16, v13
	v_ashrrev_i32_e32 v14, 8, v14
	v_add_u32_e32 v13, 0x3c000000, v13
	v_and_or_b32 v13, v14, s2, v13
	v_cmp_ne_u32_e32 vcc, 0, v12
	v_cndmask_b32_e32 v12, 0, v13, vcc
	v_and_or_b32 v11, v11, s3, v12
	v_bfe_u32 v12, v12, 16, 1
	v_add3_u32 v12, v11, v12, s4
	v_cmp_o_f32_e32 vcc, v11, v11
	v_mov_b32_e32 v11, 0x7fc0
	v_cndmask_b32_sdwa v11, v11, v12, vcc dst_sel:DWORD dst_unused:UNUSED_PAD src0_sel:DWORD src1_sel:WORD_1
.LBB34_1366:
	s_mov_b64 s[2:3], 0
.LBB34_1367:
	s_andn2_b64 vcc, exec, s[2:3]
	s_cbranch_vccnz .LBB34_1369
; %bb.1368:
	global_load_ubyte v11, v[0:1], off
	s_movk_i32 s2, 0x7f00
	s_brev_b32 s3, 16
	s_brev_b32 s4, 1
	s_movk_i32 s5, 0x7fff
	s_waitcnt vmcnt(0)
	v_lshlrev_b16_e32 v12, 8, v11
	v_lshlrev_b32_e32 v11, 25, v11
	v_lshrrev_b32_e32 v13, 4, v11
	v_and_or_b32 v14, v12, s2, 0.5
	v_or_b32_e32 v13, 0x70000000, v13
	v_add_f32_e32 v14, -0.5, v14
	v_mul_f32_e32 v13, 0x7800000, v13
	v_cmp_gt_u32_e32 vcc, s3, v11
	v_bfe_i32 v12, v12, 0, 16
	v_cndmask_b32_e32 v11, v13, v14, vcc
	v_and_or_b32 v12, v12, s4, v11
	v_bfe_u32 v11, v11, 16, 1
	v_add3_u32 v11, v12, v11, s5
	v_cmp_o_f32_e32 vcc, v12, v12
	v_mov_b32_e32 v12, 0x7fc0
	v_cndmask_b32_sdwa v11, v12, v11, vcc dst_sel:DWORD dst_unused:UNUSED_PAD src0_sel:DWORD src1_sel:WORD_1
.LBB34_1369:
	s_mov_b64 s[2:3], 0
	s_mov_b64 s[4:5], -1
.LBB34_1370:
	s_andn2_b64 vcc, exec, s[2:3]
	s_mov_b64 s[2:3], 0
	s_cbranch_vccnz .LBB34_1381
; %bb.1371:
	s_cmp_gt_i32 s22, 14
	s_cbranch_scc0 .LBB34_1374
; %bb.1372:
	s_cmp_eq_u32 s22, 15
	s_cbranch_scc0 .LBB34_1377
; %bb.1373:
	global_load_ushort v11, v[0:1], off
	s_mov_b64 s[0:1], 0
	s_mov_b64 s[4:5], -1
	s_branch .LBB34_1378
.LBB34_1374:
	s_mov_b64 s[14:15], -1
                                        ; implicit-def: $vgpr11
	s_branch .LBB34_1379
.LBB34_1375:
	s_or_saveexec_b64 s[4:5], s[4:5]
	v_mov_b32_e32 v12, 0x7f800001
	s_xor_b64 exec, exec, s[4:5]
	s_cbranch_execz .LBB34_1356
.LBB34_1376:
	v_cmp_ne_u16_e32 vcc, 0, v11
	s_andn2_b64 s[2:3], s[2:3], exec
	s_and_b64 s[14:15], vcc, exec
	v_mov_b32_e32 v12, 0
	s_or_b64 s[2:3], s[2:3], s[14:15]
	s_or_b64 exec, exec, s[4:5]
	s_and_saveexec_b64 s[4:5], s[2:3]
	s_cbranch_execnz .LBB34_1357
	s_branch .LBB34_1358
.LBB34_1377:
	s_mov_b64 s[0:1], -1
                                        ; implicit-def: $vgpr11
.LBB34_1378:
	s_mov_b64 s[14:15], 0
.LBB34_1379:
	s_and_b64 vcc, exec, s[14:15]
	s_cbranch_vccz .LBB34_1381
; %bb.1380:
	s_cmp_lg_u32 s22, 11
	s_mov_b64 s[2:3], -1
	s_cselect_b64 s[0:1], -1, 0
.LBB34_1381:
	s_and_b64 vcc, exec, s[0:1]
	s_cbranch_vccnz .LBB34_1448
; %bb.1382:
	s_andn2_b64 vcc, exec, s[2:3]
	s_cbranch_vccnz .LBB34_1384
.LBB34_1383:
	global_load_ubyte v11, v[0:1], off
	s_mov_b64 s[4:5], -1
	s_waitcnt vmcnt(0)
	v_cmp_ne_u16_e32 vcc, 0, v11
	v_cndmask_b32_e64 v11, 0, 1.0, vcc
	v_lshrrev_b32_e32 v11, 16, v11
.LBB34_1384:
	s_branch .LBB34_1312
.LBB34_1385:
	s_cmp_lt_i32 s22, 5
	s_cbranch_scc1 .LBB34_1390
; %bb.1386:
	s_cmp_lt_i32 s22, 8
	s_cbranch_scc1 .LBB34_1391
; %bb.1387:
	;; [unrolled: 3-line block ×3, first 2 shown]
	s_cmp_gt_i32 s22, 9
	s_cbranch_scc0 .LBB34_1393
; %bb.1389:
	global_load_dwordx2 v[11:12], v[0:1], off
	s_movk_i32 s0, 0x7fff
	s_waitcnt vmcnt(0)
	v_cvt_f32_f64_e32 v11, v[11:12]
	v_mov_b32_e32 v12, 0x7fc0
	v_bfe_u32 v13, v11, 16, 1
	v_cmp_o_f32_e32 vcc, v11, v11
	v_add3_u32 v11, v11, v13, s0
	v_cndmask_b32_sdwa v11, v12, v11, vcc dst_sel:DWORD dst_unused:UNUSED_PAD src0_sel:DWORD src1_sel:WORD_1
	s_mov_b64 s[0:1], 0
	s_branch .LBB34_1394
.LBB34_1390:
	s_mov_b64 s[0:1], -1
                                        ; implicit-def: $vgpr11
	s_branch .LBB34_1412
.LBB34_1391:
	s_mov_b64 s[0:1], -1
                                        ; implicit-def: $vgpr11
	s_branch .LBB34_1400
.LBB34_1392:
	s_mov_b64 s[0:1], -1
                                        ; implicit-def: $vgpr11
	s_branch .LBB34_1397
.LBB34_1393:
	s_mov_b64 s[0:1], -1
                                        ; implicit-def: $vgpr11
.LBB34_1394:
	s_andn2_b64 vcc, exec, s[0:1]
	s_cbranch_vccnz .LBB34_1396
; %bb.1395:
	global_load_dword v11, v[0:1], off
	s_movk_i32 s0, 0x7fff
	v_mov_b32_e32 v12, 0x7fc0
	s_waitcnt vmcnt(0)
	v_bfe_u32 v13, v11, 16, 1
	v_cmp_o_f32_e32 vcc, v11, v11
	v_add3_u32 v11, v11, v13, s0
	v_cndmask_b32_sdwa v11, v12, v11, vcc dst_sel:DWORD dst_unused:UNUSED_PAD src0_sel:DWORD src1_sel:WORD_1
.LBB34_1396:
	s_mov_b64 s[0:1], 0
.LBB34_1397:
	s_andn2_b64 vcc, exec, s[0:1]
	s_cbranch_vccnz .LBB34_1399
; %bb.1398:
	global_load_dword v11, v[0:1], off
	s_movk_i32 s0, 0x7fff
	v_mov_b32_e32 v13, 0x7fc0
	s_waitcnt vmcnt(0)
	v_cvt_f32_f16_e32 v12, v11
	v_cmp_o_f16_e32 vcc, v11, v11
	v_bfe_u32 v11, v12, 16, 1
	v_add3_u32 v11, v12, v11, s0
	v_cndmask_b32_sdwa v11, v13, v11, vcc dst_sel:DWORD dst_unused:UNUSED_PAD src0_sel:DWORD src1_sel:WORD_1
.LBB34_1399:
	s_mov_b64 s[0:1], 0
.LBB34_1400:
	s_andn2_b64 vcc, exec, s[0:1]
	s_cbranch_vccnz .LBB34_1411
; %bb.1401:
	s_cmp_lt_i32 s22, 6
	s_cbranch_scc1 .LBB34_1404
; %bb.1402:
	s_cmp_gt_i32 s22, 6
	s_cbranch_scc0 .LBB34_1405
; %bb.1403:
	global_load_dwordx2 v[11:12], v[0:1], off
	s_movk_i32 s0, 0x7fff
	s_waitcnt vmcnt(0)
	v_cvt_f32_f64_e32 v11, v[11:12]
	v_mov_b32_e32 v12, 0x7fc0
	v_bfe_u32 v13, v11, 16, 1
	v_cmp_o_f32_e32 vcc, v11, v11
	v_add3_u32 v11, v11, v13, s0
	v_cndmask_b32_sdwa v11, v12, v11, vcc dst_sel:DWORD dst_unused:UNUSED_PAD src0_sel:DWORD src1_sel:WORD_1
	s_mov_b64 s[0:1], 0
	s_branch .LBB34_1406
.LBB34_1404:
	s_mov_b64 s[0:1], -1
                                        ; implicit-def: $vgpr11
	s_branch .LBB34_1409
.LBB34_1405:
	s_mov_b64 s[0:1], -1
                                        ; implicit-def: $vgpr11
.LBB34_1406:
	s_andn2_b64 vcc, exec, s[0:1]
	s_cbranch_vccnz .LBB34_1408
; %bb.1407:
	global_load_dword v11, v[0:1], off
	s_movk_i32 s0, 0x7fff
	v_mov_b32_e32 v12, 0x7fc0
	s_waitcnt vmcnt(0)
	v_bfe_u32 v13, v11, 16, 1
	v_cmp_o_f32_e32 vcc, v11, v11
	v_add3_u32 v11, v11, v13, s0
	v_cndmask_b32_sdwa v11, v12, v11, vcc dst_sel:DWORD dst_unused:UNUSED_PAD src0_sel:DWORD src1_sel:WORD_1
.LBB34_1408:
	s_mov_b64 s[0:1], 0
.LBB34_1409:
	s_andn2_b64 vcc, exec, s[0:1]
	s_cbranch_vccnz .LBB34_1411
; %bb.1410:
	global_load_ushort v11, v[0:1], off
	s_movk_i32 s0, 0x7fff
	v_mov_b32_e32 v13, 0x7fc0
	s_waitcnt vmcnt(0)
	v_cvt_f32_f16_e32 v12, v11
	v_cmp_o_f16_e32 vcc, v11, v11
	v_bfe_u32 v11, v12, 16, 1
	v_add3_u32 v11, v12, v11, s0
	v_cndmask_b32_sdwa v11, v13, v11, vcc dst_sel:DWORD dst_unused:UNUSED_PAD src0_sel:DWORD src1_sel:WORD_1
.LBB34_1411:
	s_mov_b64 s[0:1], 0
.LBB34_1412:
	s_andn2_b64 vcc, exec, s[0:1]
	s_cbranch_vccnz .LBB34_1432
; %bb.1413:
	s_cmp_lt_i32 s22, 2
	s_cbranch_scc1 .LBB34_1417
; %bb.1414:
	s_cmp_lt_i32 s22, 3
	s_cbranch_scc1 .LBB34_1418
; %bb.1415:
	s_cmp_gt_i32 s22, 3
	s_cbranch_scc0 .LBB34_1419
; %bb.1416:
	global_load_dwordx2 v[11:12], v[0:1], off
	s_movk_i32 s0, 0x7fff
	s_waitcnt vmcnt(0)
	v_xor_b32_e32 v14, v11, v12
	v_ffbh_i32_e32 v13, v12
	v_ashrrev_i32_e32 v14, 31, v14
	v_add_u32_e32 v13, -1, v13
	v_add_u32_e32 v14, 32, v14
	v_min_u32_e32 v13, v13, v14
	v_lshlrev_b64 v[11:12], v13, v[11:12]
	v_min_u32_e32 v11, 1, v11
	v_or_b32_e32 v11, v12, v11
	v_cvt_f32_i32_e32 v11, v11
	v_sub_u32_e32 v12, 32, v13
	v_ldexp_f32 v11, v11, v12
	v_bfe_u32 v12, v11, 16, 1
	v_add3_u32 v11, v11, v12, s0
	v_lshrrev_b32_e32 v11, 16, v11
	s_mov_b64 s[0:1], 0
	s_branch .LBB34_1420
.LBB34_1417:
	s_mov_b64 s[0:1], -1
                                        ; implicit-def: $vgpr11
	s_branch .LBB34_1426
.LBB34_1418:
	s_mov_b64 s[0:1], -1
                                        ; implicit-def: $vgpr11
	s_branch .LBB34_1423
.LBB34_1419:
	s_mov_b64 s[0:1], -1
                                        ; implicit-def: $vgpr11
.LBB34_1420:
	s_andn2_b64 vcc, exec, s[0:1]
	s_cbranch_vccnz .LBB34_1422
; %bb.1421:
	global_load_dword v11, v[0:1], off
	s_movk_i32 s0, 0x7fff
	s_waitcnt vmcnt(0)
	v_cvt_f32_i32_e32 v11, v11
	v_bfe_u32 v12, v11, 16, 1
	v_add3_u32 v11, v11, v12, s0
	v_lshrrev_b32_e32 v11, 16, v11
.LBB34_1422:
	s_mov_b64 s[0:1], 0
.LBB34_1423:
	s_andn2_b64 vcc, exec, s[0:1]
	s_cbranch_vccnz .LBB34_1425
; %bb.1424:
	global_load_sshort v11, v[0:1], off
	s_movk_i32 s0, 0x7fff
	s_waitcnt vmcnt(0)
	v_cvt_f32_i32_e32 v11, v11
	v_bfe_u32 v12, v11, 16, 1
	v_add3_u32 v11, v11, v12, s0
	v_lshrrev_b32_e32 v11, 16, v11
.LBB34_1425:
	s_mov_b64 s[0:1], 0
.LBB34_1426:
	s_andn2_b64 vcc, exec, s[0:1]
	s_cbranch_vccnz .LBB34_1432
; %bb.1427:
	s_cmp_gt_i32 s22, 0
	s_cbranch_scc0 .LBB34_1429
; %bb.1428:
	global_load_sbyte v11, v[0:1], off
	s_movk_i32 s0, 0x7fff
	s_waitcnt vmcnt(0)
	v_cvt_f32_i32_e32 v11, v11
	v_bfe_u32 v12, v11, 16, 1
	v_add3_u32 v11, v11, v12, s0
	v_lshrrev_b32_e32 v11, 16, v11
	s_mov_b64 s[0:1], 0
	s_branch .LBB34_1430
.LBB34_1429:
	s_mov_b64 s[0:1], -1
                                        ; implicit-def: $vgpr11
.LBB34_1430:
	s_andn2_b64 vcc, exec, s[0:1]
	s_cbranch_vccnz .LBB34_1432
; %bb.1431:
	global_load_ubyte v0, v[0:1], off
	s_movk_i32 s0, 0x7fff
	s_waitcnt vmcnt(0)
	v_cvt_f32_ubyte0_e32 v0, v0
	v_bfe_u32 v1, v0, 16, 1
	v_add3_u32 v0, v0, v1, s0
	v_lshrrev_b32_e32 v11, 16, v0
.LBB34_1432:
.LBB34_1433:
	s_waitcnt vmcnt(0)
	v_lshlrev_b32_e32 v11, 16, v11
	s_brev_b32 s0, 18
	v_and_b32_e32 v12, 0x7fffffff, v11
	v_cmp_nlt_f32_e64 s[0:1], |v11|, s0
                                        ; implicit-def: $vgpr13
                                        ; implicit-def: $vgpr14
	s_and_saveexec_b64 s[2:3], s[0:1]
	s_xor_b64 s[14:15], exec, s[2:3]
	s_cbranch_execz .LBB34_1435
; %bb.1434:
	v_and_b32_e32 v0, 0x7fffff, v12
	v_or_b32_e32 v22, 0x800000, v0
	s_mov_b32 s0, 0xfe5163ab
	v_mad_u64_u32 v[0:1], s[0:1], v22, s0, 0
	v_mov_b32_e32 v14, 0
	s_mov_b32 s0, 0x3c439041
	v_mov_b32_e32 v13, v1
	v_mad_u64_u32 v[16:17], s[0:1], v22, s0, v[13:14]
	s_mov_b32 s0, 0xdb629599
	v_lshrrev_b32_e32 v1, 23, v12
	v_mov_b32_e32 v13, v17
	v_mad_u64_u32 v[17:18], s[0:1], v22, s0, v[13:14]
	s_mov_b32 s0, 0xf534ddc0
	v_add_u32_e32 v1, 0xffffff88, v1
	v_mov_b32_e32 v13, v18
	v_mad_u64_u32 v[18:19], s[0:1], v22, s0, v[13:14]
	s_mov_b32 s0, 0xfc2757d1
	v_not_b32_e32 v21, 63
	v_mov_b32_e32 v13, v19
	v_mad_u64_u32 v[19:20], s[0:1], v22, s0, v[13:14]
	v_cmp_lt_u32_e32 vcc, 63, v1
	v_cndmask_b32_e32 v13, 0, v21, vcc
	v_add_u32_e32 v1, v13, v1
	v_mov_b32_e32 v13, v20
	s_mov_b32 s0, 0x4e441529
	v_mad_u64_u32 v[20:21], s[0:1], v22, s0, v[13:14]
	v_not_b32_e32 v23, 31
	v_cmp_lt_u32_e64 s[0:1], 31, v1
	v_cndmask_b32_e64 v13, 0, v23, s[0:1]
	v_add_u32_e32 v1, v13, v1
	v_mov_b32_e32 v13, v21
	s_mov_b32 s2, 0xa2f9836e
	v_mad_u64_u32 v[13:14], s[2:3], v22, s2, v[13:14]
	v_cmp_lt_u32_e64 s[2:3], 31, v1
	v_cndmask_b32_e64 v21, 0, v23, s[2:3]
	v_add_u32_e32 v1, v21, v1
	v_cndmask_b32_e32 v21, v20, v18, vcc
	v_cndmask_b32_e32 v13, v13, v19, vcc
	;; [unrolled: 1-line block ×3, first 2 shown]
	v_cndmask_b32_e64 v22, v13, v21, s[0:1]
	v_cndmask_b32_e64 v13, v14, v13, s[0:1]
	v_cndmask_b32_e32 v14, v19, v17, vcc
	v_cndmask_b32_e64 v19, v21, v14, s[0:1]
	v_cndmask_b32_e64 v13, v13, v22, s[2:3]
	;; [unrolled: 1-line block ×3, first 2 shown]
	v_sub_u32_e32 v21, 32, v1
	v_alignbit_b32 v22, v13, v20, v21
	v_cmp_eq_u32_e64 s[4:5], 0, v1
	v_cndmask_b32_e64 v1, v22, v13, s[4:5]
	v_cndmask_b32_e32 v13, v18, v16, vcc
	v_cndmask_b32_e64 v14, v14, v13, s[0:1]
	v_cndmask_b32_e64 v16, v19, v14, s[2:3]
	v_alignbit_b32 v18, v20, v16, v21
	v_cndmask_b32_e32 v0, v17, v0, vcc
	v_cndmask_b32_e64 v18, v18, v20, s[4:5]
	v_bfe_u32 v22, v1, 29, 1
	v_cndmask_b32_e64 v0, v13, v0, s[0:1]
	v_alignbit_b32 v19, v1, v18, 30
	v_sub_u32_e32 v23, 0, v22
	v_cndmask_b32_e64 v0, v14, v0, s[2:3]
	v_xor_b32_e32 v19, v19, v23
	v_alignbit_b32 v13, v16, v0, v21
	v_cndmask_b32_e64 v13, v13, v16, s[4:5]
	v_ffbh_u32_e32 v16, v19
	v_alignbit_b32 v14, v18, v13, 30
	v_min_u32_e32 v16, 32, v16
	v_alignbit_b32 v0, v13, v0, 30
	v_xor_b32_e32 v14, v14, v23
	v_sub_u32_e32 v17, 31, v16
	v_xor_b32_e32 v0, v0, v23
	v_alignbit_b32 v18, v19, v14, v17
	v_alignbit_b32 v0, v14, v0, v17
	;; [unrolled: 1-line block ×3, first 2 shown]
	v_ffbh_u32_e32 v14, v13
	v_min_u32_e32 v14, 32, v14
	v_lshrrev_b32_e32 v20, 29, v1
	v_not_b32_e32 v17, v14
	v_alignbit_b32 v0, v13, v0, v17
	v_lshlrev_b32_e32 v13, 31, v20
	v_or_b32_e32 v17, 0x33000000, v13
	v_add_lshl_u32 v14, v14, v16, 23
	v_lshrrev_b32_e32 v0, 9, v0
	v_sub_u32_e32 v14, v17, v14
	v_or_b32_e32 v13, 0.5, v13
	v_lshlrev_b32_e32 v16, 23, v16
	v_or_b32_e32 v0, v14, v0
	v_lshrrev_b32_e32 v14, 9, v18
	v_sub_u32_e32 v13, v13, v16
	v_or_b32_e32 v13, v14, v13
	s_mov_b32 s0, 0x3fc90fda
	v_mul_f32_e32 v14, 0x3fc90fda, v13
	v_fma_f32 v16, v13, s0, -v14
	v_fmac_f32_e32 v16, 0x33a22168, v13
	v_fmac_f32_e32 v16, 0x3fc90fda, v0
	v_lshrrev_b32_e32 v0, 30, v1
	v_add_f32_e32 v14, v14, v16
	v_add_u32_e32 v13, v22, v0
.LBB34_1435:
	s_andn2_saveexec_b64 s[0:1], s[14:15]
	s_cbranch_execz .LBB34_1437
; %bb.1436:
	s_mov_b32 s2, 0x3f22f983
	v_mul_f32_e64 v0, |v11|, s2
	v_rndne_f32_e32 v0, v0
	s_mov_b32 s2, 0xbfc90fda
	v_cvt_i32_f32_e32 v13, v0
	v_fma_f32 v14, v0, s2, |v11|
	v_fmac_f32_e32 v14, 0xb3a22168, v0
	v_fmac_f32_e32 v14, 0xa7c234c4, v0
.LBB34_1437:
	s_or_b64 exec, exec, s[0:1]
	v_add_u32_e32 v0, s13, v15
	v_ashrrev_i32_e32 v1, 31, v0
	v_mov_b32_e32 v15, s11
	v_add_co_u32_e32 v0, vcc, s10, v0
	s_cmp_lt_i32 s22, 11
	v_addc_co_u32_e32 v1, vcc, v15, v1, vcc
	s_cbranch_scc1 .LBB34_1444
; %bb.1438:
	s_cmp_gt_i32 s22, 25
	s_mov_b64 s[2:3], 0
	s_cbranch_scc0 .LBB34_1445
; %bb.1439:
	s_cmp_gt_i32 s22, 28
	s_cbranch_scc0 .LBB34_1446
; %bb.1440:
	s_cmp_gt_i32 s22, 43
	;; [unrolled: 3-line block ×3, first 2 shown]
	s_cbranch_scc0 .LBB34_1449
; %bb.1442:
	s_cmp_eq_u32 s22, 46
	s_mov_b64 s[10:11], 0
	s_cbranch_scc0 .LBB34_1450
; %bb.1443:
	global_load_dword v15, v[0:1], off
	s_mov_b64 s[0:1], 0
	s_mov_b64 s[4:5], -1
	s_branch .LBB34_1451
.LBB34_1444:
	s_mov_b64 s[0:1], -1
	s_mov_b64 s[4:5], 0
                                        ; implicit-def: $vgpr15
	s_branch .LBB34_1517
.LBB34_1445:
	s_mov_b64 s[10:11], -1
	s_mov_b64 s[4:5], 0
	s_mov_b64 s[0:1], 0
                                        ; implicit-def: $vgpr15
	s_branch .LBB34_1480
.LBB34_1446:
	s_mov_b64 s[10:11], -1
	s_mov_b64 s[4:5], 0
	s_mov_b64 s[0:1], 0
                                        ; implicit-def: $vgpr15
	s_branch .LBB34_1461
.LBB34_1447:
	s_mov_b64 s[10:11], -1
	s_mov_b64 s[4:5], 0
	s_mov_b64 s[0:1], 0
                                        ; implicit-def: $vgpr15
	s_branch .LBB34_1456
.LBB34_1448:
	s_trap 2
	s_or_b64 s[18:19], s[18:19], exec
	s_cbranch_execz .LBB34_1383
	s_branch .LBB34_1384
.LBB34_1449:
	s_mov_b64 s[10:11], -1
	s_mov_b64 s[4:5], 0
	s_mov_b64 s[0:1], 0
                                        ; implicit-def: $vgpr15
	s_branch .LBB34_1451
.LBB34_1450:
	s_mov_b64 s[0:1], -1
                                        ; implicit-def: $vgpr15
	s_mov_b64 s[4:5], 0
.LBB34_1451:
	s_and_b64 vcc, exec, s[10:11]
	s_cbranch_vccz .LBB34_1455
; %bb.1452:
	s_cmp_eq_u32 s22, 44
	s_cbranch_scc0 .LBB34_1454
; %bb.1453:
	global_load_ubyte v15, v[0:1], off
	s_movk_i32 s4, 0xff
	v_mov_b32_e32 v16, 0x7f800001
	v_mov_b32_e32 v17, 0x400000
	;; [unrolled: 1-line block ×3, first 2 shown]
	s_mov_b64 s[0:1], 0
	s_waitcnt vmcnt(0)
	v_lshlrev_b32_e32 v19, 23, v15
	v_cmp_ne_u32_e32 vcc, s4, v15
	v_cndmask_b32_e32 v16, v16, v19, vcc
	v_cmp_ne_u32_e32 vcc, 0, v15
	v_cndmask_b32_e32 v15, v17, v16, vcc
	v_add_u32_e32 v16, 0x7fff, v15
	v_cmp_o_f32_e32 vcc, v15, v15
	v_cndmask_b32_sdwa v15, v18, v16, vcc dst_sel:DWORD dst_unused:UNUSED_PAD src0_sel:DWORD src1_sel:WORD_1
	s_mov_b64 s[4:5], -1
	s_branch .LBB34_1455
.LBB34_1454:
	s_mov_b64 s[0:1], -1
                                        ; implicit-def: $vgpr15
.LBB34_1455:
	s_mov_b64 s[10:11], 0
.LBB34_1456:
	s_and_b64 vcc, exec, s[10:11]
	s_cbranch_vccz .LBB34_1460
; %bb.1457:
	s_cmp_eq_u32 s22, 29
	s_cbranch_scc0 .LBB34_1459
; %bb.1458:
	global_load_dwordx2 v[15:16], v[0:1], off
	s_movk_i32 s4, 0x7fff
	s_mov_b64 s[0:1], 0
	s_mov_b64 s[10:11], 0
	s_waitcnt vmcnt(0)
	v_ffbh_u32_e32 v17, v16
	v_min_u32_e32 v17, 32, v17
	v_lshlrev_b64 v[15:16], v17, v[15:16]
	v_min_u32_e32 v15, 1, v15
	v_or_b32_e32 v15, v16, v15
	v_cvt_f32_u32_e32 v15, v15
	v_sub_u32_e32 v16, 32, v17
	v_ldexp_f32 v15, v15, v16
	v_bfe_u32 v16, v15, 16, 1
	v_add3_u32 v15, v15, v16, s4
	v_lshrrev_b32_e32 v15, 16, v15
	s_mov_b64 s[4:5], -1
	s_branch .LBB34_1461
.LBB34_1459:
	s_mov_b64 s[0:1], -1
                                        ; implicit-def: $vgpr15
.LBB34_1460:
	s_mov_b64 s[10:11], 0
.LBB34_1461:
	s_and_b64 vcc, exec, s[10:11]
	s_cbranch_vccz .LBB34_1479
; %bb.1462:
	s_cmp_lt_i32 s22, 27
	s_cbranch_scc1 .LBB34_1465
; %bb.1463:
	s_cmp_gt_i32 s22, 27
	s_cbranch_scc0 .LBB34_1466
; %bb.1464:
	global_load_dword v15, v[0:1], off
	s_movk_i32 s4, 0x7fff
	s_waitcnt vmcnt(0)
	v_cvt_f32_u32_e32 v15, v15
	v_bfe_u32 v16, v15, 16, 1
	v_add3_u32 v15, v15, v16, s4
	v_lshrrev_b32_e32 v15, 16, v15
	s_mov_b64 s[4:5], 0
	s_branch .LBB34_1467
.LBB34_1465:
	s_mov_b64 s[4:5], -1
                                        ; implicit-def: $vgpr15
	s_branch .LBB34_1470
.LBB34_1466:
	s_mov_b64 s[4:5], -1
                                        ; implicit-def: $vgpr15
.LBB34_1467:
	s_andn2_b64 vcc, exec, s[4:5]
	s_cbranch_vccnz .LBB34_1469
; %bb.1468:
	global_load_ushort v15, v[0:1], off
	s_movk_i32 s4, 0x7fff
	s_waitcnt vmcnt(0)
	v_cvt_f32_u32_e32 v15, v15
	v_bfe_u32 v16, v15, 16, 1
	v_add3_u32 v15, v15, v16, s4
	v_lshrrev_b32_e32 v15, 16, v15
.LBB34_1469:
	s_mov_b64 s[4:5], 0
.LBB34_1470:
	s_andn2_b64 vcc, exec, s[4:5]
	s_cbranch_vccnz .LBB34_1478
; %bb.1471:
	global_load_ubyte v15, v[0:1], off
	s_movk_i32 s4, 0x7f
	s_waitcnt vmcnt(0)
	v_cmp_lt_i16_e32 vcc, s4, v15
	s_mov_b64 s[4:5], 0
	s_and_saveexec_b64 s[10:11], vcc
	s_xor_b64 s[10:11], exec, s[10:11]
	s_cbranch_execz .LBB34_1492
; %bb.1472:
	s_movk_i32 s4, 0x80
	v_cmp_eq_u16_e32 vcc, s4, v15
	s_mov_b64 s[4:5], -1
	s_and_saveexec_b64 s[14:15], vcc
; %bb.1473:
	s_xor_b64 s[4:5], exec, -1
; %bb.1474:
	s_or_b64 exec, exec, s[14:15]
	s_and_b64 s[4:5], s[4:5], exec
	s_or_saveexec_b64 s[10:11], s[10:11]
	v_mov_b32_e32 v16, 0x7f800001
	s_xor_b64 exec, exec, s[10:11]
	s_cbranch_execnz .LBB34_1493
.LBB34_1475:
	s_or_b64 exec, exec, s[10:11]
	s_and_saveexec_b64 s[10:11], s[4:5]
	s_cbranch_execz .LBB34_1477
.LBB34_1476:
	v_lshlrev_b32_e32 v16, 24, v15
	v_and_b32_e32 v15, 0xffff, v15
	v_and_b32_e32 v17, 7, v15
	v_ffbh_u32_e32 v19, v17
	v_min_u32_e32 v19, 32, v19
	v_subrev_u32_e32 v20, 28, v19
	v_bfe_u32 v18, v15, 3, 4
	v_lshlrev_b32_e32 v15, v20, v15
	v_sub_u32_e32 v19, 29, v19
	v_and_b32_e32 v15, 7, v15
	v_cmp_eq_u32_e32 vcc, 0, v18
	v_cndmask_b32_e32 v18, v18, v19, vcc
	v_cndmask_b32_e32 v15, v17, v15, vcc
	v_mov_b32_e32 v17, 0x3b800000
	v_lshlrev_b32_e32 v15, 20, v15
	v_and_b32_e32 v16, 0x80000000, v16
	v_lshl_add_u32 v17, v18, 23, v17
	v_or3_b32 v16, v16, v17, v15
.LBB34_1477:
	s_or_b64 exec, exec, s[10:11]
	v_bfe_u32 v15, v16, 16, 1
	s_movk_i32 s4, 0x7fff
	v_add3_u32 v15, v16, v15, s4
	v_cmp_o_f32_e32 vcc, v16, v16
	v_mov_b32_e32 v16, 0x7fc0
	v_cndmask_b32_sdwa v15, v16, v15, vcc dst_sel:DWORD dst_unused:UNUSED_PAD src0_sel:DWORD src1_sel:WORD_1
.LBB34_1478:
	s_mov_b64 s[4:5], -1
.LBB34_1479:
	s_mov_b64 s[10:11], 0
.LBB34_1480:
	s_and_b64 vcc, exec, s[10:11]
	s_cbranch_vccz .LBB34_1513
; %bb.1481:
	s_cmp_gt_i32 s22, 22
	s_cbranch_scc0 .LBB34_1491
; %bb.1482:
	s_cmp_lt_i32 s22, 24
	s_cbranch_scc1 .LBB34_1494
; %bb.1483:
	s_cmp_gt_i32 s22, 24
	s_cbranch_scc0 .LBB34_1495
; %bb.1484:
	global_load_ubyte v15, v[0:1], off
	s_movk_i32 s2, 0x7f
	s_waitcnt vmcnt(0)
	v_cmp_lt_i16_e32 vcc, s2, v15
	s_mov_b64 s[2:3], 0
	s_and_saveexec_b64 s[4:5], vcc
	s_xor_b64 s[4:5], exec, s[4:5]
	s_cbranch_execz .LBB34_1507
; %bb.1485:
	s_movk_i32 s2, 0x80
	v_cmp_eq_u16_e32 vcc, s2, v15
	s_mov_b64 s[2:3], -1
	s_and_saveexec_b64 s[10:11], vcc
; %bb.1486:
	s_xor_b64 s[2:3], exec, -1
; %bb.1487:
	s_or_b64 exec, exec, s[10:11]
	s_and_b64 s[2:3], s[2:3], exec
	s_or_saveexec_b64 s[4:5], s[4:5]
	v_mov_b32_e32 v16, 0x7f800001
	s_xor_b64 exec, exec, s[4:5]
	s_cbranch_execnz .LBB34_1508
.LBB34_1488:
	s_or_b64 exec, exec, s[4:5]
	s_and_saveexec_b64 s[4:5], s[2:3]
	s_cbranch_execz .LBB34_1490
.LBB34_1489:
	v_lshlrev_b32_e32 v16, 24, v15
	v_and_b32_e32 v15, 0xffff, v15
	v_and_b32_e32 v17, 3, v15
	v_ffbh_u32_e32 v19, v17
	v_min_u32_e32 v19, 32, v19
	v_subrev_u32_e32 v20, 29, v19
	v_bfe_u32 v18, v15, 2, 5
	v_lshlrev_b32_e32 v15, v20, v15
	v_sub_u32_e32 v19, 30, v19
	v_and_b32_e32 v15, 3, v15
	v_cmp_eq_u32_e32 vcc, 0, v18
	v_cndmask_b32_e32 v18, v18, v19, vcc
	v_cndmask_b32_e32 v15, v17, v15, vcc
	v_mov_b32_e32 v17, 0x37800000
	v_lshlrev_b32_e32 v15, 21, v15
	v_and_b32_e32 v16, 0x80000000, v16
	v_lshl_add_u32 v17, v18, 23, v17
	v_or3_b32 v16, v16, v17, v15
.LBB34_1490:
	s_or_b64 exec, exec, s[4:5]
	v_bfe_u32 v15, v16, 16, 1
	s_movk_i32 s2, 0x7fff
	v_add3_u32 v15, v16, v15, s2
	v_cmp_o_f32_e32 vcc, v16, v16
	v_mov_b32_e32 v16, 0x7fc0
	v_cndmask_b32_sdwa v15, v16, v15, vcc dst_sel:DWORD dst_unused:UNUSED_PAD src0_sel:DWORD src1_sel:WORD_1
	s_mov_b64 s[2:3], 0
	s_branch .LBB34_1496
.LBB34_1491:
	s_mov_b64 s[2:3], -1
                                        ; implicit-def: $vgpr15
	s_branch .LBB34_1502
.LBB34_1492:
	s_or_saveexec_b64 s[10:11], s[10:11]
	v_mov_b32_e32 v16, 0x7f800001
	s_xor_b64 exec, exec, s[10:11]
	s_cbranch_execz .LBB34_1475
.LBB34_1493:
	v_cmp_ne_u16_e32 vcc, 0, v15
	s_andn2_b64 s[4:5], s[4:5], exec
	s_and_b64 s[14:15], vcc, exec
	v_mov_b32_e32 v16, 0
	s_or_b64 s[4:5], s[4:5], s[14:15]
	s_or_b64 exec, exec, s[10:11]
	s_and_saveexec_b64 s[10:11], s[4:5]
	s_cbranch_execnz .LBB34_1476
	s_branch .LBB34_1477
.LBB34_1494:
	s_mov_b64 s[2:3], -1
                                        ; implicit-def: $vgpr15
	s_branch .LBB34_1499
.LBB34_1495:
	s_mov_b64 s[2:3], -1
                                        ; implicit-def: $vgpr15
.LBB34_1496:
	s_and_b64 vcc, exec, s[2:3]
	s_cbranch_vccz .LBB34_1498
; %bb.1497:
	global_load_ubyte v15, v[0:1], off
	s_mov_b32 s2, 0x7f800000
	s_brev_b32 s3, 1
	s_movk_i32 s4, 0x7fff
	s_waitcnt vmcnt(0)
	v_lshlrev_b32_e32 v15, 24, v15
	v_and_b32_e32 v16, 0x7f000000, v15
	v_ffbh_u32_e32 v17, v16
	v_min_u32_e32 v17, 32, v17
	v_sub_u32_e64 v17, v17, 4 clamp
	v_lshlrev_b32_e32 v19, v17, v16
	v_lshlrev_b32_e32 v17, 23, v17
	v_lshrrev_b32_e32 v19, 4, v19
	v_add_u32_e32 v18, 0x1000000, v16
	v_sub_u32_e32 v17, v19, v17
	v_ashrrev_i32_e32 v18, 8, v18
	v_add_u32_e32 v17, 0x3c000000, v17
	v_and_or_b32 v17, v18, s2, v17
	v_cmp_ne_u32_e32 vcc, 0, v16
	v_cndmask_b32_e32 v16, 0, v17, vcc
	v_and_or_b32 v15, v15, s3, v16
	v_bfe_u32 v16, v16, 16, 1
	v_add3_u32 v16, v15, v16, s4
	v_cmp_o_f32_e32 vcc, v15, v15
	v_mov_b32_e32 v15, 0x7fc0
	v_cndmask_b32_sdwa v15, v15, v16, vcc dst_sel:DWORD dst_unused:UNUSED_PAD src0_sel:DWORD src1_sel:WORD_1
.LBB34_1498:
	s_mov_b64 s[2:3], 0
.LBB34_1499:
	s_andn2_b64 vcc, exec, s[2:3]
	s_cbranch_vccnz .LBB34_1501
; %bb.1500:
	global_load_ubyte v15, v[0:1], off
	s_movk_i32 s2, 0x7f00
	s_brev_b32 s3, 16
	s_brev_b32 s4, 1
	s_movk_i32 s5, 0x7fff
	s_waitcnt vmcnt(0)
	v_lshlrev_b16_e32 v16, 8, v15
	v_lshlrev_b32_e32 v15, 25, v15
	v_lshrrev_b32_e32 v17, 4, v15
	v_and_or_b32 v18, v16, s2, 0.5
	v_or_b32_e32 v17, 0x70000000, v17
	v_add_f32_e32 v18, -0.5, v18
	v_mul_f32_e32 v17, 0x7800000, v17
	v_cmp_gt_u32_e32 vcc, s3, v15
	v_bfe_i32 v16, v16, 0, 16
	v_cndmask_b32_e32 v15, v17, v18, vcc
	v_and_or_b32 v16, v16, s4, v15
	v_bfe_u32 v15, v15, 16, 1
	v_add3_u32 v15, v16, v15, s5
	v_cmp_o_f32_e32 vcc, v16, v16
	v_mov_b32_e32 v16, 0x7fc0
	v_cndmask_b32_sdwa v15, v16, v15, vcc dst_sel:DWORD dst_unused:UNUSED_PAD src0_sel:DWORD src1_sel:WORD_1
.LBB34_1501:
	s_mov_b64 s[2:3], 0
	s_mov_b64 s[4:5], -1
.LBB34_1502:
	s_andn2_b64 vcc, exec, s[2:3]
	s_mov_b64 s[2:3], 0
	s_cbranch_vccnz .LBB34_1513
; %bb.1503:
	s_cmp_gt_i32 s22, 14
	s_cbranch_scc0 .LBB34_1506
; %bb.1504:
	s_cmp_eq_u32 s22, 15
	s_cbranch_scc0 .LBB34_1509
; %bb.1505:
	global_load_ushort v15, v[0:1], off
	s_mov_b64 s[0:1], 0
	s_mov_b64 s[4:5], -1
	s_branch .LBB34_1510
.LBB34_1506:
	s_mov_b64 s[10:11], -1
                                        ; implicit-def: $vgpr15
	s_branch .LBB34_1511
.LBB34_1507:
	s_or_saveexec_b64 s[4:5], s[4:5]
	v_mov_b32_e32 v16, 0x7f800001
	s_xor_b64 exec, exec, s[4:5]
	s_cbranch_execz .LBB34_1488
.LBB34_1508:
	v_cmp_ne_u16_e32 vcc, 0, v15
	s_andn2_b64 s[2:3], s[2:3], exec
	s_and_b64 s[10:11], vcc, exec
	v_mov_b32_e32 v16, 0
	s_or_b64 s[2:3], s[2:3], s[10:11]
	s_or_b64 exec, exec, s[4:5]
	s_and_saveexec_b64 s[4:5], s[2:3]
	s_cbranch_execnz .LBB34_1489
	s_branch .LBB34_1490
.LBB34_1509:
	s_mov_b64 s[0:1], -1
                                        ; implicit-def: $vgpr15
.LBB34_1510:
	s_mov_b64 s[10:11], 0
.LBB34_1511:
	s_and_b64 vcc, exec, s[10:11]
	s_cbranch_vccz .LBB34_1513
; %bb.1512:
	s_cmp_lg_u32 s22, 11
	s_mov_b64 s[2:3], -1
	s_cselect_b64 s[0:1], -1, 0
.LBB34_1513:
	s_and_b64 vcc, exec, s[0:1]
	s_cbranch_vccnz .LBB34_2050
; %bb.1514:
	s_andn2_b64 vcc, exec, s[2:3]
	s_cbranch_vccnz .LBB34_1516
.LBB34_1515:
	global_load_ubyte v15, v[0:1], off
	s_mov_b64 s[4:5], -1
	s_waitcnt vmcnt(0)
	v_cmp_ne_u16_e32 vcc, 0, v15
	v_cndmask_b32_e64 v15, 0, 1.0, vcc
	v_lshrrev_b32_e32 v15, 16, v15
.LBB34_1516:
	s_mov_b64 s[0:1], 0
.LBB34_1517:
	s_and_b64 vcc, exec, s[0:1]
	s_cbranch_vccz .LBB34_1566
; %bb.1518:
	s_cmp_lt_i32 s22, 5
	s_cbranch_scc1 .LBB34_1523
; %bb.1519:
	s_cmp_lt_i32 s22, 8
	s_cbranch_scc1 .LBB34_1524
	;; [unrolled: 3-line block ×3, first 2 shown]
; %bb.1521:
	s_cmp_gt_i32 s22, 9
	s_cbranch_scc0 .LBB34_1526
; %bb.1522:
	global_load_dwordx2 v[15:16], v[0:1], off
	s_movk_i32 s0, 0x7fff
	s_waitcnt vmcnt(0)
	v_cvt_f32_f64_e32 v15, v[15:16]
	v_mov_b32_e32 v16, 0x7fc0
	v_bfe_u32 v17, v15, 16, 1
	v_cmp_o_f32_e32 vcc, v15, v15
	v_add3_u32 v15, v15, v17, s0
	v_cndmask_b32_sdwa v15, v16, v15, vcc dst_sel:DWORD dst_unused:UNUSED_PAD src0_sel:DWORD src1_sel:WORD_1
	s_mov_b64 s[0:1], 0
	s_branch .LBB34_1527
.LBB34_1523:
	s_mov_b64 s[0:1], -1
                                        ; implicit-def: $vgpr15
	s_branch .LBB34_1545
.LBB34_1524:
	s_mov_b64 s[0:1], -1
                                        ; implicit-def: $vgpr15
	s_branch .LBB34_1533
.LBB34_1525:
	s_mov_b64 s[0:1], -1
                                        ; implicit-def: $vgpr15
	s_branch .LBB34_1530
.LBB34_1526:
	s_mov_b64 s[0:1], -1
                                        ; implicit-def: $vgpr15
.LBB34_1527:
	s_andn2_b64 vcc, exec, s[0:1]
	s_cbranch_vccnz .LBB34_1529
; %bb.1528:
	global_load_dword v15, v[0:1], off
	s_movk_i32 s0, 0x7fff
	v_mov_b32_e32 v16, 0x7fc0
	s_waitcnt vmcnt(0)
	v_bfe_u32 v17, v15, 16, 1
	v_cmp_o_f32_e32 vcc, v15, v15
	v_add3_u32 v15, v15, v17, s0
	v_cndmask_b32_sdwa v15, v16, v15, vcc dst_sel:DWORD dst_unused:UNUSED_PAD src0_sel:DWORD src1_sel:WORD_1
.LBB34_1529:
	s_mov_b64 s[0:1], 0
.LBB34_1530:
	s_andn2_b64 vcc, exec, s[0:1]
	s_cbranch_vccnz .LBB34_1532
; %bb.1531:
	global_load_dword v15, v[0:1], off
	s_movk_i32 s0, 0x7fff
	v_mov_b32_e32 v17, 0x7fc0
	s_waitcnt vmcnt(0)
	v_cvt_f32_f16_e32 v16, v15
	v_cmp_o_f16_e32 vcc, v15, v15
	v_bfe_u32 v15, v16, 16, 1
	v_add3_u32 v15, v16, v15, s0
	v_cndmask_b32_sdwa v15, v17, v15, vcc dst_sel:DWORD dst_unused:UNUSED_PAD src0_sel:DWORD src1_sel:WORD_1
.LBB34_1532:
	s_mov_b64 s[0:1], 0
.LBB34_1533:
	s_andn2_b64 vcc, exec, s[0:1]
	s_cbranch_vccnz .LBB34_1544
; %bb.1534:
	s_cmp_lt_i32 s22, 6
	s_cbranch_scc1 .LBB34_1537
; %bb.1535:
	s_cmp_gt_i32 s22, 6
	s_cbranch_scc0 .LBB34_1538
; %bb.1536:
	global_load_dwordx2 v[15:16], v[0:1], off
	s_movk_i32 s0, 0x7fff
	s_waitcnt vmcnt(0)
	v_cvt_f32_f64_e32 v15, v[15:16]
	v_mov_b32_e32 v16, 0x7fc0
	v_bfe_u32 v17, v15, 16, 1
	v_cmp_o_f32_e32 vcc, v15, v15
	v_add3_u32 v15, v15, v17, s0
	v_cndmask_b32_sdwa v15, v16, v15, vcc dst_sel:DWORD dst_unused:UNUSED_PAD src0_sel:DWORD src1_sel:WORD_1
	s_mov_b64 s[0:1], 0
	s_branch .LBB34_1539
.LBB34_1537:
	s_mov_b64 s[0:1], -1
                                        ; implicit-def: $vgpr15
	s_branch .LBB34_1542
.LBB34_1538:
	s_mov_b64 s[0:1], -1
                                        ; implicit-def: $vgpr15
.LBB34_1539:
	s_andn2_b64 vcc, exec, s[0:1]
	s_cbranch_vccnz .LBB34_1541
; %bb.1540:
	global_load_dword v15, v[0:1], off
	s_movk_i32 s0, 0x7fff
	v_mov_b32_e32 v16, 0x7fc0
	s_waitcnt vmcnt(0)
	v_bfe_u32 v17, v15, 16, 1
	v_cmp_o_f32_e32 vcc, v15, v15
	v_add3_u32 v15, v15, v17, s0
	v_cndmask_b32_sdwa v15, v16, v15, vcc dst_sel:DWORD dst_unused:UNUSED_PAD src0_sel:DWORD src1_sel:WORD_1
.LBB34_1541:
	s_mov_b64 s[0:1], 0
.LBB34_1542:
	s_andn2_b64 vcc, exec, s[0:1]
	s_cbranch_vccnz .LBB34_1544
; %bb.1543:
	global_load_ushort v15, v[0:1], off
	s_movk_i32 s0, 0x7fff
	v_mov_b32_e32 v17, 0x7fc0
	s_waitcnt vmcnt(0)
	v_cvt_f32_f16_e32 v16, v15
	v_cmp_o_f16_e32 vcc, v15, v15
	v_bfe_u32 v15, v16, 16, 1
	v_add3_u32 v15, v16, v15, s0
	v_cndmask_b32_sdwa v15, v17, v15, vcc dst_sel:DWORD dst_unused:UNUSED_PAD src0_sel:DWORD src1_sel:WORD_1
.LBB34_1544:
	s_mov_b64 s[0:1], 0
.LBB34_1545:
	s_andn2_b64 vcc, exec, s[0:1]
	s_cbranch_vccnz .LBB34_1565
; %bb.1546:
	s_cmp_lt_i32 s22, 2
	s_cbranch_scc1 .LBB34_1550
; %bb.1547:
	s_cmp_lt_i32 s22, 3
	s_cbranch_scc1 .LBB34_1551
; %bb.1548:
	s_cmp_gt_i32 s22, 3
	s_cbranch_scc0 .LBB34_1552
; %bb.1549:
	global_load_dwordx2 v[15:16], v[0:1], off
	s_movk_i32 s0, 0x7fff
	s_waitcnt vmcnt(0)
	v_xor_b32_e32 v18, v15, v16
	v_ffbh_i32_e32 v17, v16
	v_ashrrev_i32_e32 v18, 31, v18
	v_add_u32_e32 v17, -1, v17
	v_add_u32_e32 v18, 32, v18
	v_min_u32_e32 v17, v17, v18
	v_lshlrev_b64 v[15:16], v17, v[15:16]
	v_min_u32_e32 v15, 1, v15
	v_or_b32_e32 v15, v16, v15
	v_cvt_f32_i32_e32 v15, v15
	v_sub_u32_e32 v16, 32, v17
	v_ldexp_f32 v15, v15, v16
	v_bfe_u32 v16, v15, 16, 1
	v_add3_u32 v15, v15, v16, s0
	v_lshrrev_b32_e32 v15, 16, v15
	s_mov_b64 s[0:1], 0
	s_branch .LBB34_1553
.LBB34_1550:
	s_mov_b64 s[0:1], -1
                                        ; implicit-def: $vgpr15
	s_branch .LBB34_1559
.LBB34_1551:
	s_mov_b64 s[0:1], -1
                                        ; implicit-def: $vgpr15
	s_branch .LBB34_1556
.LBB34_1552:
	s_mov_b64 s[0:1], -1
                                        ; implicit-def: $vgpr15
.LBB34_1553:
	s_andn2_b64 vcc, exec, s[0:1]
	s_cbranch_vccnz .LBB34_1555
; %bb.1554:
	global_load_dword v15, v[0:1], off
	s_movk_i32 s0, 0x7fff
	s_waitcnt vmcnt(0)
	v_cvt_f32_i32_e32 v15, v15
	v_bfe_u32 v16, v15, 16, 1
	v_add3_u32 v15, v15, v16, s0
	v_lshrrev_b32_e32 v15, 16, v15
.LBB34_1555:
	s_mov_b64 s[0:1], 0
.LBB34_1556:
	s_andn2_b64 vcc, exec, s[0:1]
	s_cbranch_vccnz .LBB34_1558
; %bb.1557:
	global_load_sshort v15, v[0:1], off
	s_movk_i32 s0, 0x7fff
	s_waitcnt vmcnt(0)
	v_cvt_f32_i32_e32 v15, v15
	v_bfe_u32 v16, v15, 16, 1
	v_add3_u32 v15, v15, v16, s0
	v_lshrrev_b32_e32 v15, 16, v15
.LBB34_1558:
	s_mov_b64 s[0:1], 0
.LBB34_1559:
	s_andn2_b64 vcc, exec, s[0:1]
	s_cbranch_vccnz .LBB34_1565
; %bb.1560:
	s_cmp_gt_i32 s22, 0
	s_cbranch_scc0 .LBB34_1562
; %bb.1561:
	global_load_sbyte v15, v[0:1], off
	s_movk_i32 s0, 0x7fff
	s_waitcnt vmcnt(0)
	v_cvt_f32_i32_e32 v15, v15
	v_bfe_u32 v16, v15, 16, 1
	v_add3_u32 v15, v15, v16, s0
	v_lshrrev_b32_e32 v15, 16, v15
	s_mov_b64 s[0:1], 0
	s_branch .LBB34_1563
.LBB34_1562:
	s_mov_b64 s[0:1], -1
                                        ; implicit-def: $vgpr15
.LBB34_1563:
	s_andn2_b64 vcc, exec, s[0:1]
	s_cbranch_vccnz .LBB34_1565
; %bb.1564:
	global_load_ubyte v0, v[0:1], off
	s_movk_i32 s0, 0x7fff
	s_waitcnt vmcnt(0)
	v_cvt_f32_ubyte0_e32 v0, v0
	v_bfe_u32 v1, v0, 16, 1
	v_add3_u32 v0, v0, v1, s0
	v_lshrrev_b32_e32 v15, 16, v0
.LBB34_1565:
	s_mov_b64 s[4:5], -1
.LBB34_1566:
	s_andn2_b64 vcc, exec, s[4:5]
	s_cbranch_vccnz .LBB34_2004
; %bb.1567:
	s_waitcnt vmcnt(0)
	v_lshlrev_b32_e32 v15, 16, v15
	s_brev_b32 s0, 18
	v_and_b32_e32 v16, 0x7fffffff, v15
	v_cmp_nlt_f32_e64 s[0:1], |v15|, s0
                                        ; implicit-def: $vgpr17
                                        ; implicit-def: $vgpr18
	s_and_saveexec_b64 s[2:3], s[0:1]
	s_xor_b64 s[10:11], exec, s[2:3]
	s_cbranch_execz .LBB34_1569
; %bb.1568:
	v_and_b32_e32 v0, 0x7fffff, v16
	v_or_b32_e32 v25, 0x800000, v0
	s_mov_b32 s0, 0xfe5163ab
	v_mad_u64_u32 v[0:1], s[0:1], v25, s0, 0
	v_mov_b32_e32 v18, 0
	s_mov_b32 s0, 0x3c439041
	v_mov_b32_e32 v17, v1
	v_mad_u64_u32 v[19:20], s[0:1], v25, s0, v[17:18]
	s_mov_b32 s0, 0xdb629599
	v_lshrrev_b32_e32 v1, 23, v16
	v_mov_b32_e32 v17, v20
	v_mad_u64_u32 v[20:21], s[0:1], v25, s0, v[17:18]
	s_mov_b32 s0, 0xf534ddc0
	v_add_u32_e32 v1, 0xffffff88, v1
	v_mov_b32_e32 v17, v21
	v_mad_u64_u32 v[21:22], s[0:1], v25, s0, v[17:18]
	s_mov_b32 s0, 0xfc2757d1
	v_not_b32_e32 v24, 63
	v_mov_b32_e32 v17, v22
	v_mad_u64_u32 v[22:23], s[0:1], v25, s0, v[17:18]
	v_cmp_lt_u32_e32 vcc, 63, v1
	v_cndmask_b32_e32 v17, 0, v24, vcc
	v_add_u32_e32 v1, v17, v1
	v_mov_b32_e32 v17, v23
	s_mov_b32 s0, 0x4e441529
	v_mad_u64_u32 v[23:24], s[0:1], v25, s0, v[17:18]
	v_not_b32_e32 v26, 31
	v_cmp_lt_u32_e64 s[0:1], 31, v1
	v_cndmask_b32_e64 v17, 0, v26, s[0:1]
	v_add_u32_e32 v1, v17, v1
	v_mov_b32_e32 v17, v24
	s_mov_b32 s2, 0xa2f9836e
	v_mad_u64_u32 v[17:18], s[2:3], v25, s2, v[17:18]
	v_cmp_lt_u32_e64 s[2:3], 31, v1
	v_cndmask_b32_e64 v24, 0, v26, s[2:3]
	v_add_u32_e32 v1, v24, v1
	v_cndmask_b32_e32 v24, v23, v21, vcc
	v_cndmask_b32_e32 v17, v17, v22, vcc
	;; [unrolled: 1-line block ×3, first 2 shown]
	v_cndmask_b32_e64 v25, v17, v24, s[0:1]
	v_cndmask_b32_e64 v17, v18, v17, s[0:1]
	v_cndmask_b32_e32 v18, v22, v20, vcc
	v_cndmask_b32_e64 v22, v24, v18, s[0:1]
	v_cndmask_b32_e64 v17, v17, v25, s[2:3]
	;; [unrolled: 1-line block ×3, first 2 shown]
	v_sub_u32_e32 v24, 32, v1
	v_alignbit_b32 v25, v17, v23, v24
	v_cmp_eq_u32_e64 s[4:5], 0, v1
	v_cndmask_b32_e64 v1, v25, v17, s[4:5]
	v_cndmask_b32_e32 v17, v21, v19, vcc
	v_cndmask_b32_e64 v18, v18, v17, s[0:1]
	v_cndmask_b32_e64 v19, v22, v18, s[2:3]
	v_alignbit_b32 v21, v23, v19, v24
	v_cndmask_b32_e32 v0, v20, v0, vcc
	v_cndmask_b32_e64 v21, v21, v23, s[4:5]
	v_bfe_u32 v25, v1, 29, 1
	v_cndmask_b32_e64 v0, v17, v0, s[0:1]
	v_alignbit_b32 v22, v1, v21, 30
	v_sub_u32_e32 v26, 0, v25
	v_cndmask_b32_e64 v0, v18, v0, s[2:3]
	v_xor_b32_e32 v22, v22, v26
	v_alignbit_b32 v17, v19, v0, v24
	v_cndmask_b32_e64 v17, v17, v19, s[4:5]
	v_ffbh_u32_e32 v19, v22
	v_alignbit_b32 v18, v21, v17, 30
	v_min_u32_e32 v19, 32, v19
	v_alignbit_b32 v0, v17, v0, 30
	v_xor_b32_e32 v18, v18, v26
	v_sub_u32_e32 v20, 31, v19
	v_xor_b32_e32 v0, v0, v26
	v_alignbit_b32 v21, v22, v18, v20
	v_alignbit_b32 v0, v18, v0, v20
	;; [unrolled: 1-line block ×3, first 2 shown]
	v_ffbh_u32_e32 v18, v17
	v_min_u32_e32 v18, 32, v18
	v_lshrrev_b32_e32 v23, 29, v1
	v_not_b32_e32 v20, v18
	v_alignbit_b32 v0, v17, v0, v20
	v_lshlrev_b32_e32 v17, 31, v23
	v_or_b32_e32 v20, 0x33000000, v17
	v_add_lshl_u32 v18, v18, v19, 23
	v_lshrrev_b32_e32 v0, 9, v0
	v_sub_u32_e32 v18, v20, v18
	v_or_b32_e32 v17, 0.5, v17
	v_lshlrev_b32_e32 v19, 23, v19
	v_or_b32_e32 v0, v18, v0
	v_lshrrev_b32_e32 v18, 9, v21
	v_sub_u32_e32 v17, v17, v19
	v_or_b32_e32 v17, v18, v17
	s_mov_b32 s0, 0x3fc90fda
	v_mul_f32_e32 v18, 0x3fc90fda, v17
	v_fma_f32 v19, v17, s0, -v18
	v_fmac_f32_e32 v19, 0x33a22168, v17
	v_fmac_f32_e32 v19, 0x3fc90fda, v0
	v_lshrrev_b32_e32 v0, 30, v1
	v_add_f32_e32 v18, v18, v19
	v_add_u32_e32 v17, v25, v0
.LBB34_1569:
	s_andn2_saveexec_b64 s[0:1], s[10:11]
	s_cbranch_execz .LBB34_1571
; %bb.1570:
	s_mov_b32 s2, 0x3f22f983
	v_mul_f32_e64 v0, |v15|, s2
	v_rndne_f32_e32 v0, v0
	s_mov_b32 s2, 0xbfc90fda
	v_cvt_i32_f32_e32 v17, v0
	v_fma_f32 v18, v0, s2, |v15|
	v_fmac_f32_e32 v18, 0xb3a22168, v0
	v_fmac_f32_e32 v18, 0xa7c234c4, v0
.LBB34_1571:
	s_or_b64 exec, exec, s[0:1]
	v_mul_f32_e32 v0, v6, v6
	v_mov_b32_e32 v1, 0x3c0881c4
	v_fmac_f32_e32 v1, 0xb94c1982, v0
	v_mov_b32_e32 v19, 0xbe2aaa9d
	v_fmac_f32_e32 v19, v0, v1
	v_mul_f32_e32 v1, v0, v19
	v_fmac_f32_e32 v6, v6, v1
	v_mov_b32_e32 v1, 0xbab64f3b
	v_fmac_f32_e32 v1, 0x37d75334, v0
	v_mov_b32_e32 v19, 0x3d2aabf7
	;; [unrolled: 2-line block ×3, first 2 shown]
	v_fmac_f32_e32 v1, v0, v19
	v_fma_f32 v0, v0, v1, 1.0
	v_and_b32_e32 v1, 1, v5
	v_cmp_eq_u32_e32 vcc, 0, v1
	v_lshlrev_b32_e32 v1, 30, v5
	v_and_b32_e32 v1, 0x80000000, v1
	v_cndmask_b32_e32 v0, v0, v6, vcc
	v_xor_b32_e32 v1, v4, v1
	v_xor_b32_e32 v0, v1, v0
	s_movk_i32 s0, 0x1f8
	v_xor_b32_e32 v0, v0, v3
	v_mov_b32_e32 v1, 0x7fc00000
	v_cmp_class_f32_e64 vcc, v3, s0
	v_mul_lo_u32 v2, s12, v2
	v_cndmask_b32_e32 v0, v1, v0, vcc
	v_bfe_u32 v1, v0, 16, 1
	s_movk_i32 s0, 0x7fff
	v_add3_u32 v1, v0, v1, s0
	v_cmp_o_f32_e32 vcc, v0, v0
	v_mov_b32_e32 v0, 0x7fc0
	v_cndmask_b32_sdwa v3, v0, v1, vcc dst_sel:DWORD dst_unused:UNUSED_PAD src0_sel:DWORD src1_sel:WORD_1
	v_ashrrev_i32_e32 v1, 31, v2
	v_mov_b32_e32 v4, s9
	s_and_b32 s20, s33, 0xff
	v_add_co_u32_e32 v0, vcc, s8, v2
	s_cmp_lt_i32 s20, 11
	v_addc_co_u32_e32 v1, vcc, v4, v1, vcc
	s_cbranch_scc1 .LBB34_1649
; %bb.1572:
	s_and_b32 s13, 0xffff, s20
	s_mov_b64 s[10:11], -1
	s_mov_b64 s[2:3], 0
	s_cmp_gt_i32 s13, 25
	s_mov_b64 s[4:5], 0
	s_mov_b64 s[0:1], 0
	s_cbranch_scc0 .LBB34_1605
; %bb.1573:
	s_cmp_gt_i32 s13, 28
	s_cbranch_scc0 .LBB34_1588
; %bb.1574:
	s_cmp_gt_i32 s13, 43
	;; [unrolled: 3-line block ×3, first 2 shown]
	s_cbranch_scc0 .LBB34_1578
; %bb.1576:
	s_mov_b64 s[0:1], -1
	s_mov_b64 s[10:11], 0
	s_cmp_eq_u32 s13, 46
	s_cbranch_scc0 .LBB34_1578
; %bb.1577:
	v_and_b32_e32 v4, 0xffff, v3
	global_store_dword v[0:1], v4, off
	s_mov_b64 s[0:1], 0
	s_mov_b64 s[4:5], -1
.LBB34_1578:
	s_and_b64 vcc, exec, s[10:11]
	s_cbranch_vccz .LBB34_1583
; %bb.1579:
	s_cmp_eq_u32 s13, 44
	s_mov_b64 s[0:1], -1
	s_cbranch_scc0 .LBB34_1583
; %bb.1580:
	v_and_b32_e32 v5, 0xffff, v3
	v_bfe_u32 v4, v5, 7, 8
	s_movk_i32 s0, 0xff
	v_cmp_ne_u32_e32 vcc, s0, v4
	v_mov_b32_e32 v6, 0xff
	s_and_saveexec_b64 s[4:5], vcc
	s_cbranch_execz .LBB34_1582
; %bb.1581:
	v_lshlrev_b32_e32 v19, 16, v5
	s_mov_b32 s0, 0x3f0000
	v_lshrrev_b32_e32 v6, 7, v5
	v_and_b32_e32 v5, 64, v5
	v_and_or_b32 v4, v19, s0, v4
	v_cmp_ne_u32_e32 vcc, 0, v5
	v_cmp_ne_u32_e64 s[0:1], 0, v4
	s_and_b64 s[0:1], vcc, s[0:1]
	v_cndmask_b32_e64 v4, 0, 1, s[0:1]
	v_add_u32_e32 v6, v6, v4
.LBB34_1582:
	s_or_b64 exec, exec, s[4:5]
	s_mov_b64 s[0:1], 0
	s_mov_b64 s[4:5], -1
	global_store_byte v[0:1], v6, off
.LBB34_1583:
	s_mov_b64 s[10:11], 0
.LBB34_1584:
	s_and_b64 vcc, exec, s[10:11]
	s_cbranch_vccz .LBB34_1587
; %bb.1585:
	s_cmp_eq_u32 s13, 29
	s_mov_b64 s[0:1], -1
	s_cbranch_scc0 .LBB34_1587
; %bb.1586:
	v_lshlrev_b32_e32 v4, 16, v3
	v_trunc_f32_e32 v4, v4
	v_mul_f32_e32 v5, 0x2f800000, v4
	v_floor_f32_e32 v6, v5
	v_fmac_f32_e32 v4, 0xcf800000, v6
	v_cvt_u32_f32_e32 v5, v6
	v_cvt_u32_f32_e32 v4, v4
	s_mov_b64 s[0:1], 0
	s_mov_b64 s[4:5], -1
	global_store_dwordx2 v[0:1], v[4:5], off
.LBB34_1587:
	s_mov_b64 s[10:11], 0
.LBB34_1588:
	s_and_b64 vcc, exec, s[10:11]
	s_cbranch_vccz .LBB34_1604
; %bb.1589:
	s_cmp_lt_i32 s13, 27
	s_mov_b64 s[4:5], -1
	s_cbranch_scc1 .LBB34_1595
; %bb.1590:
	s_cmp_gt_i32 s13, 27
	s_cbranch_scc0 .LBB34_1592
; %bb.1591:
	v_lshlrev_b32_e32 v4, 16, v3
	v_cvt_u32_f32_e32 v4, v4
	s_mov_b64 s[4:5], 0
	global_store_dword v[0:1], v4, off
.LBB34_1592:
	s_andn2_b64 vcc, exec, s[4:5]
	s_cbranch_vccnz .LBB34_1594
; %bb.1593:
	v_lshlrev_b32_e32 v4, 16, v3
	v_cvt_u32_f32_e32 v4, v4
	global_store_short v[0:1], v4, off
.LBB34_1594:
	s_mov_b64 s[4:5], 0
.LBB34_1595:
	s_andn2_b64 vcc, exec, s[4:5]
	s_cbranch_vccnz .LBB34_1603
; %bb.1596:
	v_lshlrev_b32_e32 v6, 16, v3
	v_and_b32_e32 v5, 0x7fffffff, v6
	s_mov_b32 s4, 0x43800000
	v_cmp_gt_u32_e32 vcc, s4, v5
	v_mov_b32_e32 v19, 0x80
	s_and_saveexec_b64 s[4:5], vcc
	s_cbranch_execz .LBB34_1602
; %bb.1597:
	s_mov_b32 s10, 0x3bffffff
	v_and_b32_e32 v4, 0xffff, v3
	v_cmp_lt_u32_e32 vcc, s10, v5
	s_mov_b64 s[10:11], 0
                                        ; implicit-def: $vgpr5
	s_and_saveexec_b64 s[14:15], vcc
	s_xor_b64 s[14:15], exec, s[14:15]
	s_cbranch_execz .LBB34_2051
; %bb.1598:
	v_bfe_u32 v5, v4, 4, 1
	s_mov_b32 s21, 0x487ffff
	v_add3_u32 v5, v6, v5, s21
	s_mov_b64 s[10:11], exec
	v_lshrrev_b32_e32 v5, 20, v5
                                        ; implicit-def: $vgpr6
	s_andn2_saveexec_b64 s[14:15], s[14:15]
	s_cbranch_execnz .LBB34_2052
.LBB34_1599:
	s_or_b64 exec, exec, s[14:15]
	v_mov_b32_e32 v19, 0
	s_and_saveexec_b64 s[14:15], s[10:11]
.LBB34_1600:
	v_lshrrev_b32_e32 v4, 8, v4
	s_movk_i32 s10, 0x80
	v_and_or_b32 v19, v4, s10, v5
.LBB34_1601:
	s_or_b64 exec, exec, s[14:15]
.LBB34_1602:
	s_or_b64 exec, exec, s[4:5]
	global_store_byte v[0:1], v19, off
.LBB34_1603:
	s_mov_b64 s[4:5], -1
.LBB34_1604:
	s_mov_b64 s[10:11], 0
.LBB34_1605:
	s_and_b64 vcc, exec, s[10:11]
	s_cbranch_vccz .LBB34_1645
; %bb.1606:
	s_cmp_gt_i32 s13, 22
	s_mov_b64 s[2:3], -1
	s_cbranch_scc0 .LBB34_1638
; %bb.1607:
	s_cmp_lt_i32 s13, 24
	s_cbranch_scc1 .LBB34_1627
; %bb.1608:
	s_cmp_gt_i32 s13, 24
	s_cbranch_scc0 .LBB34_1616
; %bb.1609:
	v_lshlrev_b32_e32 v6, 16, v3
	v_and_b32_e32 v5, 0x7fffffff, v6
	s_mov_b32 s2, 0x47800000
	v_cmp_gt_u32_e32 vcc, s2, v5
	v_mov_b32_e32 v19, 0x80
	s_and_saveexec_b64 s[2:3], vcc
	s_cbranch_execz .LBB34_1615
; %bb.1610:
	s_mov_b32 s4, 0x37ffffff
	v_and_b32_e32 v4, 0xffff, v3
	v_cmp_lt_u32_e32 vcc, s4, v5
	s_mov_b64 s[4:5], 0
                                        ; implicit-def: $vgpr5
	s_and_saveexec_b64 s[10:11], vcc
	s_xor_b64 s[10:11], exec, s[10:11]
	s_cbranch_execz .LBB34_2054
; %bb.1611:
	v_bfe_u32 v5, v4, 5, 1
	s_mov_b32 s14, 0x88fffff
	v_add3_u32 v5, v6, v5, s14
	s_mov_b64 s[4:5], exec
	v_lshrrev_b32_e32 v5, 21, v5
                                        ; implicit-def: $vgpr6
	s_andn2_saveexec_b64 s[10:11], s[10:11]
	s_cbranch_execnz .LBB34_2055
.LBB34_1612:
	s_or_b64 exec, exec, s[10:11]
	v_mov_b32_e32 v19, 0
	s_and_saveexec_b64 s[10:11], s[4:5]
.LBB34_1613:
	v_lshrrev_b32_e32 v4, 8, v4
	s_movk_i32 s4, 0x80
	v_and_or_b32 v19, v4, s4, v5
.LBB34_1614:
	s_or_b64 exec, exec, s[10:11]
.LBB34_1615:
	s_or_b64 exec, exec, s[2:3]
	s_mov_b64 s[2:3], 0
	global_store_byte v[0:1], v19, off
.LBB34_1616:
	s_and_b64 vcc, exec, s[2:3]
	s_cbranch_vccz .LBB34_1626
; %bb.1617:
	v_lshlrev_b32_e32 v6, 16, v3
	v_and_b32_e32 v19, 0x7fffffff, v6
	s_mov_b32 s2, 0x43f00000
	v_and_b32_e32 v4, 0xffff, v3
	v_cmp_gt_u32_e32 vcc, s2, v19
                                        ; implicit-def: $vgpr5
	s_and_saveexec_b64 s[2:3], vcc
	s_xor_b64 s[2:3], exec, s[2:3]
	s_cbranch_execz .LBB34_1623
; %bb.1618:
	s_mov_b32 s4, 0x3c7fffff
	v_cmp_lt_u32_e32 vcc, s4, v19
                                        ; implicit-def: $vgpr5
	s_and_saveexec_b64 s[4:5], vcc
	s_xor_b64 s[4:5], exec, s[4:5]
; %bb.1619:
	v_bfe_u32 v5, v4, 4, 1
	s_mov_b32 s10, 0x407ffff
	v_add3_u32 v5, v6, v5, s10
	v_lshrrev_b32_e32 v6, 20, v5
	v_and_b32_e32 v5, 0xff00000, v5
	s_mov_b32 s10, 0x7f00000
	v_mov_b32_e32 v19, 0x7e
	v_cmp_ne_u32_e32 vcc, s10, v5
	v_cndmask_b32_e32 v5, v19, v6, vcc
                                        ; implicit-def: $vgpr6
; %bb.1620:
	s_andn2_saveexec_b64 s[4:5], s[4:5]
; %bb.1621:
	s_mov_b32 s10, 0x46800000
	v_add_f32_e64 v5, |v6|, s10
; %bb.1622:
	s_or_b64 exec, exec, s[4:5]
                                        ; implicit-def: $vgpr19
.LBB34_1623:
	s_andn2_saveexec_b64 s[2:3], s[2:3]
; %bb.1624:
	s_mov_b32 s4, 0x7f800000
	v_mov_b32_e32 v5, 0x7e
	v_mov_b32_e32 v6, 0x7f
	v_cmp_lt_u32_e32 vcc, s4, v19
	v_cndmask_b32_e32 v5, v5, v6, vcc
; %bb.1625:
	s_or_b64 exec, exec, s[2:3]
	v_lshrrev_b32_e32 v4, 8, v4
	s_movk_i32 s2, 0x80
	v_and_or_b32 v4, v4, s2, v5
	global_store_byte v[0:1], v4, off
.LBB34_1626:
	s_mov_b64 s[2:3], 0
.LBB34_1627:
	s_andn2_b64 vcc, exec, s[2:3]
	s_cbranch_vccnz .LBB34_1637
; %bb.1628:
	v_lshlrev_b32_e32 v6, 16, v3
	v_and_b32_e32 v19, 0x7fffffff, v6
	s_mov_b32 s2, 0x47800000
	v_and_b32_e32 v4, 0xffff, v3
	v_cmp_gt_u32_e32 vcc, s2, v19
                                        ; implicit-def: $vgpr5
	s_and_saveexec_b64 s[2:3], vcc
	s_xor_b64 s[2:3], exec, s[2:3]
	s_cbranch_execz .LBB34_1634
; %bb.1629:
	s_mov_b32 s4, 0x387fffff
	v_cmp_lt_u32_e32 vcc, s4, v19
                                        ; implicit-def: $vgpr5
	s_and_saveexec_b64 s[4:5], vcc
	s_xor_b64 s[4:5], exec, s[4:5]
; %bb.1630:
	v_bfe_u32 v5, v4, 5, 1
	s_mov_b32 s10, 0x80fffff
	v_add3_u32 v5, v6, v5, s10
	v_lshrrev_b32_e32 v5, 21, v5
                                        ; implicit-def: $vgpr6
; %bb.1631:
	s_andn2_saveexec_b64 s[4:5], s[4:5]
; %bb.1632:
	s_mov_b32 s10, 0x43000000
	v_add_f32_e64 v5, |v6|, s10
; %bb.1633:
	s_or_b64 exec, exec, s[4:5]
                                        ; implicit-def: $vgpr19
.LBB34_1634:
	s_andn2_saveexec_b64 s[2:3], s[2:3]
; %bb.1635:
	s_mov_b32 s4, 0x7f800000
	v_mov_b32_e32 v5, 0x7c
	v_mov_b32_e32 v6, 0x7f
	v_cmp_lt_u32_e32 vcc, s4, v19
	v_cndmask_b32_e32 v5, v5, v6, vcc
; %bb.1636:
	s_or_b64 exec, exec, s[2:3]
	v_lshrrev_b32_e32 v4, 8, v4
	s_movk_i32 s2, 0x80
	v_and_or_b32 v4, v4, s2, v5
	global_store_byte v[0:1], v4, off
.LBB34_1637:
	s_mov_b64 s[2:3], 0
	s_mov_b64 s[4:5], -1
.LBB34_1638:
	s_andn2_b64 vcc, exec, s[2:3]
	s_mov_b64 s[2:3], 0
	s_cbranch_vccnz .LBB34_1645
; %bb.1639:
	s_cmp_gt_i32 s13, 14
	s_mov_b64 s[10:11], -1
	s_cbranch_scc0 .LBB34_1643
; %bb.1640:
	s_cmp_eq_u32 s13, 15
	s_mov_b64 s[0:1], -1
	s_cbranch_scc0 .LBB34_1642
; %bb.1641:
	global_store_short v[0:1], v3, off
	s_mov_b64 s[0:1], 0
	s_mov_b64 s[4:5], -1
.LBB34_1642:
	s_mov_b64 s[10:11], 0
.LBB34_1643:
	s_and_b64 vcc, exec, s[10:11]
	s_cbranch_vccz .LBB34_1645
; %bb.1644:
	s_cmp_lg_u32 s13, 11
	s_mov_b64 s[2:3], -1
	s_cselect_b64 s[0:1], -1, 0
.LBB34_1645:
	s_and_b64 vcc, exec, s[0:1]
	s_cbranch_vccnz .LBB34_2053
; %bb.1646:
	s_andn2_b64 vcc, exec, s[2:3]
	s_cbranch_vccnz .LBB34_1648
.LBB34_1647:
	v_and_b32_e32 v4, 0x7fff, v3
	v_cmp_ne_u16_e32 vcc, 0, v4
	v_cndmask_b32_e64 v4, 0, 1, vcc
	s_mov_b64 s[4:5], -1
	global_store_byte v[0:1], v4, off
.LBB34_1648:
	s_mov_b64 s[0:1], 0
	s_branch .LBB34_1650
.LBB34_1649:
	s_mov_b64 s[0:1], -1
	s_mov_b64 s[4:5], 0
.LBB34_1650:
	s_and_b64 vcc, exec, s[0:1]
	s_cbranch_vccz .LBB34_1689
; %bb.1651:
	s_and_b32 s2, 0xffff, s20
	s_cmp_lt_i32 s2, 5
	s_mov_b64 s[0:1], -1
	s_cbranch_scc1 .LBB34_1672
; %bb.1652:
	s_cmp_lt_i32 s2, 8
	s_cbranch_scc1 .LBB34_1662
; %bb.1653:
	s_cmp_lt_i32 s2, 9
	s_cbranch_scc1 .LBB34_1659
; %bb.1654:
	s_cmp_gt_i32 s2, 9
	s_cbranch_scc0 .LBB34_1656
; %bb.1655:
	v_lshlrev_b32_e32 v4, 16, v3
	v_cvt_f64_f32_e32 v[19:20], v4
	v_mov_b32_e32 v21, 0
	v_mov_b32_e32 v22, v21
	s_mov_b64 s[0:1], 0
	global_store_dwordx4 v[0:1], v[19:22], off
.LBB34_1656:
	s_andn2_b64 vcc, exec, s[0:1]
	s_cbranch_vccnz .LBB34_1658
; %bb.1657:
	v_lshlrev_b32_e32 v4, 16, v3
	v_mov_b32_e32 v5, 0
	global_store_dwordx2 v[0:1], v[4:5], off
.LBB34_1658:
	s_mov_b64 s[0:1], 0
.LBB34_1659:
	s_andn2_b64 vcc, exec, s[0:1]
	s_cbranch_vccnz .LBB34_1661
; %bb.1660:
	v_lshlrev_b32_e32 v4, 16, v3
	v_cvt_f16_f32_e32 v4, v4
	global_store_dword v[0:1], v4, off
.LBB34_1661:
	s_mov_b64 s[0:1], 0
.LBB34_1662:
	s_andn2_b64 vcc, exec, s[0:1]
	s_cbranch_vccnz .LBB34_1671
; %bb.1663:
	s_cmp_lt_i32 s2, 6
	s_mov_b64 s[0:1], -1
	s_cbranch_scc1 .LBB34_1669
; %bb.1664:
	s_cmp_gt_i32 s2, 6
	s_cbranch_scc0 .LBB34_1666
; %bb.1665:
	v_lshlrev_b32_e32 v4, 16, v3
	v_cvt_f64_f32_e32 v[4:5], v4
	s_mov_b64 s[0:1], 0
	global_store_dwordx2 v[0:1], v[4:5], off
.LBB34_1666:
	s_andn2_b64 vcc, exec, s[0:1]
	s_cbranch_vccnz .LBB34_1668
; %bb.1667:
	v_lshlrev_b32_e32 v4, 16, v3
	global_store_dword v[0:1], v4, off
.LBB34_1668:
	s_mov_b64 s[0:1], 0
.LBB34_1669:
	s_andn2_b64 vcc, exec, s[0:1]
	s_cbranch_vccnz .LBB34_1671
; %bb.1670:
	v_lshlrev_b32_e32 v4, 16, v3
	v_cvt_f16_f32_e32 v4, v4
	global_store_short v[0:1], v4, off
.LBB34_1671:
	s_mov_b64 s[0:1], 0
.LBB34_1672:
	s_andn2_b64 vcc, exec, s[0:1]
	s_cbranch_vccnz .LBB34_1688
; %bb.1673:
	s_cmp_lt_i32 s2, 2
	s_mov_b64 s[0:1], -1
	s_cbranch_scc1 .LBB34_1683
; %bb.1674:
	s_cmp_lt_i32 s2, 3
	s_cbranch_scc1 .LBB34_1680
; %bb.1675:
	s_cmp_gt_i32 s2, 3
	s_cbranch_scc0 .LBB34_1677
; %bb.1676:
	v_lshlrev_b32_e32 v4, 16, v3
	v_trunc_f32_e32 v4, v4
	s_mov_b32 s0, 0x2f800000
	v_mul_f32_e64 v5, |v4|, s0
	v_floor_f32_e32 v5, v5
	s_mov_b32 s0, 0xcf800000
	v_cvt_u32_f32_e32 v6, v5
	v_fma_f32 v5, v5, s0, |v4|
	v_cvt_u32_f32_e32 v5, v5
	v_ashrrev_i32_e32 v19, 31, v4
	v_xor_b32_e32 v6, v6, v19
	s_mov_b64 s[0:1], 0
	v_xor_b32_e32 v4, v5, v19
	v_sub_co_u32_e32 v4, vcc, v4, v19
	v_subb_co_u32_e32 v5, vcc, v6, v19, vcc
	global_store_dwordx2 v[0:1], v[4:5], off
.LBB34_1677:
	s_andn2_b64 vcc, exec, s[0:1]
	s_cbranch_vccnz .LBB34_1679
; %bb.1678:
	v_lshlrev_b32_e32 v4, 16, v3
	v_cvt_i32_f32_e32 v4, v4
	global_store_dword v[0:1], v4, off
.LBB34_1679:
	s_mov_b64 s[0:1], 0
.LBB34_1680:
	s_andn2_b64 vcc, exec, s[0:1]
	s_cbranch_vccnz .LBB34_1682
; %bb.1681:
	v_lshlrev_b32_e32 v4, 16, v3
	v_cvt_i32_f32_e32 v4, v4
	global_store_short v[0:1], v4, off
.LBB34_1682:
	s_mov_b64 s[0:1], 0
.LBB34_1683:
	s_andn2_b64 vcc, exec, s[0:1]
	s_cbranch_vccnz .LBB34_1688
; %bb.1684:
	s_mov_b64 s[0:1], -1
	s_cmp_gt_i32 s2, 0
	v_lshlrev_b32_e32 v3, 16, v3
	s_cbranch_scc0 .LBB34_1686
; %bb.1685:
	v_cvt_i32_f32_e32 v4, v3
	s_mov_b64 s[0:1], 0
	global_store_byte v[0:1], v4, off
.LBB34_1686:
	s_andn2_b64 vcc, exec, s[0:1]
	s_cbranch_vccnz .LBB34_1688
; %bb.1687:
	v_trunc_f32_e32 v3, v3
	s_mov_b32 s0, 0x2f800000
	v_mul_f32_e64 v4, |v3|, s0
	v_floor_f32_e32 v4, v4
	s_mov_b32 s0, 0xcf800000
	v_fma_f32 v4, v4, s0, |v3|
	v_cvt_u32_f32_e32 v4, v4
	v_ashrrev_i32_e32 v3, 31, v3
	v_xor_b32_e32 v4, v4, v3
	v_sub_u32_e32 v3, v4, v3
	global_store_byte v[0:1], v3, off
.LBB34_1688:
	s_mov_b64 s[4:5], -1
.LBB34_1689:
	s_andn2_b64 vcc, exec, s[4:5]
	s_cbranch_vccnz .LBB34_2004
; %bb.1690:
	v_mul_f32_e32 v0, v10, v10
	v_mov_b32_e32 v1, 0x3c0881c4
	v_fmac_f32_e32 v1, 0xb94c1982, v0
	v_mov_b32_e32 v3, 0xbe2aaa9d
	v_fmac_f32_e32 v3, v0, v1
	v_mul_f32_e32 v1, v0, v3
	v_fmac_f32_e32 v10, v10, v1
	v_mov_b32_e32 v1, 0xbab64f3b
	v_fmac_f32_e32 v1, 0x37d75334, v0
	v_mov_b32_e32 v3, 0x3d2aabf7
	;; [unrolled: 2-line block ×3, first 2 shown]
	v_fmac_f32_e32 v1, v0, v3
	v_fma_f32 v0, v0, v1, 1.0
	v_and_b32_e32 v1, 1, v9
	v_cmp_eq_u32_e32 vcc, 0, v1
	v_lshlrev_b32_e32 v1, 30, v9
	v_and_b32_e32 v1, 0x80000000, v1
	v_cndmask_b32_e32 v0, v0, v10, vcc
	v_xor_b32_e32 v1, v8, v1
	v_xor_b32_e32 v0, v1, v0
	s_movk_i32 s0, 0x1f8
	v_xor_b32_e32 v0, v0, v7
	v_mov_b32_e32 v1, 0x7fc00000
	v_cmp_class_f32_e64 vcc, v7, s0
	v_cndmask_b32_e32 v0, v1, v0, vcc
	v_bfe_u32 v1, v0, 16, 1
	s_movk_i32 s0, 0x7fff
	v_add3_u32 v1, v0, v1, s0
	s_lshl_b32 s14, s12, 7
	v_lshrrev_b32_e32 v1, 16, v1
	v_mov_b32_e32 v3, 0x7fc0
	v_cmp_o_f32_e32 vcc, v0, v0
	v_add_u32_e32 v2, s14, v2
	v_cndmask_b32_e32 v3, v3, v1, vcc
	v_ashrrev_i32_e32 v1, 31, v2
	v_mov_b32_e32 v4, s9
	v_add_co_u32_e32 v0, vcc, s8, v2
	s_cmp_lt_i32 s20, 11
	v_addc_co_u32_e32 v1, vcc, v4, v1, vcc
	s_cbranch_scc1 .LBB34_1768
; %bb.1691:
	s_and_b32 s15, 0xffff, s20
	s_mov_b64 s[10:11], -1
	s_mov_b64 s[2:3], 0
	s_cmp_gt_i32 s15, 25
	s_mov_b64 s[4:5], 0
	s_mov_b64 s[0:1], 0
	s_cbranch_scc0 .LBB34_1724
; %bb.1692:
	s_cmp_gt_i32 s15, 28
	s_cbranch_scc0 .LBB34_1707
; %bb.1693:
	s_cmp_gt_i32 s15, 43
	;; [unrolled: 3-line block ×3, first 2 shown]
	s_cbranch_scc0 .LBB34_1697
; %bb.1695:
	s_mov_b64 s[0:1], -1
	s_mov_b64 s[10:11], 0
	s_cmp_eq_u32 s15, 46
	s_cbranch_scc0 .LBB34_1697
; %bb.1696:
	v_and_b32_e32 v4, 0xffff, v3
	global_store_dword v[0:1], v4, off
	s_mov_b64 s[0:1], 0
	s_mov_b64 s[4:5], -1
.LBB34_1697:
	s_and_b64 vcc, exec, s[10:11]
	s_cbranch_vccz .LBB34_1702
; %bb.1698:
	s_cmp_eq_u32 s15, 44
	s_mov_b64 s[0:1], -1
	s_cbranch_scc0 .LBB34_1702
; %bb.1699:
	v_and_b32_e32 v5, 0xffff, v3
	v_bfe_u32 v4, v5, 7, 8
	s_movk_i32 s0, 0xff
	v_cmp_ne_u32_e32 vcc, s0, v4
	v_mov_b32_e32 v6, 0xff
	s_and_saveexec_b64 s[4:5], vcc
	s_cbranch_execz .LBB34_1701
; %bb.1700:
	v_lshlrev_b32_e32 v7, 16, v5
	s_mov_b32 s0, 0x3f0000
	v_lshrrev_b32_e32 v6, 7, v5
	v_and_b32_e32 v5, 64, v5
	v_and_or_b32 v4, v7, s0, v4
	v_cmp_ne_u32_e32 vcc, 0, v5
	v_cmp_ne_u32_e64 s[0:1], 0, v4
	s_and_b64 s[0:1], vcc, s[0:1]
	v_cndmask_b32_e64 v4, 0, 1, s[0:1]
	v_add_u32_e32 v6, v6, v4
.LBB34_1701:
	s_or_b64 exec, exec, s[4:5]
	s_mov_b64 s[0:1], 0
	s_mov_b64 s[4:5], -1
	global_store_byte v[0:1], v6, off
.LBB34_1702:
	s_mov_b64 s[10:11], 0
.LBB34_1703:
	s_and_b64 vcc, exec, s[10:11]
	s_cbranch_vccz .LBB34_1706
; %bb.1704:
	s_cmp_eq_u32 s15, 29
	s_mov_b64 s[0:1], -1
	s_cbranch_scc0 .LBB34_1706
; %bb.1705:
	v_lshlrev_b32_e32 v4, 16, v3
	v_trunc_f32_e32 v4, v4
	v_mul_f32_e32 v5, 0x2f800000, v4
	v_floor_f32_e32 v6, v5
	v_fmac_f32_e32 v4, 0xcf800000, v6
	v_cvt_u32_f32_e32 v5, v6
	v_cvt_u32_f32_e32 v4, v4
	s_mov_b64 s[0:1], 0
	s_mov_b64 s[4:5], -1
	global_store_dwordx2 v[0:1], v[4:5], off
.LBB34_1706:
	s_mov_b64 s[10:11], 0
.LBB34_1707:
	s_and_b64 vcc, exec, s[10:11]
	s_cbranch_vccz .LBB34_1723
; %bb.1708:
	s_cmp_lt_i32 s15, 27
	s_mov_b64 s[4:5], -1
	s_cbranch_scc1 .LBB34_1714
; %bb.1709:
	s_cmp_gt_i32 s15, 27
	s_cbranch_scc0 .LBB34_1711
; %bb.1710:
	v_lshlrev_b32_e32 v4, 16, v3
	v_cvt_u32_f32_e32 v4, v4
	s_mov_b64 s[4:5], 0
	global_store_dword v[0:1], v4, off
.LBB34_1711:
	s_andn2_b64 vcc, exec, s[4:5]
	s_cbranch_vccnz .LBB34_1713
; %bb.1712:
	v_lshlrev_b32_e32 v4, 16, v3
	v_cvt_u32_f32_e32 v4, v4
	global_store_short v[0:1], v4, off
.LBB34_1713:
	s_mov_b64 s[4:5], 0
.LBB34_1714:
	s_andn2_b64 vcc, exec, s[4:5]
	s_cbranch_vccnz .LBB34_1722
; %bb.1715:
	v_lshlrev_b32_e32 v6, 16, v3
	v_and_b32_e32 v5, 0x7fffffff, v6
	s_mov_b32 s4, 0x43800000
	v_cmp_gt_u32_e32 vcc, s4, v5
	v_mov_b32_e32 v7, 0x80
	s_and_saveexec_b64 s[4:5], vcc
	s_cbranch_execz .LBB34_1721
; %bb.1716:
	s_mov_b32 s10, 0x3bffffff
	v_and_b32_e32 v4, 0xffff, v3
	v_cmp_lt_u32_e32 vcc, s10, v5
	s_mov_b64 s[10:11], 0
                                        ; implicit-def: $vgpr5
	s_and_saveexec_b64 s[12:13], vcc
	s_xor_b64 s[12:13], exec, s[12:13]
	s_cbranch_execz .LBB34_2056
; %bb.1717:
	v_bfe_u32 v5, v4, 4, 1
	s_mov_b32 s21, 0x487ffff
	v_add3_u32 v5, v6, v5, s21
	s_mov_b64 s[10:11], exec
	v_lshrrev_b32_e32 v5, 20, v5
                                        ; implicit-def: $vgpr6
	s_andn2_saveexec_b64 s[12:13], s[12:13]
	s_cbranch_execnz .LBB34_2057
.LBB34_1718:
	s_or_b64 exec, exec, s[12:13]
	v_mov_b32_e32 v7, 0
	s_and_saveexec_b64 s[12:13], s[10:11]
.LBB34_1719:
	v_lshrrev_b32_e32 v4, 8, v4
	s_movk_i32 s10, 0x80
	v_and_or_b32 v7, v4, s10, v5
.LBB34_1720:
	s_or_b64 exec, exec, s[12:13]
.LBB34_1721:
	s_or_b64 exec, exec, s[4:5]
	global_store_byte v[0:1], v7, off
.LBB34_1722:
	s_mov_b64 s[4:5], -1
.LBB34_1723:
	s_mov_b64 s[10:11], 0
.LBB34_1724:
	s_and_b64 vcc, exec, s[10:11]
	s_cbranch_vccz .LBB34_1764
; %bb.1725:
	s_cmp_gt_i32 s15, 22
	s_mov_b64 s[2:3], -1
	s_cbranch_scc0 .LBB34_1757
; %bb.1726:
	s_cmp_lt_i32 s15, 24
	s_cbranch_scc1 .LBB34_1746
; %bb.1727:
	s_cmp_gt_i32 s15, 24
	s_cbranch_scc0 .LBB34_1735
; %bb.1728:
	v_lshlrev_b32_e32 v6, 16, v3
	v_and_b32_e32 v5, 0x7fffffff, v6
	s_mov_b32 s2, 0x47800000
	v_cmp_gt_u32_e32 vcc, s2, v5
	v_mov_b32_e32 v7, 0x80
	s_and_saveexec_b64 s[2:3], vcc
	s_cbranch_execz .LBB34_1734
; %bb.1729:
	s_mov_b32 s4, 0x37ffffff
	v_and_b32_e32 v4, 0xffff, v3
	v_cmp_lt_u32_e32 vcc, s4, v5
	s_mov_b64 s[4:5], 0
                                        ; implicit-def: $vgpr5
	s_and_saveexec_b64 s[10:11], vcc
	s_xor_b64 s[10:11], exec, s[10:11]
	s_cbranch_execz .LBB34_2059
; %bb.1730:
	v_bfe_u32 v5, v4, 5, 1
	s_mov_b32 s12, 0x88fffff
	v_add3_u32 v5, v6, v5, s12
	s_mov_b64 s[4:5], exec
	v_lshrrev_b32_e32 v5, 21, v5
                                        ; implicit-def: $vgpr6
	s_andn2_saveexec_b64 s[10:11], s[10:11]
	s_cbranch_execnz .LBB34_2060
.LBB34_1731:
	s_or_b64 exec, exec, s[10:11]
	v_mov_b32_e32 v7, 0
	s_and_saveexec_b64 s[10:11], s[4:5]
.LBB34_1732:
	v_lshrrev_b32_e32 v4, 8, v4
	s_movk_i32 s4, 0x80
	v_and_or_b32 v7, v4, s4, v5
.LBB34_1733:
	s_or_b64 exec, exec, s[10:11]
.LBB34_1734:
	s_or_b64 exec, exec, s[2:3]
	s_mov_b64 s[2:3], 0
	global_store_byte v[0:1], v7, off
.LBB34_1735:
	s_and_b64 vcc, exec, s[2:3]
	s_cbranch_vccz .LBB34_1745
; %bb.1736:
	v_lshlrev_b32_e32 v6, 16, v3
	v_and_b32_e32 v7, 0x7fffffff, v6
	s_mov_b32 s2, 0x43f00000
	v_and_b32_e32 v4, 0xffff, v3
	v_cmp_gt_u32_e32 vcc, s2, v7
                                        ; implicit-def: $vgpr5
	s_and_saveexec_b64 s[2:3], vcc
	s_xor_b64 s[2:3], exec, s[2:3]
	s_cbranch_execz .LBB34_1742
; %bb.1737:
	s_mov_b32 s4, 0x3c7fffff
	v_cmp_lt_u32_e32 vcc, s4, v7
                                        ; implicit-def: $vgpr5
	s_and_saveexec_b64 s[4:5], vcc
	s_xor_b64 s[4:5], exec, s[4:5]
; %bb.1738:
	v_bfe_u32 v5, v4, 4, 1
	s_mov_b32 s10, 0x407ffff
	v_add3_u32 v5, v6, v5, s10
	v_lshrrev_b32_e32 v6, 20, v5
	v_and_b32_e32 v5, 0xff00000, v5
	s_mov_b32 s10, 0x7f00000
	v_mov_b32_e32 v7, 0x7e
	v_cmp_ne_u32_e32 vcc, s10, v5
	v_cndmask_b32_e32 v5, v7, v6, vcc
                                        ; implicit-def: $vgpr6
; %bb.1739:
	s_andn2_saveexec_b64 s[4:5], s[4:5]
; %bb.1740:
	s_mov_b32 s10, 0x46800000
	v_add_f32_e64 v5, |v6|, s10
; %bb.1741:
	s_or_b64 exec, exec, s[4:5]
                                        ; implicit-def: $vgpr7
.LBB34_1742:
	s_andn2_saveexec_b64 s[2:3], s[2:3]
; %bb.1743:
	s_mov_b32 s4, 0x7f800000
	v_mov_b32_e32 v5, 0x7e
	v_mov_b32_e32 v6, 0x7f
	v_cmp_lt_u32_e32 vcc, s4, v7
	v_cndmask_b32_e32 v5, v5, v6, vcc
; %bb.1744:
	s_or_b64 exec, exec, s[2:3]
	v_lshrrev_b32_e32 v4, 8, v4
	s_movk_i32 s2, 0x80
	v_and_or_b32 v4, v4, s2, v5
	global_store_byte v[0:1], v4, off
.LBB34_1745:
	s_mov_b64 s[2:3], 0
.LBB34_1746:
	s_andn2_b64 vcc, exec, s[2:3]
	s_cbranch_vccnz .LBB34_1756
; %bb.1747:
	v_lshlrev_b32_e32 v6, 16, v3
	v_and_b32_e32 v7, 0x7fffffff, v6
	s_mov_b32 s2, 0x47800000
	v_and_b32_e32 v4, 0xffff, v3
	v_cmp_gt_u32_e32 vcc, s2, v7
                                        ; implicit-def: $vgpr5
	s_and_saveexec_b64 s[2:3], vcc
	s_xor_b64 s[2:3], exec, s[2:3]
	s_cbranch_execz .LBB34_1753
; %bb.1748:
	s_mov_b32 s4, 0x387fffff
	v_cmp_lt_u32_e32 vcc, s4, v7
                                        ; implicit-def: $vgpr5
	s_and_saveexec_b64 s[4:5], vcc
	s_xor_b64 s[4:5], exec, s[4:5]
; %bb.1749:
	v_bfe_u32 v5, v4, 5, 1
	s_mov_b32 s10, 0x80fffff
	v_add3_u32 v5, v6, v5, s10
	v_lshrrev_b32_e32 v5, 21, v5
                                        ; implicit-def: $vgpr6
; %bb.1750:
	s_andn2_saveexec_b64 s[4:5], s[4:5]
; %bb.1751:
	s_mov_b32 s10, 0x43000000
	v_add_f32_e64 v5, |v6|, s10
; %bb.1752:
	s_or_b64 exec, exec, s[4:5]
                                        ; implicit-def: $vgpr7
.LBB34_1753:
	s_andn2_saveexec_b64 s[2:3], s[2:3]
; %bb.1754:
	s_mov_b32 s4, 0x7f800000
	v_mov_b32_e32 v5, 0x7c
	v_mov_b32_e32 v6, 0x7f
	v_cmp_lt_u32_e32 vcc, s4, v7
	v_cndmask_b32_e32 v5, v5, v6, vcc
; %bb.1755:
	s_or_b64 exec, exec, s[2:3]
	v_lshrrev_b32_e32 v4, 8, v4
	s_movk_i32 s2, 0x80
	v_and_or_b32 v4, v4, s2, v5
	global_store_byte v[0:1], v4, off
.LBB34_1756:
	s_mov_b64 s[2:3], 0
	s_mov_b64 s[4:5], -1
.LBB34_1757:
	s_andn2_b64 vcc, exec, s[2:3]
	s_mov_b64 s[2:3], 0
	s_cbranch_vccnz .LBB34_1764
; %bb.1758:
	s_cmp_gt_i32 s15, 14
	s_mov_b64 s[10:11], -1
	s_cbranch_scc0 .LBB34_1762
; %bb.1759:
	s_cmp_eq_u32 s15, 15
	s_mov_b64 s[0:1], -1
	s_cbranch_scc0 .LBB34_1761
; %bb.1760:
	global_store_short v[0:1], v3, off
	s_mov_b64 s[0:1], 0
	s_mov_b64 s[4:5], -1
.LBB34_1761:
	s_mov_b64 s[10:11], 0
.LBB34_1762:
	s_and_b64 vcc, exec, s[10:11]
	s_cbranch_vccz .LBB34_1764
; %bb.1763:
	s_cmp_lg_u32 s15, 11
	s_mov_b64 s[2:3], -1
	s_cselect_b64 s[0:1], -1, 0
.LBB34_1764:
	s_and_b64 vcc, exec, s[0:1]
	s_cbranch_vccnz .LBB34_2058
; %bb.1765:
	s_andn2_b64 vcc, exec, s[2:3]
	s_cbranch_vccnz .LBB34_1767
.LBB34_1766:
	v_and_b32_e32 v4, 0x7fff, v3
	v_cmp_ne_u16_e32 vcc, 0, v4
	v_cndmask_b32_e64 v4, 0, 1, vcc
	s_mov_b64 s[4:5], -1
	global_store_byte v[0:1], v4, off
.LBB34_1767:
	s_mov_b64 s[0:1], 0
	s_branch .LBB34_1769
.LBB34_1768:
	s_mov_b64 s[0:1], -1
	s_mov_b64 s[4:5], 0
.LBB34_1769:
	s_and_b64 vcc, exec, s[0:1]
	s_cbranch_vccz .LBB34_1808
; %bb.1770:
	s_and_b32 s2, 0xffff, s20
	s_cmp_lt_i32 s2, 5
	s_mov_b64 s[0:1], -1
	s_cbranch_scc1 .LBB34_1791
; %bb.1771:
	s_cmp_lt_i32 s2, 8
	s_cbranch_scc1 .LBB34_1781
; %bb.1772:
	s_cmp_lt_i32 s2, 9
	s_cbranch_scc1 .LBB34_1778
; %bb.1773:
	s_cmp_gt_i32 s2, 9
	s_cbranch_scc0 .LBB34_1775
; %bb.1774:
	v_lshlrev_b32_e32 v4, 16, v3
	v_cvt_f64_f32_e32 v[4:5], v4
	v_mov_b32_e32 v6, 0
	v_mov_b32_e32 v7, v6
	s_mov_b64 s[0:1], 0
	global_store_dwordx4 v[0:1], v[4:7], off
.LBB34_1775:
	s_andn2_b64 vcc, exec, s[0:1]
	s_cbranch_vccnz .LBB34_1777
; %bb.1776:
	v_lshlrev_b32_e32 v4, 16, v3
	v_mov_b32_e32 v5, 0
	global_store_dwordx2 v[0:1], v[4:5], off
.LBB34_1777:
	s_mov_b64 s[0:1], 0
.LBB34_1778:
	s_andn2_b64 vcc, exec, s[0:1]
	s_cbranch_vccnz .LBB34_1780
; %bb.1779:
	v_lshlrev_b32_e32 v4, 16, v3
	v_cvt_f16_f32_e32 v4, v4
	global_store_dword v[0:1], v4, off
.LBB34_1780:
	s_mov_b64 s[0:1], 0
.LBB34_1781:
	s_andn2_b64 vcc, exec, s[0:1]
	s_cbranch_vccnz .LBB34_1790
; %bb.1782:
	s_cmp_lt_i32 s2, 6
	s_mov_b64 s[0:1], -1
	s_cbranch_scc1 .LBB34_1788
; %bb.1783:
	s_cmp_gt_i32 s2, 6
	s_cbranch_scc0 .LBB34_1785
; %bb.1784:
	v_lshlrev_b32_e32 v4, 16, v3
	v_cvt_f64_f32_e32 v[4:5], v4
	s_mov_b64 s[0:1], 0
	global_store_dwordx2 v[0:1], v[4:5], off
.LBB34_1785:
	s_andn2_b64 vcc, exec, s[0:1]
	s_cbranch_vccnz .LBB34_1787
; %bb.1786:
	v_lshlrev_b32_e32 v4, 16, v3
	global_store_dword v[0:1], v4, off
.LBB34_1787:
	s_mov_b64 s[0:1], 0
.LBB34_1788:
	s_andn2_b64 vcc, exec, s[0:1]
	s_cbranch_vccnz .LBB34_1790
; %bb.1789:
	v_lshlrev_b32_e32 v4, 16, v3
	v_cvt_f16_f32_e32 v4, v4
	global_store_short v[0:1], v4, off
.LBB34_1790:
	s_mov_b64 s[0:1], 0
.LBB34_1791:
	s_andn2_b64 vcc, exec, s[0:1]
	s_cbranch_vccnz .LBB34_1807
; %bb.1792:
	s_cmp_lt_i32 s2, 2
	s_mov_b64 s[0:1], -1
	s_cbranch_scc1 .LBB34_1802
; %bb.1793:
	s_cmp_lt_i32 s2, 3
	s_cbranch_scc1 .LBB34_1799
; %bb.1794:
	s_cmp_gt_i32 s2, 3
	s_cbranch_scc0 .LBB34_1796
; %bb.1795:
	v_lshlrev_b32_e32 v4, 16, v3
	v_trunc_f32_e32 v4, v4
	s_mov_b32 s0, 0x2f800000
	v_mul_f32_e64 v5, |v4|, s0
	v_floor_f32_e32 v5, v5
	s_mov_b32 s0, 0xcf800000
	v_cvt_u32_f32_e32 v6, v5
	v_fma_f32 v5, v5, s0, |v4|
	v_cvt_u32_f32_e32 v5, v5
	v_ashrrev_i32_e32 v7, 31, v4
	v_xor_b32_e32 v6, v6, v7
	s_mov_b64 s[0:1], 0
	v_xor_b32_e32 v4, v5, v7
	v_sub_co_u32_e32 v4, vcc, v4, v7
	v_subb_co_u32_e32 v5, vcc, v6, v7, vcc
	global_store_dwordx2 v[0:1], v[4:5], off
.LBB34_1796:
	s_andn2_b64 vcc, exec, s[0:1]
	s_cbranch_vccnz .LBB34_1798
; %bb.1797:
	v_lshlrev_b32_e32 v4, 16, v3
	v_cvt_i32_f32_e32 v4, v4
	global_store_dword v[0:1], v4, off
.LBB34_1798:
	s_mov_b64 s[0:1], 0
.LBB34_1799:
	s_andn2_b64 vcc, exec, s[0:1]
	s_cbranch_vccnz .LBB34_1801
; %bb.1800:
	v_lshlrev_b32_e32 v4, 16, v3
	v_cvt_i32_f32_e32 v4, v4
	global_store_short v[0:1], v4, off
.LBB34_1801:
	s_mov_b64 s[0:1], 0
.LBB34_1802:
	s_andn2_b64 vcc, exec, s[0:1]
	s_cbranch_vccnz .LBB34_1807
; %bb.1803:
	s_mov_b64 s[0:1], -1
	s_cmp_gt_i32 s2, 0
	v_lshlrev_b32_e32 v3, 16, v3
	s_cbranch_scc0 .LBB34_1805
; %bb.1804:
	v_cvt_i32_f32_e32 v4, v3
	s_mov_b64 s[0:1], 0
	global_store_byte v[0:1], v4, off
.LBB34_1805:
	s_andn2_b64 vcc, exec, s[0:1]
	s_cbranch_vccnz .LBB34_1807
; %bb.1806:
	v_trunc_f32_e32 v3, v3
	s_mov_b32 s0, 0x2f800000
	v_mul_f32_e64 v4, |v3|, s0
	v_floor_f32_e32 v4, v4
	s_mov_b32 s0, 0xcf800000
	v_fma_f32 v4, v4, s0, |v3|
	v_cvt_u32_f32_e32 v4, v4
	v_ashrrev_i32_e32 v3, 31, v3
	v_xor_b32_e32 v4, v4, v3
	v_sub_u32_e32 v3, v4, v3
	global_store_byte v[0:1], v3, off
.LBB34_1807:
	s_mov_b64 s[4:5], -1
.LBB34_1808:
	s_andn2_b64 vcc, exec, s[4:5]
	s_cbranch_vccnz .LBB34_2004
; %bb.1809:
	v_mul_f32_e32 v0, v14, v14
	v_mov_b32_e32 v1, 0x3c0881c4
	v_fmac_f32_e32 v1, 0xb94c1982, v0
	v_mov_b32_e32 v3, 0xbe2aaa9d
	v_fmac_f32_e32 v3, v0, v1
	v_mul_f32_e32 v1, v0, v3
	v_fmac_f32_e32 v14, v14, v1
	v_mov_b32_e32 v1, 0xbab64f3b
	v_fmac_f32_e32 v1, 0x37d75334, v0
	v_mov_b32_e32 v3, 0x3d2aabf7
	;; [unrolled: 2-line block ×3, first 2 shown]
	v_fmac_f32_e32 v1, v0, v3
	v_fma_f32 v0, v0, v1, 1.0
	v_and_b32_e32 v1, 1, v13
	v_cmp_eq_u32_e32 vcc, 0, v1
	v_lshlrev_b32_e32 v1, 30, v13
	v_and_b32_e32 v1, 0x80000000, v1
	v_cndmask_b32_e32 v0, v0, v14, vcc
	v_xor_b32_e32 v1, v12, v1
	v_xor_b32_e32 v0, v1, v0
	s_movk_i32 s0, 0x1f8
	v_xor_b32_e32 v0, v0, v11
	v_mov_b32_e32 v1, 0x7fc00000
	v_cmp_class_f32_e64 vcc, v11, s0
	v_cndmask_b32_e32 v0, v1, v0, vcc
	v_bfe_u32 v1, v0, 16, 1
	s_movk_i32 s0, 0x7fff
	v_add3_u32 v1, v0, v1, s0
	v_cmp_o_f32_e32 vcc, v0, v0
	v_mov_b32_e32 v0, 0x7fc0
	v_add_u32_e32 v2, s14, v2
	v_cndmask_b32_sdwa v3, v0, v1, vcc dst_sel:DWORD dst_unused:UNUSED_PAD src0_sel:DWORD src1_sel:WORD_1
	v_ashrrev_i32_e32 v1, 31, v2
	v_mov_b32_e32 v4, s9
	v_add_co_u32_e32 v0, vcc, s8, v2
	s_cmp_lt_i32 s20, 11
	v_addc_co_u32_e32 v1, vcc, v4, v1, vcc
	s_cbranch_scc1 .LBB34_1887
; %bb.1810:
	s_and_b32 s15, 0xffff, s20
	s_mov_b64 s[10:11], -1
	s_mov_b64 s[2:3], 0
	s_cmp_gt_i32 s15, 25
	s_mov_b64 s[4:5], 0
	s_mov_b64 s[0:1], 0
	s_cbranch_scc0 .LBB34_1843
; %bb.1811:
	s_cmp_gt_i32 s15, 28
	s_cbranch_scc0 .LBB34_1826
; %bb.1812:
	s_cmp_gt_i32 s15, 43
	;; [unrolled: 3-line block ×3, first 2 shown]
	s_cbranch_scc0 .LBB34_1816
; %bb.1814:
	s_mov_b64 s[0:1], -1
	s_mov_b64 s[10:11], 0
	s_cmp_eq_u32 s15, 46
	s_cbranch_scc0 .LBB34_1816
; %bb.1815:
	v_and_b32_e32 v4, 0xffff, v3
	global_store_dword v[0:1], v4, off
	s_mov_b64 s[0:1], 0
	s_mov_b64 s[4:5], -1
.LBB34_1816:
	s_and_b64 vcc, exec, s[10:11]
	s_cbranch_vccz .LBB34_1821
; %bb.1817:
	s_cmp_eq_u32 s15, 44
	s_mov_b64 s[0:1], -1
	s_cbranch_scc0 .LBB34_1821
; %bb.1818:
	v_and_b32_e32 v5, 0xffff, v3
	v_bfe_u32 v4, v5, 7, 8
	s_movk_i32 s0, 0xff
	v_cmp_ne_u32_e32 vcc, s0, v4
	v_mov_b32_e32 v6, 0xff
	s_and_saveexec_b64 s[4:5], vcc
	s_cbranch_execz .LBB34_1820
; %bb.1819:
	v_lshlrev_b32_e32 v7, 16, v5
	s_mov_b32 s0, 0x3f0000
	v_lshrrev_b32_e32 v6, 7, v5
	v_and_b32_e32 v5, 64, v5
	v_and_or_b32 v4, v7, s0, v4
	v_cmp_ne_u32_e32 vcc, 0, v5
	v_cmp_ne_u32_e64 s[0:1], 0, v4
	s_and_b64 s[0:1], vcc, s[0:1]
	v_cndmask_b32_e64 v4, 0, 1, s[0:1]
	v_add_u32_e32 v6, v6, v4
.LBB34_1820:
	s_or_b64 exec, exec, s[4:5]
	s_mov_b64 s[0:1], 0
	s_mov_b64 s[4:5], -1
	global_store_byte v[0:1], v6, off
.LBB34_1821:
	s_mov_b64 s[10:11], 0
.LBB34_1822:
	s_and_b64 vcc, exec, s[10:11]
	s_cbranch_vccz .LBB34_1825
; %bb.1823:
	s_cmp_eq_u32 s15, 29
	s_mov_b64 s[0:1], -1
	s_cbranch_scc0 .LBB34_1825
; %bb.1824:
	v_lshlrev_b32_e32 v4, 16, v3
	v_trunc_f32_e32 v4, v4
	v_mul_f32_e32 v5, 0x2f800000, v4
	v_floor_f32_e32 v6, v5
	v_fmac_f32_e32 v4, 0xcf800000, v6
	v_cvt_u32_f32_e32 v5, v6
	v_cvt_u32_f32_e32 v4, v4
	s_mov_b64 s[0:1], 0
	s_mov_b64 s[4:5], -1
	global_store_dwordx2 v[0:1], v[4:5], off
.LBB34_1825:
	s_mov_b64 s[10:11], 0
.LBB34_1826:
	s_and_b64 vcc, exec, s[10:11]
	s_cbranch_vccz .LBB34_1842
; %bb.1827:
	s_cmp_lt_i32 s15, 27
	s_mov_b64 s[4:5], -1
	s_cbranch_scc1 .LBB34_1833
; %bb.1828:
	s_cmp_gt_i32 s15, 27
	s_cbranch_scc0 .LBB34_1830
; %bb.1829:
	v_lshlrev_b32_e32 v4, 16, v3
	v_cvt_u32_f32_e32 v4, v4
	s_mov_b64 s[4:5], 0
	global_store_dword v[0:1], v4, off
.LBB34_1830:
	s_andn2_b64 vcc, exec, s[4:5]
	s_cbranch_vccnz .LBB34_1832
; %bb.1831:
	v_lshlrev_b32_e32 v4, 16, v3
	v_cvt_u32_f32_e32 v4, v4
	global_store_short v[0:1], v4, off
.LBB34_1832:
	s_mov_b64 s[4:5], 0
.LBB34_1833:
	s_andn2_b64 vcc, exec, s[4:5]
	s_cbranch_vccnz .LBB34_1841
; %bb.1834:
	v_lshlrev_b32_e32 v6, 16, v3
	v_and_b32_e32 v5, 0x7fffffff, v6
	s_mov_b32 s4, 0x43800000
	v_cmp_gt_u32_e32 vcc, s4, v5
	v_mov_b32_e32 v7, 0x80
	s_and_saveexec_b64 s[4:5], vcc
	s_cbranch_execz .LBB34_1840
; %bb.1835:
	s_mov_b32 s10, 0x3bffffff
	v_and_b32_e32 v4, 0xffff, v3
	v_cmp_lt_u32_e32 vcc, s10, v5
	s_mov_b64 s[10:11], 0
                                        ; implicit-def: $vgpr5
	s_and_saveexec_b64 s[12:13], vcc
	s_xor_b64 s[12:13], exec, s[12:13]
	s_cbranch_execz .LBB34_2061
; %bb.1836:
	v_bfe_u32 v5, v4, 4, 1
	s_mov_b32 s21, 0x487ffff
	v_add3_u32 v5, v6, v5, s21
	s_mov_b64 s[10:11], exec
	v_lshrrev_b32_e32 v5, 20, v5
                                        ; implicit-def: $vgpr6
	s_andn2_saveexec_b64 s[12:13], s[12:13]
	s_cbranch_execnz .LBB34_2062
.LBB34_1837:
	s_or_b64 exec, exec, s[12:13]
	v_mov_b32_e32 v7, 0
	s_and_saveexec_b64 s[12:13], s[10:11]
.LBB34_1838:
	v_lshrrev_b32_e32 v4, 8, v4
	s_movk_i32 s10, 0x80
	v_and_or_b32 v7, v4, s10, v5
.LBB34_1839:
	s_or_b64 exec, exec, s[12:13]
.LBB34_1840:
	s_or_b64 exec, exec, s[4:5]
	global_store_byte v[0:1], v7, off
.LBB34_1841:
	s_mov_b64 s[4:5], -1
.LBB34_1842:
	s_mov_b64 s[10:11], 0
.LBB34_1843:
	s_and_b64 vcc, exec, s[10:11]
	s_cbranch_vccz .LBB34_1883
; %bb.1844:
	s_cmp_gt_i32 s15, 22
	s_mov_b64 s[2:3], -1
	s_cbranch_scc0 .LBB34_1876
; %bb.1845:
	s_cmp_lt_i32 s15, 24
	s_cbranch_scc1 .LBB34_1865
; %bb.1846:
	s_cmp_gt_i32 s15, 24
	s_cbranch_scc0 .LBB34_1854
; %bb.1847:
	v_lshlrev_b32_e32 v6, 16, v3
	v_and_b32_e32 v5, 0x7fffffff, v6
	s_mov_b32 s2, 0x47800000
	v_cmp_gt_u32_e32 vcc, s2, v5
	v_mov_b32_e32 v7, 0x80
	s_and_saveexec_b64 s[2:3], vcc
	s_cbranch_execz .LBB34_1853
; %bb.1848:
	s_mov_b32 s4, 0x37ffffff
	v_and_b32_e32 v4, 0xffff, v3
	v_cmp_lt_u32_e32 vcc, s4, v5
	s_mov_b64 s[4:5], 0
                                        ; implicit-def: $vgpr5
	s_and_saveexec_b64 s[10:11], vcc
	s_xor_b64 s[10:11], exec, s[10:11]
	s_cbranch_execz .LBB34_2064
; %bb.1849:
	v_bfe_u32 v5, v4, 5, 1
	s_mov_b32 s12, 0x88fffff
	v_add3_u32 v5, v6, v5, s12
	s_mov_b64 s[4:5], exec
	v_lshrrev_b32_e32 v5, 21, v5
                                        ; implicit-def: $vgpr6
	s_andn2_saveexec_b64 s[10:11], s[10:11]
	s_cbranch_execnz .LBB34_2065
.LBB34_1850:
	s_or_b64 exec, exec, s[10:11]
	v_mov_b32_e32 v7, 0
	s_and_saveexec_b64 s[10:11], s[4:5]
.LBB34_1851:
	v_lshrrev_b32_e32 v4, 8, v4
	s_movk_i32 s4, 0x80
	v_and_or_b32 v7, v4, s4, v5
.LBB34_1852:
	s_or_b64 exec, exec, s[10:11]
.LBB34_1853:
	s_or_b64 exec, exec, s[2:3]
	s_mov_b64 s[2:3], 0
	global_store_byte v[0:1], v7, off
.LBB34_1854:
	s_and_b64 vcc, exec, s[2:3]
	s_cbranch_vccz .LBB34_1864
; %bb.1855:
	v_lshlrev_b32_e32 v6, 16, v3
	v_and_b32_e32 v7, 0x7fffffff, v6
	s_mov_b32 s2, 0x43f00000
	v_and_b32_e32 v4, 0xffff, v3
	v_cmp_gt_u32_e32 vcc, s2, v7
                                        ; implicit-def: $vgpr5
	s_and_saveexec_b64 s[2:3], vcc
	s_xor_b64 s[2:3], exec, s[2:3]
	s_cbranch_execz .LBB34_1861
; %bb.1856:
	s_mov_b32 s4, 0x3c7fffff
	v_cmp_lt_u32_e32 vcc, s4, v7
                                        ; implicit-def: $vgpr5
	s_and_saveexec_b64 s[4:5], vcc
	s_xor_b64 s[4:5], exec, s[4:5]
; %bb.1857:
	v_bfe_u32 v5, v4, 4, 1
	s_mov_b32 s10, 0x407ffff
	v_add3_u32 v5, v6, v5, s10
	v_lshrrev_b32_e32 v6, 20, v5
	v_and_b32_e32 v5, 0xff00000, v5
	s_mov_b32 s10, 0x7f00000
	v_mov_b32_e32 v7, 0x7e
	v_cmp_ne_u32_e32 vcc, s10, v5
	v_cndmask_b32_e32 v5, v7, v6, vcc
                                        ; implicit-def: $vgpr6
; %bb.1858:
	s_andn2_saveexec_b64 s[4:5], s[4:5]
; %bb.1859:
	s_mov_b32 s10, 0x46800000
	v_add_f32_e64 v5, |v6|, s10
; %bb.1860:
	s_or_b64 exec, exec, s[4:5]
                                        ; implicit-def: $vgpr7
.LBB34_1861:
	s_andn2_saveexec_b64 s[2:3], s[2:3]
; %bb.1862:
	s_mov_b32 s4, 0x7f800000
	v_mov_b32_e32 v5, 0x7e
	v_mov_b32_e32 v6, 0x7f
	v_cmp_lt_u32_e32 vcc, s4, v7
	v_cndmask_b32_e32 v5, v5, v6, vcc
; %bb.1863:
	s_or_b64 exec, exec, s[2:3]
	v_lshrrev_b32_e32 v4, 8, v4
	s_movk_i32 s2, 0x80
	v_and_or_b32 v4, v4, s2, v5
	global_store_byte v[0:1], v4, off
.LBB34_1864:
	s_mov_b64 s[2:3], 0
.LBB34_1865:
	s_andn2_b64 vcc, exec, s[2:3]
	s_cbranch_vccnz .LBB34_1875
; %bb.1866:
	v_lshlrev_b32_e32 v6, 16, v3
	v_and_b32_e32 v7, 0x7fffffff, v6
	s_mov_b32 s2, 0x47800000
	v_and_b32_e32 v4, 0xffff, v3
	v_cmp_gt_u32_e32 vcc, s2, v7
                                        ; implicit-def: $vgpr5
	s_and_saveexec_b64 s[2:3], vcc
	s_xor_b64 s[2:3], exec, s[2:3]
	s_cbranch_execz .LBB34_1872
; %bb.1867:
	s_mov_b32 s4, 0x387fffff
	v_cmp_lt_u32_e32 vcc, s4, v7
                                        ; implicit-def: $vgpr5
	s_and_saveexec_b64 s[4:5], vcc
	s_xor_b64 s[4:5], exec, s[4:5]
; %bb.1868:
	v_bfe_u32 v5, v4, 5, 1
	s_mov_b32 s10, 0x80fffff
	v_add3_u32 v5, v6, v5, s10
	v_lshrrev_b32_e32 v5, 21, v5
                                        ; implicit-def: $vgpr6
; %bb.1869:
	s_andn2_saveexec_b64 s[4:5], s[4:5]
; %bb.1870:
	s_mov_b32 s10, 0x43000000
	v_add_f32_e64 v5, |v6|, s10
; %bb.1871:
	s_or_b64 exec, exec, s[4:5]
                                        ; implicit-def: $vgpr7
.LBB34_1872:
	s_andn2_saveexec_b64 s[2:3], s[2:3]
; %bb.1873:
	s_mov_b32 s4, 0x7f800000
	v_mov_b32_e32 v5, 0x7c
	v_mov_b32_e32 v6, 0x7f
	v_cmp_lt_u32_e32 vcc, s4, v7
	v_cndmask_b32_e32 v5, v5, v6, vcc
; %bb.1874:
	s_or_b64 exec, exec, s[2:3]
	v_lshrrev_b32_e32 v4, 8, v4
	s_movk_i32 s2, 0x80
	v_and_or_b32 v4, v4, s2, v5
	global_store_byte v[0:1], v4, off
.LBB34_1875:
	s_mov_b64 s[2:3], 0
	s_mov_b64 s[4:5], -1
.LBB34_1876:
	s_andn2_b64 vcc, exec, s[2:3]
	s_mov_b64 s[2:3], 0
	s_cbranch_vccnz .LBB34_1883
; %bb.1877:
	s_cmp_gt_i32 s15, 14
	s_mov_b64 s[10:11], -1
	s_cbranch_scc0 .LBB34_1881
; %bb.1878:
	s_cmp_eq_u32 s15, 15
	s_mov_b64 s[0:1], -1
	s_cbranch_scc0 .LBB34_1880
; %bb.1879:
	global_store_short v[0:1], v3, off
	s_mov_b64 s[0:1], 0
	s_mov_b64 s[4:5], -1
.LBB34_1880:
	s_mov_b64 s[10:11], 0
.LBB34_1881:
	s_and_b64 vcc, exec, s[10:11]
	s_cbranch_vccz .LBB34_1883
; %bb.1882:
	s_cmp_lg_u32 s15, 11
	s_mov_b64 s[2:3], -1
	s_cselect_b64 s[0:1], -1, 0
.LBB34_1883:
	s_and_b64 vcc, exec, s[0:1]
	s_cbranch_vccnz .LBB34_2063
; %bb.1884:
	s_andn2_b64 vcc, exec, s[2:3]
	s_cbranch_vccnz .LBB34_1886
.LBB34_1885:
	v_and_b32_e32 v4, 0x7fff, v3
	v_cmp_ne_u16_e32 vcc, 0, v4
	v_cndmask_b32_e64 v4, 0, 1, vcc
	s_mov_b64 s[4:5], -1
	global_store_byte v[0:1], v4, off
.LBB34_1886:
	s_mov_b64 s[0:1], 0
	s_branch .LBB34_1888
.LBB34_1887:
	s_mov_b64 s[0:1], -1
	s_mov_b64 s[4:5], 0
.LBB34_1888:
	s_and_b64 vcc, exec, s[0:1]
	s_cbranch_vccz .LBB34_1927
; %bb.1889:
	s_and_b32 s2, 0xffff, s20
	s_cmp_lt_i32 s2, 5
	s_mov_b64 s[0:1], -1
	s_cbranch_scc1 .LBB34_1910
; %bb.1890:
	s_cmp_lt_i32 s2, 8
	s_cbranch_scc1 .LBB34_1900
; %bb.1891:
	s_cmp_lt_i32 s2, 9
	s_cbranch_scc1 .LBB34_1897
; %bb.1892:
	s_cmp_gt_i32 s2, 9
	s_cbranch_scc0 .LBB34_1894
; %bb.1893:
	v_lshlrev_b32_e32 v4, 16, v3
	v_cvt_f64_f32_e32 v[4:5], v4
	v_mov_b32_e32 v6, 0
	v_mov_b32_e32 v7, v6
	s_mov_b64 s[0:1], 0
	global_store_dwordx4 v[0:1], v[4:7], off
.LBB34_1894:
	s_andn2_b64 vcc, exec, s[0:1]
	s_cbranch_vccnz .LBB34_1896
; %bb.1895:
	v_lshlrev_b32_e32 v4, 16, v3
	v_mov_b32_e32 v5, 0
	global_store_dwordx2 v[0:1], v[4:5], off
.LBB34_1896:
	s_mov_b64 s[0:1], 0
.LBB34_1897:
	s_andn2_b64 vcc, exec, s[0:1]
	s_cbranch_vccnz .LBB34_1899
; %bb.1898:
	v_lshlrev_b32_e32 v4, 16, v3
	v_cvt_f16_f32_e32 v4, v4
	global_store_dword v[0:1], v4, off
.LBB34_1899:
	s_mov_b64 s[0:1], 0
.LBB34_1900:
	s_andn2_b64 vcc, exec, s[0:1]
	s_cbranch_vccnz .LBB34_1909
; %bb.1901:
	s_cmp_lt_i32 s2, 6
	s_mov_b64 s[0:1], -1
	s_cbranch_scc1 .LBB34_1907
; %bb.1902:
	s_cmp_gt_i32 s2, 6
	s_cbranch_scc0 .LBB34_1904
; %bb.1903:
	v_lshlrev_b32_e32 v4, 16, v3
	v_cvt_f64_f32_e32 v[4:5], v4
	s_mov_b64 s[0:1], 0
	global_store_dwordx2 v[0:1], v[4:5], off
.LBB34_1904:
	s_andn2_b64 vcc, exec, s[0:1]
	s_cbranch_vccnz .LBB34_1906
; %bb.1905:
	v_lshlrev_b32_e32 v4, 16, v3
	global_store_dword v[0:1], v4, off
.LBB34_1906:
	s_mov_b64 s[0:1], 0
.LBB34_1907:
	s_andn2_b64 vcc, exec, s[0:1]
	s_cbranch_vccnz .LBB34_1909
; %bb.1908:
	v_lshlrev_b32_e32 v4, 16, v3
	v_cvt_f16_f32_e32 v4, v4
	global_store_short v[0:1], v4, off
.LBB34_1909:
	s_mov_b64 s[0:1], 0
.LBB34_1910:
	s_andn2_b64 vcc, exec, s[0:1]
	s_cbranch_vccnz .LBB34_1926
; %bb.1911:
	s_cmp_lt_i32 s2, 2
	s_mov_b64 s[0:1], -1
	s_cbranch_scc1 .LBB34_1921
; %bb.1912:
	s_cmp_lt_i32 s2, 3
	s_cbranch_scc1 .LBB34_1918
; %bb.1913:
	s_cmp_gt_i32 s2, 3
	s_cbranch_scc0 .LBB34_1915
; %bb.1914:
	v_lshlrev_b32_e32 v4, 16, v3
	v_trunc_f32_e32 v4, v4
	s_mov_b32 s0, 0x2f800000
	v_mul_f32_e64 v5, |v4|, s0
	v_floor_f32_e32 v5, v5
	s_mov_b32 s0, 0xcf800000
	v_cvt_u32_f32_e32 v6, v5
	v_fma_f32 v5, v5, s0, |v4|
	v_cvt_u32_f32_e32 v5, v5
	v_ashrrev_i32_e32 v7, 31, v4
	v_xor_b32_e32 v6, v6, v7
	s_mov_b64 s[0:1], 0
	v_xor_b32_e32 v4, v5, v7
	v_sub_co_u32_e32 v4, vcc, v4, v7
	v_subb_co_u32_e32 v5, vcc, v6, v7, vcc
	global_store_dwordx2 v[0:1], v[4:5], off
.LBB34_1915:
	s_andn2_b64 vcc, exec, s[0:1]
	s_cbranch_vccnz .LBB34_1917
; %bb.1916:
	v_lshlrev_b32_e32 v4, 16, v3
	v_cvt_i32_f32_e32 v4, v4
	global_store_dword v[0:1], v4, off
.LBB34_1917:
	s_mov_b64 s[0:1], 0
.LBB34_1918:
	s_andn2_b64 vcc, exec, s[0:1]
	s_cbranch_vccnz .LBB34_1920
; %bb.1919:
	v_lshlrev_b32_e32 v4, 16, v3
	v_cvt_i32_f32_e32 v4, v4
	global_store_short v[0:1], v4, off
.LBB34_1920:
	s_mov_b64 s[0:1], 0
.LBB34_1921:
	s_andn2_b64 vcc, exec, s[0:1]
	s_cbranch_vccnz .LBB34_1926
; %bb.1922:
	s_mov_b64 s[0:1], -1
	s_cmp_gt_i32 s2, 0
	v_lshlrev_b32_e32 v3, 16, v3
	s_cbranch_scc0 .LBB34_1924
; %bb.1923:
	v_cvt_i32_f32_e32 v4, v3
	s_mov_b64 s[0:1], 0
	global_store_byte v[0:1], v4, off
.LBB34_1924:
	s_andn2_b64 vcc, exec, s[0:1]
	s_cbranch_vccnz .LBB34_1926
; %bb.1925:
	v_trunc_f32_e32 v3, v3
	s_mov_b32 s0, 0x2f800000
	v_mul_f32_e64 v4, |v3|, s0
	v_floor_f32_e32 v4, v4
	s_mov_b32 s0, 0xcf800000
	v_fma_f32 v4, v4, s0, |v3|
	v_cvt_u32_f32_e32 v4, v4
	v_ashrrev_i32_e32 v3, 31, v3
	v_xor_b32_e32 v4, v4, v3
	v_sub_u32_e32 v3, v4, v3
	global_store_byte v[0:1], v3, off
.LBB34_1926:
	s_mov_b64 s[4:5], -1
.LBB34_1927:
	s_andn2_b64 vcc, exec, s[4:5]
	s_cbranch_vccnz .LBB34_2004
; %bb.1928:
	v_mul_f32_e32 v0, v18, v18
	v_mov_b32_e32 v1, 0x3c0881c4
	v_fmac_f32_e32 v1, 0xb94c1982, v0
	v_mov_b32_e32 v3, 0xbe2aaa9d
	v_fmac_f32_e32 v3, v0, v1
	v_mul_f32_e32 v1, v0, v3
	v_fmac_f32_e32 v18, v18, v1
	v_mov_b32_e32 v1, 0xbab64f3b
	v_fmac_f32_e32 v1, 0x37d75334, v0
	v_mov_b32_e32 v3, 0x3d2aabf7
	;; [unrolled: 2-line block ×3, first 2 shown]
	v_fmac_f32_e32 v1, v0, v3
	v_fma_f32 v0, v0, v1, 1.0
	v_and_b32_e32 v1, 1, v17
	v_cmp_eq_u32_e32 vcc, 0, v1
	v_lshlrev_b32_e32 v1, 30, v17
	v_and_b32_e32 v1, 0x80000000, v1
	v_cndmask_b32_e32 v0, v0, v18, vcc
	v_xor_b32_e32 v1, v16, v1
	v_xor_b32_e32 v0, v1, v0
	s_movk_i32 s0, 0x1f8
	v_xor_b32_e32 v0, v0, v15
	v_mov_b32_e32 v1, 0x7fc00000
	v_cmp_class_f32_e64 vcc, v15, s0
	v_cndmask_b32_e32 v0, v1, v0, vcc
	v_bfe_u32 v1, v0, 16, 1
	s_movk_i32 s0, 0x7fff
	v_add3_u32 v1, v0, v1, s0
	v_cmp_o_f32_e32 vcc, v0, v0
	v_mov_b32_e32 v0, 0x7fc0
	v_cndmask_b32_sdwa v3, v0, v1, vcc dst_sel:DWORD dst_unused:UNUSED_PAD src0_sel:DWORD src1_sel:WORD_1
	v_add_u32_e32 v0, s14, v2
	v_ashrrev_i32_e32 v1, 31, v0
	v_mov_b32_e32 v2, s9
	v_add_co_u32_e32 v0, vcc, s8, v0
	s_cmp_lt_i32 s20, 11
	v_addc_co_u32_e32 v1, vcc, v2, v1, vcc
	s_cbranch_scc1 .LBB34_2049
; %bb.1929:
	s_and_b32 s12, 0xffff, s20
	s_mov_b64 s[4:5], -1
	s_mov_b64 s[2:3], 0
	s_cmp_gt_i32 s12, 25
	s_mov_b64 s[0:1], 0
	s_cbranch_scc0 .LBB34_1962
; %bb.1930:
	s_cmp_gt_i32 s12, 28
	s_cbranch_scc0 .LBB34_1946
; %bb.1931:
	s_cmp_gt_i32 s12, 43
	;; [unrolled: 3-line block ×3, first 2 shown]
	s_cbranch_scc0 .LBB34_1936
; %bb.1933:
	s_cmp_eq_u32 s12, 46
	s_mov_b64 s[0:1], -1
	s_cbranch_scc0 .LBB34_1935
; %bb.1934:
	v_and_b32_e32 v2, 0xffff, v3
	global_store_dword v[0:1], v2, off
	s_mov_b64 s[0:1], 0
.LBB34_1935:
	s_mov_b64 s[4:5], 0
.LBB34_1936:
	s_and_b64 vcc, exec, s[4:5]
	s_cbranch_vccz .LBB34_1941
; %bb.1937:
	s_cmp_eq_u32 s12, 44
	s_mov_b64 s[0:1], -1
	s_cbranch_scc0 .LBB34_1941
; %bb.1938:
	v_and_b32_e32 v4, 0xffff, v3
	v_bfe_u32 v2, v4, 7, 8
	s_movk_i32 s0, 0xff
	v_cmp_ne_u32_e32 vcc, s0, v2
	v_mov_b32_e32 v5, 0xff
	s_and_saveexec_b64 s[4:5], vcc
	s_cbranch_execz .LBB34_1940
; %bb.1939:
	v_lshlrev_b32_e32 v6, 16, v4
	s_mov_b32 s0, 0x3f0000
	v_lshrrev_b32_e32 v5, 7, v4
	v_and_b32_e32 v4, 64, v4
	v_and_or_b32 v2, v6, s0, v2
	v_cmp_ne_u32_e32 vcc, 0, v4
	v_cmp_ne_u32_e64 s[0:1], 0, v2
	s_and_b64 s[0:1], vcc, s[0:1]
	v_cndmask_b32_e64 v2, 0, 1, s[0:1]
	v_add_u32_e32 v5, v5, v2
.LBB34_1940:
	s_or_b64 exec, exec, s[4:5]
	s_mov_b64 s[0:1], 0
	global_store_byte v[0:1], v5, off
.LBB34_1941:
	s_mov_b64 s[4:5], 0
.LBB34_1942:
	s_and_b64 vcc, exec, s[4:5]
	s_cbranch_vccz .LBB34_1945
; %bb.1943:
	s_cmp_eq_u32 s12, 29
	s_mov_b64 s[0:1], -1
	s_cbranch_scc0 .LBB34_1945
; %bb.1944:
	v_lshlrev_b32_e32 v2, 16, v3
	v_trunc_f32_e32 v2, v2
	v_mul_f32_e32 v4, 0x2f800000, v2
	v_floor_f32_e32 v4, v4
	v_fmac_f32_e32 v2, 0xcf800000, v4
	v_cvt_u32_f32_e32 v5, v4
	v_cvt_u32_f32_e32 v4, v2
	s_mov_b64 s[0:1], 0
	global_store_dwordx2 v[0:1], v[4:5], off
.LBB34_1945:
	s_mov_b64 s[4:5], 0
.LBB34_1946:
	s_and_b64 vcc, exec, s[4:5]
	s_cbranch_vccz .LBB34_1961
; %bb.1947:
	s_cmp_lt_i32 s12, 27
	s_mov_b64 s[4:5], -1
	s_cbranch_scc1 .LBB34_1953
; %bb.1948:
	s_cmp_gt_i32 s12, 27
	s_cbranch_scc0 .LBB34_1950
; %bb.1949:
	v_lshlrev_b32_e32 v2, 16, v3
	v_cvt_u32_f32_e32 v2, v2
	s_mov_b64 s[4:5], 0
	global_store_dword v[0:1], v2, off
.LBB34_1950:
	s_andn2_b64 vcc, exec, s[4:5]
	s_cbranch_vccnz .LBB34_1952
; %bb.1951:
	v_lshlrev_b32_e32 v2, 16, v3
	v_cvt_u32_f32_e32 v2, v2
	global_store_short v[0:1], v2, off
.LBB34_1952:
	s_mov_b64 s[4:5], 0
.LBB34_1953:
	s_andn2_b64 vcc, exec, s[4:5]
	s_cbranch_vccnz .LBB34_1961
; %bb.1954:
	v_lshlrev_b32_e32 v5, 16, v3
	v_and_b32_e32 v4, 0x7fffffff, v5
	s_mov_b32 s4, 0x43800000
	v_cmp_gt_u32_e32 vcc, s4, v4
	v_mov_b32_e32 v6, 0x80
	s_and_saveexec_b64 s[4:5], vcc
	s_cbranch_execz .LBB34_1960
; %bb.1955:
	s_mov_b32 s8, 0x3bffffff
	v_and_b32_e32 v2, 0xffff, v3
	v_cmp_lt_u32_e32 vcc, s8, v4
	s_mov_b64 s[8:9], 0
                                        ; implicit-def: $vgpr4
	s_and_saveexec_b64 s[10:11], vcc
	s_xor_b64 s[10:11], exec, s[10:11]
	s_cbranch_execz .LBB34_2066
; %bb.1956:
	v_bfe_u32 v4, v2, 4, 1
	s_mov_b32 s13, 0x487ffff
	v_add3_u32 v4, v5, v4, s13
	s_mov_b64 s[8:9], exec
	v_lshrrev_b32_e32 v4, 20, v4
                                        ; implicit-def: $vgpr5
	s_andn2_saveexec_b64 s[10:11], s[10:11]
	s_cbranch_execnz .LBB34_2067
.LBB34_1957:
	s_or_b64 exec, exec, s[10:11]
	v_mov_b32_e32 v6, 0
	s_and_saveexec_b64 s[10:11], s[8:9]
.LBB34_1958:
	v_lshrrev_b32_e32 v2, 8, v2
	s_movk_i32 s8, 0x80
	v_and_or_b32 v6, v2, s8, v4
.LBB34_1959:
	s_or_b64 exec, exec, s[10:11]
.LBB34_1960:
	s_or_b64 exec, exec, s[4:5]
	global_store_byte v[0:1], v6, off
.LBB34_1961:
	s_mov_b64 s[4:5], 0
.LBB34_1962:
	s_and_b64 vcc, exec, s[4:5]
	s_cbranch_vccz .LBB34_2002
; %bb.1963:
	s_cmp_gt_i32 s12, 22
	s_mov_b64 s[2:3], -1
	s_cbranch_scc0 .LBB34_1995
; %bb.1964:
	s_cmp_lt_i32 s12, 24
	s_cbranch_scc1 .LBB34_1984
; %bb.1965:
	s_cmp_gt_i32 s12, 24
	s_cbranch_scc0 .LBB34_1973
; %bb.1966:
	v_lshlrev_b32_e32 v5, 16, v3
	v_and_b32_e32 v4, 0x7fffffff, v5
	s_mov_b32 s2, 0x47800000
	v_cmp_gt_u32_e32 vcc, s2, v4
	v_mov_b32_e32 v6, 0x80
	s_and_saveexec_b64 s[2:3], vcc
	s_cbranch_execz .LBB34_1972
; %bb.1967:
	s_mov_b32 s4, 0x37ffffff
	v_and_b32_e32 v2, 0xffff, v3
	v_cmp_lt_u32_e32 vcc, s4, v4
	s_mov_b64 s[4:5], 0
                                        ; implicit-def: $vgpr4
	s_and_saveexec_b64 s[8:9], vcc
	s_xor_b64 s[8:9], exec, s[8:9]
	s_cbranch_execz .LBB34_2069
; %bb.1968:
	v_bfe_u32 v4, v2, 5, 1
	s_mov_b32 s10, 0x88fffff
	v_add3_u32 v4, v5, v4, s10
	s_mov_b64 s[4:5], exec
	v_lshrrev_b32_e32 v4, 21, v4
                                        ; implicit-def: $vgpr5
	s_andn2_saveexec_b64 s[8:9], s[8:9]
	s_cbranch_execnz .LBB34_2070
.LBB34_1969:
	s_or_b64 exec, exec, s[8:9]
	v_mov_b32_e32 v6, 0
	s_and_saveexec_b64 s[8:9], s[4:5]
.LBB34_1970:
	v_lshrrev_b32_e32 v2, 8, v2
	s_movk_i32 s4, 0x80
	v_and_or_b32 v6, v2, s4, v4
.LBB34_1971:
	s_or_b64 exec, exec, s[8:9]
.LBB34_1972:
	s_or_b64 exec, exec, s[2:3]
	s_mov_b64 s[2:3], 0
	global_store_byte v[0:1], v6, off
.LBB34_1973:
	s_and_b64 vcc, exec, s[2:3]
	s_cbranch_vccz .LBB34_1983
; %bb.1974:
	v_lshlrev_b32_e32 v5, 16, v3
	v_and_b32_e32 v6, 0x7fffffff, v5
	s_mov_b32 s2, 0x43f00000
	v_and_b32_e32 v2, 0xffff, v3
	v_cmp_gt_u32_e32 vcc, s2, v6
                                        ; implicit-def: $vgpr4
	s_and_saveexec_b64 s[2:3], vcc
	s_xor_b64 s[2:3], exec, s[2:3]
	s_cbranch_execz .LBB34_1980
; %bb.1975:
	s_mov_b32 s4, 0x3c7fffff
	v_cmp_lt_u32_e32 vcc, s4, v6
                                        ; implicit-def: $vgpr4
	s_and_saveexec_b64 s[4:5], vcc
	s_xor_b64 s[4:5], exec, s[4:5]
; %bb.1976:
	v_bfe_u32 v4, v2, 4, 1
	s_mov_b32 s8, 0x407ffff
	v_add3_u32 v4, v5, v4, s8
	v_lshrrev_b32_e32 v5, 20, v4
	v_and_b32_e32 v4, 0xff00000, v4
	s_mov_b32 s8, 0x7f00000
	v_mov_b32_e32 v6, 0x7e
	v_cmp_ne_u32_e32 vcc, s8, v4
	v_cndmask_b32_e32 v4, v6, v5, vcc
                                        ; implicit-def: $vgpr5
; %bb.1977:
	s_andn2_saveexec_b64 s[4:5], s[4:5]
; %bb.1978:
	s_mov_b32 s8, 0x46800000
	v_add_f32_e64 v4, |v5|, s8
; %bb.1979:
	s_or_b64 exec, exec, s[4:5]
                                        ; implicit-def: $vgpr6
.LBB34_1980:
	s_andn2_saveexec_b64 s[2:3], s[2:3]
; %bb.1981:
	s_mov_b32 s4, 0x7f800000
	v_mov_b32_e32 v4, 0x7e
	v_mov_b32_e32 v5, 0x7f
	v_cmp_lt_u32_e32 vcc, s4, v6
	v_cndmask_b32_e32 v4, v4, v5, vcc
; %bb.1982:
	s_or_b64 exec, exec, s[2:3]
	v_lshrrev_b32_e32 v2, 8, v2
	s_movk_i32 s2, 0x80
	v_and_or_b32 v2, v2, s2, v4
	global_store_byte v[0:1], v2, off
.LBB34_1983:
	s_mov_b64 s[2:3], 0
.LBB34_1984:
	s_andn2_b64 vcc, exec, s[2:3]
	s_cbranch_vccnz .LBB34_1994
; %bb.1985:
	v_lshlrev_b32_e32 v5, 16, v3
	v_and_b32_e32 v6, 0x7fffffff, v5
	s_mov_b32 s2, 0x47800000
	v_and_b32_e32 v2, 0xffff, v3
	v_cmp_gt_u32_e32 vcc, s2, v6
                                        ; implicit-def: $vgpr4
	s_and_saveexec_b64 s[2:3], vcc
	s_xor_b64 s[2:3], exec, s[2:3]
	s_cbranch_execz .LBB34_1991
; %bb.1986:
	s_mov_b32 s4, 0x387fffff
	v_cmp_lt_u32_e32 vcc, s4, v6
                                        ; implicit-def: $vgpr4
	s_and_saveexec_b64 s[4:5], vcc
	s_xor_b64 s[4:5], exec, s[4:5]
; %bb.1987:
	v_bfe_u32 v4, v2, 5, 1
	s_mov_b32 s8, 0x80fffff
	v_add3_u32 v4, v5, v4, s8
	v_lshrrev_b32_e32 v4, 21, v4
                                        ; implicit-def: $vgpr5
; %bb.1988:
	s_andn2_saveexec_b64 s[4:5], s[4:5]
; %bb.1989:
	s_mov_b32 s8, 0x43000000
	v_add_f32_e64 v4, |v5|, s8
; %bb.1990:
	s_or_b64 exec, exec, s[4:5]
                                        ; implicit-def: $vgpr6
.LBB34_1991:
	s_andn2_saveexec_b64 s[2:3], s[2:3]
; %bb.1992:
	s_mov_b32 s4, 0x7f800000
	v_mov_b32_e32 v4, 0x7c
	v_mov_b32_e32 v5, 0x7f
	v_cmp_lt_u32_e32 vcc, s4, v6
	v_cndmask_b32_e32 v4, v4, v5, vcc
; %bb.1993:
	s_or_b64 exec, exec, s[2:3]
	v_lshrrev_b32_e32 v2, 8, v2
	s_movk_i32 s2, 0x80
	v_and_or_b32 v2, v2, s2, v4
	global_store_byte v[0:1], v2, off
.LBB34_1994:
	s_mov_b64 s[2:3], 0
.LBB34_1995:
	s_andn2_b64 vcc, exec, s[2:3]
	s_mov_b64 s[2:3], 0
	s_cbranch_vccnz .LBB34_2002
; %bb.1996:
	s_cmp_gt_i32 s12, 14
	s_mov_b64 s[4:5], -1
	s_cbranch_scc0 .LBB34_2000
; %bb.1997:
	s_cmp_eq_u32 s12, 15
	s_mov_b64 s[0:1], -1
	s_cbranch_scc0 .LBB34_1999
; %bb.1998:
	global_store_short v[0:1], v3, off
	s_mov_b64 s[0:1], 0
.LBB34_1999:
	s_mov_b64 s[4:5], 0
.LBB34_2000:
	s_and_b64 vcc, exec, s[4:5]
	s_cbranch_vccz .LBB34_2002
; %bb.2001:
	s_cmp_lg_u32 s12, 11
	s_mov_b64 s[2:3], -1
	s_cselect_b64 s[0:1], -1, 0
.LBB34_2002:
	s_and_b64 vcc, exec, s[0:1]
	s_cbranch_vccnz .LBB34_2068
.LBB34_2003:
	s_mov_b64 s[0:1], 0
	s_branch .LBB34_2005
.LBB34_2004:
	s_mov_b64 s[0:1], 0
	s_mov_b64 s[2:3], 0
                                        ; implicit-def: $sgpr20
                                        ; implicit-def: $vgpr0_vgpr1
                                        ; implicit-def: $vgpr3
.LBB34_2005:
	s_and_b64 s[14:15], s[2:3], exec
	s_andn2_b64 s[2:3], s[16:17], exec
	s_and_b64 s[4:5], s[18:19], exec
	s_and_b64 s[0:1], s[0:1], exec
	s_or_b64 s[16:17], s[2:3], s[4:5]
.LBB34_2006:
	s_or_b64 exec, exec, s[6:7]
	s_and_saveexec_b64 s[2:3], s[16:17]
	s_cbranch_execz .LBB34_2009
; %bb.2007:
	; divergent unreachable
	s_or_b64 exec, exec, s[2:3]
	s_and_saveexec_b64 s[2:3], s[14:15]
	s_xor_b64 s[2:3], exec, s[2:3]
	s_cbranch_execnz .LBB34_2010
.LBB34_2008:
	s_or_b64 exec, exec, s[2:3]
	s_and_saveexec_b64 s[2:3], s[0:1]
	s_cbranch_execnz .LBB34_2011
	s_branch .LBB34_2048
.LBB34_2009:
	s_or_b64 exec, exec, s[2:3]
	s_and_saveexec_b64 s[2:3], s[14:15]
	s_xor_b64 s[2:3], exec, s[2:3]
	s_cbranch_execz .LBB34_2008
.LBB34_2010:
	s_waitcnt vmcnt(0)
	v_and_b32_e32 v2, 0x7fff, v3
	v_cmp_ne_u16_e32 vcc, 0, v2
	v_cndmask_b32_e64 v2, 0, 1, vcc
	global_store_byte v[0:1], v2, off
	s_or_b64 exec, exec, s[2:3]
	s_and_saveexec_b64 s[2:3], s[0:1]
	s_cbranch_execz .LBB34_2048
.LBB34_2011:
	s_sext_i32_i16 s2, s20
	s_cmp_lt_i32 s2, 5
	s_mov_b64 s[0:1], -1
	s_cbranch_scc1 .LBB34_2032
; %bb.2012:
	s_cmp_lt_i32 s2, 8
	s_cbranch_scc1 .LBB34_2022
; %bb.2013:
	s_cmp_lt_i32 s2, 9
	s_cbranch_scc1 .LBB34_2019
; %bb.2014:
	s_cmp_gt_i32 s2, 9
	s_cbranch_scc0 .LBB34_2016
; %bb.2015:
	s_waitcnt vmcnt(0)
	v_lshlrev_b32_e32 v2, 16, v3
	v_cvt_f64_f32_e32 v[4:5], v2
	v_mov_b32_e32 v6, 0
	v_mov_b32_e32 v7, v6
	s_mov_b64 s[0:1], 0
	global_store_dwordx4 v[0:1], v[4:7], off
.LBB34_2016:
	s_andn2_b64 vcc, exec, s[0:1]
	s_cbranch_vccnz .LBB34_2018
; %bb.2017:
	s_waitcnt vmcnt(0)
	v_lshlrev_b32_e32 v4, 16, v3
	v_mov_b32_e32 v5, 0
	global_store_dwordx2 v[0:1], v[4:5], off
.LBB34_2018:
	s_mov_b64 s[0:1], 0
.LBB34_2019:
	s_andn2_b64 vcc, exec, s[0:1]
	s_cbranch_vccnz .LBB34_2021
; %bb.2020:
	s_waitcnt vmcnt(0)
	v_lshlrev_b32_e32 v2, 16, v3
	v_cvt_f16_f32_e32 v2, v2
	global_store_dword v[0:1], v2, off
.LBB34_2021:
	s_mov_b64 s[0:1], 0
.LBB34_2022:
	s_andn2_b64 vcc, exec, s[0:1]
	s_cbranch_vccnz .LBB34_2031
; %bb.2023:
	s_sext_i32_i16 s2, s20
	s_cmp_lt_i32 s2, 6
	s_mov_b64 s[0:1], -1
	s_cbranch_scc1 .LBB34_2029
; %bb.2024:
	s_cmp_gt_i32 s2, 6
	s_cbranch_scc0 .LBB34_2026
; %bb.2025:
	s_waitcnt vmcnt(0)
	v_lshlrev_b32_e32 v2, 16, v3
	v_cvt_f64_f32_e32 v[4:5], v2
	s_mov_b64 s[0:1], 0
	global_store_dwordx2 v[0:1], v[4:5], off
.LBB34_2026:
	s_andn2_b64 vcc, exec, s[0:1]
	s_cbranch_vccnz .LBB34_2028
; %bb.2027:
	s_waitcnt vmcnt(0)
	v_lshlrev_b32_e32 v2, 16, v3
	global_store_dword v[0:1], v2, off
.LBB34_2028:
	s_mov_b64 s[0:1], 0
.LBB34_2029:
	s_andn2_b64 vcc, exec, s[0:1]
	s_cbranch_vccnz .LBB34_2031
; %bb.2030:
	s_waitcnt vmcnt(0)
	v_lshlrev_b32_e32 v2, 16, v3
	v_cvt_f16_f32_e32 v2, v2
	global_store_short v[0:1], v2, off
.LBB34_2031:
	s_mov_b64 s[0:1], 0
.LBB34_2032:
	s_andn2_b64 vcc, exec, s[0:1]
	s_cbranch_vccnz .LBB34_2048
; %bb.2033:
	s_sext_i32_i16 s2, s20
	s_cmp_lt_i32 s2, 2
	s_mov_b64 s[0:1], -1
	s_cbranch_scc1 .LBB34_2043
; %bb.2034:
	s_cmp_lt_i32 s2, 3
	s_cbranch_scc1 .LBB34_2040
; %bb.2035:
	s_cmp_gt_i32 s2, 3
	s_cbranch_scc0 .LBB34_2037
; %bb.2036:
	s_waitcnt vmcnt(0)
	v_lshlrev_b32_e32 v2, 16, v3
	v_trunc_f32_e32 v2, v2
	s_mov_b32 s0, 0x2f800000
	v_mul_f32_e64 v4, |v2|, s0
	v_floor_f32_e32 v4, v4
	s_mov_b32 s0, 0xcf800000
	v_cvt_u32_f32_e32 v5, v4
	v_fma_f32 v4, v4, s0, |v2|
	v_cvt_u32_f32_e32 v4, v4
	v_ashrrev_i32_e32 v2, 31, v2
	v_xor_b32_e32 v5, v5, v2
	s_mov_b64 s[0:1], 0
	v_xor_b32_e32 v4, v4, v2
	v_sub_co_u32_e32 v4, vcc, v4, v2
	v_subb_co_u32_e32 v5, vcc, v5, v2, vcc
	global_store_dwordx2 v[0:1], v[4:5], off
.LBB34_2037:
	s_andn2_b64 vcc, exec, s[0:1]
	s_cbranch_vccnz .LBB34_2039
; %bb.2038:
	s_waitcnt vmcnt(0)
	v_lshlrev_b32_e32 v2, 16, v3
	v_cvt_i32_f32_e32 v2, v2
	global_store_dword v[0:1], v2, off
.LBB34_2039:
	s_mov_b64 s[0:1], 0
.LBB34_2040:
	s_andn2_b64 vcc, exec, s[0:1]
	s_cbranch_vccnz .LBB34_2042
; %bb.2041:
	s_waitcnt vmcnt(0)
	v_lshlrev_b32_e32 v2, 16, v3
	v_cvt_i32_f32_e32 v2, v2
	global_store_short v[0:1], v2, off
.LBB34_2042:
	s_mov_b64 s[0:1], 0
.LBB34_2043:
	s_andn2_b64 vcc, exec, s[0:1]
	s_cbranch_vccnz .LBB34_2048
; %bb.2044:
	s_sext_i32_i16 s2, s20
	s_mov_b64 s[0:1], -1
	s_cmp_gt_i32 s2, 0
	s_waitcnt vmcnt(0)
	v_lshlrev_b32_e32 v2, 16, v3
	s_cbranch_scc0 .LBB34_2046
; %bb.2045:
	v_cvt_i32_f32_e32 v3, v2
	s_mov_b64 s[0:1], 0
	global_store_byte v[0:1], v3, off
.LBB34_2046:
	s_andn2_b64 vcc, exec, s[0:1]
	s_cbranch_vccnz .LBB34_2048
; %bb.2047:
	v_trunc_f32_e32 v2, v2
	s_mov_b32 s0, 0x2f800000
	v_mul_f32_e64 v3, |v2|, s0
	v_floor_f32_e32 v3, v3
	s_mov_b32 s0, 0xcf800000
	v_fma_f32 v3, v3, s0, |v2|
	v_cvt_u32_f32_e32 v3, v3
	v_ashrrev_i32_e32 v2, 31, v2
	v_xor_b32_e32 v3, v3, v2
	v_sub_u32_e32 v2, v3, v2
	global_store_byte v[0:1], v2, off
	s_endpgm
.LBB34_2048:
	s_endpgm
.LBB34_2049:
	s_mov_b64 s[2:3], 0
	s_mov_b64 s[0:1], -1
	s_branch .LBB34_2005
.LBB34_2050:
	s_trap 2
	s_or_b64 s[18:19], s[18:19], exec
	s_cbranch_execz .LBB34_1515
	s_branch .LBB34_1516
.LBB34_2051:
	s_andn2_saveexec_b64 s[14:15], s[14:15]
	s_cbranch_execz .LBB34_1599
.LBB34_2052:
	s_mov_b32 s21, 0x46000000
	v_add_f32_e64 v5, |v6|, s21
	v_and_b32_e32 v5, 0xff, v5
	v_cmp_ne_u32_e32 vcc, 0, v5
	s_andn2_b64 s[10:11], s[10:11], exec
	s_and_b64 s[22:23], vcc, exec
	s_or_b64 s[10:11], s[10:11], s[22:23]
	s_or_b64 exec, exec, s[14:15]
	v_mov_b32_e32 v19, 0
	s_and_saveexec_b64 s[14:15], s[10:11]
	s_cbranch_execnz .LBB34_1600
	s_branch .LBB34_1601
.LBB34_2053:
	s_trap 2
	s_or_b64 s[18:19], s[18:19], exec
	s_cbranch_execz .LBB34_1647
	s_branch .LBB34_1648
.LBB34_2054:
	s_andn2_saveexec_b64 s[10:11], s[10:11]
	s_cbranch_execz .LBB34_1612
.LBB34_2055:
	s_mov_b32 s14, 0x42800000
	v_add_f32_e64 v5, |v6|, s14
	v_and_b32_e32 v5, 0xff, v5
	v_cmp_ne_u32_e32 vcc, 0, v5
	s_andn2_b64 s[4:5], s[4:5], exec
	s_and_b64 s[14:15], vcc, exec
	s_or_b64 s[4:5], s[4:5], s[14:15]
	s_or_b64 exec, exec, s[10:11]
	v_mov_b32_e32 v19, 0
	s_and_saveexec_b64 s[10:11], s[4:5]
	s_cbranch_execnz .LBB34_1613
	s_branch .LBB34_1614
.LBB34_2056:
	s_andn2_saveexec_b64 s[12:13], s[12:13]
	s_cbranch_execz .LBB34_1718
.LBB34_2057:
	s_mov_b32 s21, 0x46000000
	v_add_f32_e64 v5, |v6|, s21
	v_and_b32_e32 v5, 0xff, v5
	v_cmp_ne_u32_e32 vcc, 0, v5
	s_andn2_b64 s[10:11], s[10:11], exec
	s_and_b64 s[22:23], vcc, exec
	s_or_b64 s[10:11], s[10:11], s[22:23]
	s_or_b64 exec, exec, s[12:13]
	v_mov_b32_e32 v7, 0
	s_and_saveexec_b64 s[12:13], s[10:11]
	s_cbranch_execnz .LBB34_1719
	s_branch .LBB34_1720
.LBB34_2058:
	s_trap 2
	s_or_b64 s[18:19], s[18:19], exec
	s_cbranch_execz .LBB34_1766
	s_branch .LBB34_1767
.LBB34_2059:
	s_andn2_saveexec_b64 s[10:11], s[10:11]
	s_cbranch_execz .LBB34_1731
.LBB34_2060:
	s_mov_b32 s12, 0x42800000
	v_add_f32_e64 v5, |v6|, s12
	v_and_b32_e32 v5, 0xff, v5
	v_cmp_ne_u32_e32 vcc, 0, v5
	s_andn2_b64 s[4:5], s[4:5], exec
	s_and_b64 s[12:13], vcc, exec
	s_or_b64 s[4:5], s[4:5], s[12:13]
	s_or_b64 exec, exec, s[10:11]
	v_mov_b32_e32 v7, 0
	s_and_saveexec_b64 s[10:11], s[4:5]
	s_cbranch_execnz .LBB34_1732
	s_branch .LBB34_1733
.LBB34_2061:
	s_andn2_saveexec_b64 s[12:13], s[12:13]
	s_cbranch_execz .LBB34_1837
.LBB34_2062:
	s_mov_b32 s21, 0x46000000
	v_add_f32_e64 v5, |v6|, s21
	v_and_b32_e32 v5, 0xff, v5
	v_cmp_ne_u32_e32 vcc, 0, v5
	s_andn2_b64 s[10:11], s[10:11], exec
	s_and_b64 s[22:23], vcc, exec
	s_or_b64 s[10:11], s[10:11], s[22:23]
	s_or_b64 exec, exec, s[12:13]
	v_mov_b32_e32 v7, 0
	s_and_saveexec_b64 s[12:13], s[10:11]
	s_cbranch_execnz .LBB34_1838
	s_branch .LBB34_1839
.LBB34_2063:
	s_trap 2
	s_or_b64 s[18:19], s[18:19], exec
	s_cbranch_execz .LBB34_1885
	s_branch .LBB34_1886
.LBB34_2064:
	s_andn2_saveexec_b64 s[10:11], s[10:11]
	s_cbranch_execz .LBB34_1850
.LBB34_2065:
	s_mov_b32 s12, 0x42800000
	v_add_f32_e64 v5, |v6|, s12
	v_and_b32_e32 v5, 0xff, v5
	v_cmp_ne_u32_e32 vcc, 0, v5
	s_andn2_b64 s[4:5], s[4:5], exec
	s_and_b64 s[12:13], vcc, exec
	s_or_b64 s[4:5], s[4:5], s[12:13]
	s_or_b64 exec, exec, s[10:11]
	v_mov_b32_e32 v7, 0
	s_and_saveexec_b64 s[10:11], s[4:5]
	s_cbranch_execnz .LBB34_1851
	s_branch .LBB34_1852
.LBB34_2066:
	s_andn2_saveexec_b64 s[10:11], s[10:11]
	s_cbranch_execz .LBB34_1957
.LBB34_2067:
	s_mov_b32 s13, 0x46000000
	v_add_f32_e64 v4, |v5|, s13
	v_and_b32_e32 v4, 0xff, v4
	v_cmp_ne_u32_e32 vcc, 0, v4
	s_andn2_b64 s[8:9], s[8:9], exec
	s_and_b64 s[14:15], vcc, exec
	s_or_b64 s[8:9], s[8:9], s[14:15]
	s_or_b64 exec, exec, s[10:11]
	v_mov_b32_e32 v6, 0
	s_and_saveexec_b64 s[10:11], s[8:9]
	s_cbranch_execnz .LBB34_1958
	s_branch .LBB34_1959
.LBB34_2068:
	s_mov_b64 s[2:3], 0
	s_or_b64 s[18:19], s[18:19], exec
	s_trap 2
	s_branch .LBB34_2003
.LBB34_2069:
	s_andn2_saveexec_b64 s[8:9], s[8:9]
	s_cbranch_execz .LBB34_1969
.LBB34_2070:
	s_mov_b32 s10, 0x42800000
	v_add_f32_e64 v4, |v5|, s10
	v_and_b32_e32 v4, 0xff, v4
	v_cmp_ne_u32_e32 vcc, 0, v4
	s_andn2_b64 s[4:5], s[4:5], exec
	s_and_b64 s[10:11], vcc, exec
	s_or_b64 s[4:5], s[4:5], s[10:11]
	s_or_b64 exec, exec, s[8:9]
	v_mov_b32_e32 v6, 0
	s_and_saveexec_b64 s[8:9], s[4:5]
	s_cbranch_execnz .LBB34_1970
	s_branch .LBB34_1971
	.section	.rodata,"a",@progbits
	.p2align	6, 0x0
	.amdhsa_kernel _ZN2at6native32elementwise_kernel_manual_unrollILi128ELi4EZNS0_15gpu_kernel_implIZZZNS0_15sin_kernel_cudaERNS_18TensorIteratorBaseEENKUlvE0_clEvENKUlvE2_clEvEUlN3c108BFloat16EE_EEvS4_RKT_EUlibE_EEviT1_
		.amdhsa_group_segment_fixed_size 0
		.amdhsa_private_segment_fixed_size 0
		.amdhsa_kernarg_size 40
		.amdhsa_user_sgpr_count 6
		.amdhsa_user_sgpr_private_segment_buffer 1
		.amdhsa_user_sgpr_dispatch_ptr 0
		.amdhsa_user_sgpr_queue_ptr 0
		.amdhsa_user_sgpr_kernarg_segment_ptr 1
		.amdhsa_user_sgpr_dispatch_id 0
		.amdhsa_user_sgpr_flat_scratch_init 0
		.amdhsa_user_sgpr_private_segment_size 0
		.amdhsa_uses_dynamic_stack 0
		.amdhsa_system_sgpr_private_segment_wavefront_offset 0
		.amdhsa_system_sgpr_workgroup_id_x 1
		.amdhsa_system_sgpr_workgroup_id_y 0
		.amdhsa_system_sgpr_workgroup_id_z 0
		.amdhsa_system_sgpr_workgroup_info 0
		.amdhsa_system_vgpr_workitem_id 0
		.amdhsa_next_free_vgpr 27
		.amdhsa_next_free_sgpr 44
		.amdhsa_reserve_vcc 1
		.amdhsa_reserve_flat_scratch 0
		.amdhsa_float_round_mode_32 0
		.amdhsa_float_round_mode_16_64 0
		.amdhsa_float_denorm_mode_32 3
		.amdhsa_float_denorm_mode_16_64 3
		.amdhsa_dx10_clamp 1
		.amdhsa_ieee_mode 1
		.amdhsa_fp16_overflow 0
		.amdhsa_exception_fp_ieee_invalid_op 0
		.amdhsa_exception_fp_denorm_src 0
		.amdhsa_exception_fp_ieee_div_zero 0
		.amdhsa_exception_fp_ieee_overflow 0
		.amdhsa_exception_fp_ieee_underflow 0
		.amdhsa_exception_fp_ieee_inexact 0
		.amdhsa_exception_int_div_zero 0
	.end_amdhsa_kernel
	.section	.text._ZN2at6native32elementwise_kernel_manual_unrollILi128ELi4EZNS0_15gpu_kernel_implIZZZNS0_15sin_kernel_cudaERNS_18TensorIteratorBaseEENKUlvE0_clEvENKUlvE2_clEvEUlN3c108BFloat16EE_EEvS4_RKT_EUlibE_EEviT1_,"axG",@progbits,_ZN2at6native32elementwise_kernel_manual_unrollILi128ELi4EZNS0_15gpu_kernel_implIZZZNS0_15sin_kernel_cudaERNS_18TensorIteratorBaseEENKUlvE0_clEvENKUlvE2_clEvEUlN3c108BFloat16EE_EEvS4_RKT_EUlibE_EEviT1_,comdat
.Lfunc_end34:
	.size	_ZN2at6native32elementwise_kernel_manual_unrollILi128ELi4EZNS0_15gpu_kernel_implIZZZNS0_15sin_kernel_cudaERNS_18TensorIteratorBaseEENKUlvE0_clEvENKUlvE2_clEvEUlN3c108BFloat16EE_EEvS4_RKT_EUlibE_EEviT1_, .Lfunc_end34-_ZN2at6native32elementwise_kernel_manual_unrollILi128ELi4EZNS0_15gpu_kernel_implIZZZNS0_15sin_kernel_cudaERNS_18TensorIteratorBaseEENKUlvE0_clEvENKUlvE2_clEvEUlN3c108BFloat16EE_EEvS4_RKT_EUlibE_EEviT1_
                                        ; -- End function
	.set _ZN2at6native32elementwise_kernel_manual_unrollILi128ELi4EZNS0_15gpu_kernel_implIZZZNS0_15sin_kernel_cudaERNS_18TensorIteratorBaseEENKUlvE0_clEvENKUlvE2_clEvEUlN3c108BFloat16EE_EEvS4_RKT_EUlibE_EEviT1_.num_vgpr, 27
	.set _ZN2at6native32elementwise_kernel_manual_unrollILi128ELi4EZNS0_15gpu_kernel_implIZZZNS0_15sin_kernel_cudaERNS_18TensorIteratorBaseEENKUlvE0_clEvENKUlvE2_clEvEUlN3c108BFloat16EE_EEvS4_RKT_EUlibE_EEviT1_.num_agpr, 0
	.set _ZN2at6native32elementwise_kernel_manual_unrollILi128ELi4EZNS0_15gpu_kernel_implIZZZNS0_15sin_kernel_cudaERNS_18TensorIteratorBaseEENKUlvE0_clEvENKUlvE2_clEvEUlN3c108BFloat16EE_EEvS4_RKT_EUlibE_EEviT1_.numbered_sgpr, 44
	.set _ZN2at6native32elementwise_kernel_manual_unrollILi128ELi4EZNS0_15gpu_kernel_implIZZZNS0_15sin_kernel_cudaERNS_18TensorIteratorBaseEENKUlvE0_clEvENKUlvE2_clEvEUlN3c108BFloat16EE_EEvS4_RKT_EUlibE_EEviT1_.num_named_barrier, 0
	.set _ZN2at6native32elementwise_kernel_manual_unrollILi128ELi4EZNS0_15gpu_kernel_implIZZZNS0_15sin_kernel_cudaERNS_18TensorIteratorBaseEENKUlvE0_clEvENKUlvE2_clEvEUlN3c108BFloat16EE_EEvS4_RKT_EUlibE_EEviT1_.private_seg_size, 0
	.set _ZN2at6native32elementwise_kernel_manual_unrollILi128ELi4EZNS0_15gpu_kernel_implIZZZNS0_15sin_kernel_cudaERNS_18TensorIteratorBaseEENKUlvE0_clEvENKUlvE2_clEvEUlN3c108BFloat16EE_EEvS4_RKT_EUlibE_EEviT1_.uses_vcc, 1
	.set _ZN2at6native32elementwise_kernel_manual_unrollILi128ELi4EZNS0_15gpu_kernel_implIZZZNS0_15sin_kernel_cudaERNS_18TensorIteratorBaseEENKUlvE0_clEvENKUlvE2_clEvEUlN3c108BFloat16EE_EEvS4_RKT_EUlibE_EEviT1_.uses_flat_scratch, 0
	.set _ZN2at6native32elementwise_kernel_manual_unrollILi128ELi4EZNS0_15gpu_kernel_implIZZZNS0_15sin_kernel_cudaERNS_18TensorIteratorBaseEENKUlvE0_clEvENKUlvE2_clEvEUlN3c108BFloat16EE_EEvS4_RKT_EUlibE_EEviT1_.has_dyn_sized_stack, 0
	.set _ZN2at6native32elementwise_kernel_manual_unrollILi128ELi4EZNS0_15gpu_kernel_implIZZZNS0_15sin_kernel_cudaERNS_18TensorIteratorBaseEENKUlvE0_clEvENKUlvE2_clEvEUlN3c108BFloat16EE_EEvS4_RKT_EUlibE_EEviT1_.has_recursion, 0
	.set _ZN2at6native32elementwise_kernel_manual_unrollILi128ELi4EZNS0_15gpu_kernel_implIZZZNS0_15sin_kernel_cudaERNS_18TensorIteratorBaseEENKUlvE0_clEvENKUlvE2_clEvEUlN3c108BFloat16EE_EEvS4_RKT_EUlibE_EEviT1_.has_indirect_call, 0
	.section	.AMDGPU.csdata,"",@progbits
; Kernel info:
; codeLenInByte = 44628
; TotalNumSgprs: 48
; NumVgprs: 27
; ScratchSize: 0
; MemoryBound: 0
; FloatMode: 240
; IeeeMode: 1
; LDSByteSize: 0 bytes/workgroup (compile time only)
; SGPRBlocks: 5
; VGPRBlocks: 6
; NumSGPRsForWavesPerEU: 48
; NumVGPRsForWavesPerEU: 27
; Occupancy: 9
; WaveLimiterHint : 0
; COMPUTE_PGM_RSRC2:SCRATCH_EN: 0
; COMPUTE_PGM_RSRC2:USER_SGPR: 6
; COMPUTE_PGM_RSRC2:TRAP_HANDLER: 0
; COMPUTE_PGM_RSRC2:TGID_X_EN: 1
; COMPUTE_PGM_RSRC2:TGID_Y_EN: 0
; COMPUTE_PGM_RSRC2:TGID_Z_EN: 0
; COMPUTE_PGM_RSRC2:TIDIG_COMP_CNT: 0
	.section	.text._ZN2at6native32elementwise_kernel_manual_unrollILi128ELi4EZNS0_15gpu_kernel_implIZZZNS0_15sin_kernel_cudaERNS_18TensorIteratorBaseEENKUlvE0_clEvENKUlvE2_clEvEUlN3c108BFloat16EE_EEvS4_RKT_EUlibE0_EEviT1_,"axG",@progbits,_ZN2at6native32elementwise_kernel_manual_unrollILi128ELi4EZNS0_15gpu_kernel_implIZZZNS0_15sin_kernel_cudaERNS_18TensorIteratorBaseEENKUlvE0_clEvENKUlvE2_clEvEUlN3c108BFloat16EE_EEvS4_RKT_EUlibE0_EEviT1_,comdat
	.globl	_ZN2at6native32elementwise_kernel_manual_unrollILi128ELi4EZNS0_15gpu_kernel_implIZZZNS0_15sin_kernel_cudaERNS_18TensorIteratorBaseEENKUlvE0_clEvENKUlvE2_clEvEUlN3c108BFloat16EE_EEvS4_RKT_EUlibE0_EEviT1_ ; -- Begin function _ZN2at6native32elementwise_kernel_manual_unrollILi128ELi4EZNS0_15gpu_kernel_implIZZZNS0_15sin_kernel_cudaERNS_18TensorIteratorBaseEENKUlvE0_clEvENKUlvE2_clEvEUlN3c108BFloat16EE_EEvS4_RKT_EUlibE0_EEviT1_
	.p2align	8
	.type	_ZN2at6native32elementwise_kernel_manual_unrollILi128ELi4EZNS0_15gpu_kernel_implIZZZNS0_15sin_kernel_cudaERNS_18TensorIteratorBaseEENKUlvE0_clEvENKUlvE2_clEvEUlN3c108BFloat16EE_EEvS4_RKT_EUlibE0_EEviT1_,@function
_ZN2at6native32elementwise_kernel_manual_unrollILi128ELi4EZNS0_15gpu_kernel_implIZZZNS0_15sin_kernel_cudaERNS_18TensorIteratorBaseEENKUlvE0_clEvENKUlvE2_clEvEUlN3c108BFloat16EE_EEvS4_RKT_EUlibE0_EEviT1_: ; @_ZN2at6native32elementwise_kernel_manual_unrollILi128ELi4EZNS0_15gpu_kernel_implIZZZNS0_15sin_kernel_cudaERNS_18TensorIteratorBaseEENKUlvE0_clEvENKUlvE2_clEvEUlN3c108BFloat16EE_EEvS4_RKT_EUlibE0_EEviT1_
; %bb.0:
	s_load_dword s70, s[4:5], 0x0
	s_load_dword s33, s[4:5], 0x8
	s_add_u32 s34, s4, 8
	s_addc_u32 s35, s5, 0
	v_lshl_or_b32 v8, s6, 9, v0
	v_or_b32_e32 v15, 0x180, v8
	s_waitcnt lgkmcnt(0)
	s_add_i32 s72, s33, -1
	s_cmp_gt_u32 s72, 1
	v_cmp_le_i32_e32 vcc, s70, v15
	s_cselect_b64 s[42:43], -1, 0
	s_mov_b64 s[40:41], 0
	s_mov_b64 s[6:7], 0
	s_and_saveexec_b64 s[0:1], vcc
	s_xor_b64 s[44:45], exec, s[0:1]
	s_cbranch_execz .LBB35_1102
; %bb.1:
	v_mov_b32_e32 v0, 0
	global_load_ushort v0, v0, s[34:35] offset:345
	s_load_dwordx4 s[36:39], s[34:35], 0x4
	s_load_dwordx2 s[46:47], s[34:35], 0x14
	s_load_dwordx4 s[28:31], s[34:35], 0xc4
	s_load_dwordx4 s[24:27], s[34:35], 0x148
	s_cmp_lg_u32 s33, 0
	s_cselect_b64 s[52:53], -1, 0
	s_add_u32 s50, s34, 0xc4
	s_addc_u32 s51, s35, 0
	s_min_u32 s75, s72, 15
	s_cmp_gt_u32 s33, 1
	s_cselect_b64 s[48:49], -1, 0
	v_cmp_gt_i32_e32 vcc, s70, v8
	s_mov_b64 s[2:3], -1
	s_mov_b64 s[62:63], 0
	s_mov_b64 s[56:57], 0
	;; [unrolled: 1-line block ×3, first 2 shown]
	s_waitcnt vmcnt(0)
	v_readfirstlane_b32 s73, v0
	s_and_b32 s0, 0xffff, s73
	s_lshr_b32 s74, s0, 8
	s_and_saveexec_b64 s[58:59], vcc
	s_cbranch_execz .LBB35_270
; %bb.2:
	s_andn2_b64 vcc, exec, s[42:43]
	s_cbranch_vccnz .LBB35_7
; %bb.3:
	s_andn2_b64 vcc, exec, s[52:53]
	s_cbranch_vccnz .LBB35_8
; %bb.4:
	s_add_i32 s57, s75, 1
	s_cmp_eq_u32 s72, 2
	s_cbranch_scc1 .LBB35_9
; %bb.5:
	s_and_b32 s56, s57, 28
	v_mov_b32_e32 v2, 0
	s_mov_b32 s60, 0
	s_mov_b64 s[6:7], s[34:35]
	s_mov_b64 s[54:55], s[50:51]
	v_mov_b32_e32 v0, 0
	v_mov_b32_e32 v1, v8
.LBB35_6:                               ; =>This Inner Loop Header: Depth=1
	s_load_dwordx8 s[16:23], s[6:7], 0x4
	s_load_dwordx4 s[0:3], s[6:7], 0x24
	s_load_dwordx8 s[8:15], s[54:55], 0x0
	s_add_u32 s6, s6, 48
	s_addc_u32 s7, s7, 0
	s_waitcnt lgkmcnt(0)
	v_mul_hi_u32 v3, s17, v1
	s_add_i32 s60, s60, 4
	s_add_u32 s54, s54, 32
	s_addc_u32 s55, s55, 0
	v_add_u32_e32 v3, v1, v3
	v_lshrrev_b32_e32 v3, s18, v3
	v_mul_lo_u32 v4, v3, s16
	v_mul_hi_u32 v5, s20, v3
	s_cmp_lg_u32 s56, s60
	v_sub_u32_e32 v1, v1, v4
	v_add_u32_e32 v4, v3, v5
	v_mul_lo_u32 v5, v1, s8
	v_mul_lo_u32 v6, v1, s9
	v_lshrrev_b32_e32 v1, s21, v4
	v_mul_lo_u32 v4, v1, s19
	v_mul_hi_u32 v7, s23, v1
	v_sub_u32_e32 v3, v3, v4
	v_add_u32_e32 v4, v1, v7
	v_lshrrev_b32_e32 v4, s0, v4
	v_mul_hi_u32 v9, s2, v4
	v_mul_lo_u32 v10, v4, s22
	v_mul_lo_u32 v7, v3, s10
	;; [unrolled: 1-line block ×3, first 2 shown]
	v_sub_u32_e32 v10, v1, v10
	v_add_u32_e32 v1, v4, v9
	v_lshrrev_b32_e32 v1, s3, v1
	v_mul_lo_u32 v9, v1, s1
	v_mul_lo_u32 v11, v10, s12
	;; [unrolled: 1-line block ×3, first 2 shown]
	v_add3_u32 v0, v5, v0, v7
	v_sub_u32_e32 v4, v4, v9
	v_mul_lo_u32 v9, v4, s14
	v_mul_lo_u32 v4, v4, s15
	v_add3_u32 v2, v6, v2, v3
	v_add3_u32 v0, v11, v0, v9
	v_add3_u32 v2, v10, v2, v4
	s_cbranch_scc1 .LBB35_6
	s_branch .LBB35_10
.LBB35_7:
                                        ; implicit-def: $vgpr0
                                        ; implicit-def: $vgpr2
	s_branch .LBB35_14
.LBB35_8:
	v_mov_b32_e32 v0, 0
	v_mov_b32_e32 v2, 0
	s_branch .LBB35_13
.LBB35_9:
	s_mov_b32 s56, 0
	v_mov_b32_e32 v0, 0
	v_mov_b32_e32 v2, 0
	v_mov_b32_e32 v1, v8
.LBB35_10:
	s_and_b32 s6, s57, 3
	s_cmp_eq_u32 s6, 0
	s_cbranch_scc1 .LBB35_13
; %bb.11:
	s_lshl_b32 s0, s56, 3
	s_add_u32 s0, s34, s0
	s_addc_u32 s1, s35, 0
	s_add_u32 s0, s0, 0xc4
	s_addc_u32 s1, s1, 0
	s_mul_i32 s2, s56, 12
	s_add_u32 s2, s34, s2
	s_addc_u32 s3, s35, 0
.LBB35_12:                              ; =>This Inner Loop Header: Depth=1
	s_load_dwordx2 s[8:9], s[2:3], 0x4
	s_load_dword s7, s[2:3], 0xc
	s_load_dwordx2 s[10:11], s[0:1], 0x0
	s_add_u32 s2, s2, 12
	s_addc_u32 s3, s3, 0
	s_waitcnt lgkmcnt(0)
	v_mul_hi_u32 v3, s9, v1
	s_add_u32 s0, s0, 8
	s_addc_u32 s1, s1, 0
	s_add_i32 s6, s6, -1
	v_add_u32_e32 v3, v1, v3
	v_lshrrev_b32_e32 v4, s7, v3
	v_mul_lo_u32 v3, v4, s8
	s_cmp_lg_u32 s6, 0
	v_sub_u32_e32 v3, v1, v3
	v_mad_u64_u32 v[0:1], s[8:9], v3, s10, v[0:1]
	v_mad_u64_u32 v[2:3], s[8:9], v3, s11, v[2:3]
	v_mov_b32_e32 v1, v4
	s_cbranch_scc1 .LBB35_12
.LBB35_13:
	s_cbranch_execnz .LBB35_16
.LBB35_14:
	s_waitcnt lgkmcnt(0)
	v_mul_hi_u32 v0, s37, v8
	s_andn2_b64 vcc, exec, s[48:49]
	v_add_u32_e32 v0, v8, v0
	v_lshrrev_b32_e32 v1, s38, v0
	v_mul_lo_u32 v0, v1, s36
	v_sub_u32_e32 v2, v8, v0
	v_mul_lo_u32 v0, v2, s28
	v_mul_lo_u32 v2, v2, s29
	s_cbranch_vccnz .LBB35_16
; %bb.15:
	v_mul_hi_u32 v3, s46, v1
	v_add_u32_e32 v3, v1, v3
	v_lshrrev_b32_e32 v3, s47, v3
	v_mul_lo_u32 v3, v3, s39
	v_sub_u32_e32 v3, v1, v3
	v_mad_u64_u32 v[0:1], s[0:1], v3, s30, v[0:1]
	v_mad_u64_u32 v[2:3], s[0:1], v3, s31, v[2:3]
.LBB35_16:
	s_waitcnt lgkmcnt(0)
	v_mov_b32_e32 v3, s27
	s_and_b32 s10, 0xffff, s74
	v_add_co_u32_e32 v1, vcc, s26, v2
	s_cmp_lt_i32 s10, 11
	v_addc_co_u32_e32 v2, vcc, 0, v3, vcc
	s_cbranch_scc1 .LBB35_23
; %bb.17:
	s_cmp_gt_i32 s10, 25
	s_cbranch_scc0 .LBB35_36
; %bb.18:
	s_cmp_gt_i32 s10, 28
	s_cbranch_scc0 .LBB35_39
	;; [unrolled: 3-line block ×4, first 2 shown]
; %bb.21:
	s_cmp_eq_u32 s10, 46
	s_mov_b64 s[2:3], 0
	s_cbranch_scc0 .LBB35_45
; %bb.22:
	global_load_dword v3, v[1:2], off
	s_mov_b64 s[0:1], -1
	s_mov_b64 s[8:9], 0
	s_branch .LBB35_47
.LBB35_23:
	s_mov_b64 s[8:9], 0
                                        ; implicit-def: $vgpr3
	s_mov_b64 s[0:1], 0
	s_cbranch_execnz .LBB35_220
.LBB35_24:
	s_andn2_b64 vcc, exec, s[0:1]
	s_cbranch_vccnz .LBB35_267
.LBB35_25:
	s_waitcnt vmcnt(0)
	v_lshlrev_b32_e32 v1, 16, v3
	s_brev_b32 s0, 18
	v_and_b32_e32 v2, 0x7fffffff, v1
	v_cmp_nlt_f32_e64 s[0:1], |v1|, s0
                                        ; implicit-def: $vgpr3
                                        ; implicit-def: $vgpr4
	s_and_saveexec_b64 s[2:3], s[0:1]
	s_xor_b64 s[10:11], exec, s[2:3]
	s_cbranch_execz .LBB35_27
; %bb.26:
	v_and_b32_e32 v3, 0x7fffff, v2
	v_or_b32_e32 v14, 0x800000, v3
	s_mov_b32 s0, 0xfe5163ab
	v_mad_u64_u32 v[3:4], s[0:1], v14, s0, 0
	v_mov_b32_e32 v5, 0
	s_mov_b32 s0, 0x3c439041
	v_mad_u64_u32 v[6:7], s[0:1], v14, s0, v[4:5]
	s_mov_b32 s0, 0xdb629599
	v_not_b32_e32 v15, 31
	v_mov_b32_e32 v4, v7
	v_mad_u64_u32 v[9:10], s[0:1], v14, s0, v[4:5]
	s_mov_b32 s0, 0xf534ddc0
	v_not_b32_e32 v7, 63
	v_mov_b32_e32 v4, v10
	v_mad_u64_u32 v[10:11], s[0:1], v14, s0, v[4:5]
	v_lshrrev_b32_e32 v4, 23, v2
	v_add_u32_e32 v13, 0xffffff88, v4
	v_mov_b32_e32 v4, v11
	s_mov_b32 s0, 0xfc2757d1
	v_mad_u64_u32 v[11:12], s[0:1], v14, s0, v[4:5]
	v_cmp_lt_u32_e32 vcc, 63, v13
	v_cndmask_b32_e32 v4, 0, v7, vcc
	v_add_u32_e32 v7, v4, v13
	v_mov_b32_e32 v4, v12
	s_mov_b32 s0, 0x4e441529
	v_mad_u64_u32 v[12:13], s[0:1], v14, s0, v[4:5]
	v_cmp_lt_u32_e64 s[0:1], 31, v7
	v_cndmask_b32_e64 v4, 0, v15, s[0:1]
	v_add_u32_e32 v7, v4, v7
	v_mov_b32_e32 v4, v13
	s_mov_b32 s2, 0xa2f9836e
	v_mad_u64_u32 v[4:5], s[2:3], v14, s2, v[4:5]
	v_cmp_lt_u32_e64 s[2:3], 31, v7
	v_cndmask_b32_e64 v13, 0, v15, s[2:3]
	v_add_u32_e32 v7, v13, v7
	v_cndmask_b32_e32 v13, v12, v10, vcc
	v_cndmask_b32_e32 v4, v4, v11, vcc
	;; [unrolled: 1-line block ×3, first 2 shown]
	v_cndmask_b32_e64 v14, v4, v13, s[0:1]
	v_cndmask_b32_e64 v4, v5, v4, s[0:1]
	v_cndmask_b32_e32 v5, v11, v9, vcc
	v_cndmask_b32_e64 v11, v13, v5, s[0:1]
	v_cndmask_b32_e64 v4, v4, v14, s[2:3]
	;; [unrolled: 1-line block ×3, first 2 shown]
	v_sub_u32_e32 v13, 32, v7
	v_alignbit_b32 v14, v4, v12, v13
	v_cmp_eq_u32_e64 s[6:7], 0, v7
	v_cndmask_b32_e64 v7, v14, v4, s[6:7]
	v_cndmask_b32_e32 v4, v10, v6, vcc
	v_cndmask_b32_e64 v5, v5, v4, s[0:1]
	v_cndmask_b32_e64 v6, v11, v5, s[2:3]
	v_alignbit_b32 v10, v12, v6, v13
	v_cndmask_b32_e32 v3, v9, v3, vcc
	v_cndmask_b32_e64 v10, v10, v12, s[6:7]
	v_bfe_u32 v14, v7, 29, 1
	v_cndmask_b32_e64 v3, v4, v3, s[0:1]
	v_alignbit_b32 v11, v7, v10, 30
	v_sub_u32_e32 v15, 0, v14
	v_cndmask_b32_e64 v3, v5, v3, s[2:3]
	v_xor_b32_e32 v11, v11, v15
	v_alignbit_b32 v4, v6, v3, v13
	v_cndmask_b32_e64 v4, v4, v6, s[6:7]
	v_ffbh_u32_e32 v6, v11
	v_alignbit_b32 v5, v10, v4, 30
	v_min_u32_e32 v6, 32, v6
	v_alignbit_b32 v3, v4, v3, 30
	v_xor_b32_e32 v5, v5, v15
	v_sub_u32_e32 v9, 31, v6
	v_xor_b32_e32 v3, v3, v15
	v_alignbit_b32 v10, v11, v5, v9
	v_alignbit_b32 v3, v5, v3, v9
	;; [unrolled: 1-line block ×3, first 2 shown]
	v_ffbh_u32_e32 v5, v4
	v_min_u32_e32 v5, 32, v5
	v_lshrrev_b32_e32 v12, 29, v7
	v_not_b32_e32 v9, v5
	v_alignbit_b32 v3, v4, v3, v9
	v_lshlrev_b32_e32 v4, 31, v12
	v_or_b32_e32 v9, 0x33000000, v4
	v_add_lshl_u32 v5, v5, v6, 23
	v_lshrrev_b32_e32 v3, 9, v3
	v_sub_u32_e32 v5, v9, v5
	v_or_b32_e32 v4, 0.5, v4
	v_lshlrev_b32_e32 v6, 23, v6
	v_or_b32_e32 v3, v5, v3
	v_lshrrev_b32_e32 v5, 9, v10
	v_sub_u32_e32 v4, v4, v6
	v_or_b32_e32 v4, v5, v4
	s_mov_b32 s0, 0x3fc90fda
	v_mul_f32_e32 v5, 0x3fc90fda, v4
	v_fma_f32 v6, v4, s0, -v5
	v_fmac_f32_e32 v6, 0x33a22168, v4
	v_fmac_f32_e32 v6, 0x3fc90fda, v3
	v_lshrrev_b32_e32 v3, 30, v7
	v_add_f32_e32 v4, v5, v6
	v_add_u32_e32 v3, v14, v3
.LBB35_27:
	s_andn2_saveexec_b64 s[0:1], s[10:11]
	s_cbranch_execz .LBB35_29
; %bb.28:
	s_mov_b32 s2, 0x3f22f983
	v_mul_f32_e64 v3, |v1|, s2
	v_rndne_f32_e32 v5, v3
	s_mov_b32 s2, 0xbfc90fda
	v_cvt_i32_f32_e32 v3, v5
	v_fma_f32 v4, v5, s2, |v1|
	v_fmac_f32_e32 v4, 0xb3a22168, v5
	v_fmac_f32_e32 v4, 0xa7c234c4, v5
.LBB35_29:
	s_or_b64 exec, exec, s[0:1]
	v_mul_f32_e32 v5, v4, v4
	v_mov_b32_e32 v6, 0x3c0881c4
	v_fmac_f32_e32 v6, 0xb94c1982, v5
	v_mov_b32_e32 v7, 0xbe2aaa9d
	v_fmac_f32_e32 v7, v5, v6
	v_mul_f32_e32 v6, v5, v7
	v_fmac_f32_e32 v4, v4, v6
	v_mov_b32_e32 v6, 0xbab64f3b
	v_fmac_f32_e32 v6, 0x37d75334, v5
	v_mov_b32_e32 v7, 0x3d2aabf7
	;; [unrolled: 2-line block ×3, first 2 shown]
	v_fmac_f32_e32 v6, v5, v7
	v_fma_f32 v5, v5, v6, 1.0
	v_and_b32_e32 v6, 1, v3
	v_lshlrev_b32_e32 v3, 30, v3
	v_cmp_eq_u32_e32 vcc, 0, v6
	v_and_b32_e32 v3, 0x80000000, v3
	v_cndmask_b32_e32 v4, v5, v4, vcc
	v_xor_b32_e32 v2, v2, v3
	v_xor_b32_e32 v2, v2, v4
	s_movk_i32 s0, 0x1f8
	v_xor_b32_e32 v2, v2, v1
	v_mov_b32_e32 v3, 0x7fc00000
	v_cmp_class_f32_e64 vcc, v1, s0
	v_cndmask_b32_e32 v1, v3, v2, vcc
	v_bfe_u32 v2, v1, 16, 1
	s_movk_i32 s0, 0x7fff
	v_add3_u32 v2, v1, v2, s0
	v_cmp_o_f32_e32 vcc, v1, v1
	v_mov_b32_e32 v1, 0x7fc0
	v_cndmask_b32_sdwa v2, v1, v2, vcc dst_sel:DWORD dst_unused:UNUSED_PAD src0_sel:DWORD src1_sel:WORD_1
	v_mov_b32_e32 v1, s25
	s_and_b32 s12, s73, 0xff
	v_add_co_u32_e32 v0, vcc, s24, v0
	s_cmp_lt_i32 s12, 11
	v_addc_co_u32_e32 v1, vcc, 0, v1, vcc
	s_cbranch_scc1 .LBB35_37
; %bb.30:
	s_and_b32 s13, 0xffff, s12
	s_cmp_gt_i32 s13, 25
	s_cbranch_scc0 .LBB35_40
; %bb.31:
	s_cmp_gt_i32 s13, 28
	s_cbranch_scc0 .LBB35_42
; %bb.32:
	;; [unrolled: 3-line block ×4, first 2 shown]
	s_mov_b64 s[6:7], 0
	s_mov_b64 s[0:1], -1
	s_cmp_eq_u32 s13, 46
	s_mov_b64 s[2:3], 0
	s_cbranch_scc0 .LBB35_51
; %bb.35:
	v_and_b32_e32 v3, 0xffff, v2
	global_store_dword v[0:1], v3, off
	s_mov_b64 s[2:3], -1
	s_mov_b64 s[0:1], 0
	s_branch .LBB35_51
.LBB35_36:
	s_mov_b64 s[8:9], 0
	s_mov_b64 s[0:1], 0
                                        ; implicit-def: $vgpr3
	s_cbranch_execnz .LBB35_185
	s_branch .LBB35_219
.LBB35_37:
	s_mov_b64 s[0:1], 0
	s_mov_b64 s[2:3], 0
	s_cbranch_execnz .LBB35_120
.LBB35_38:
	s_andn2_b64 vcc, exec, s[2:3]
	s_cbranch_vccnz .LBB35_268
	s_branch .LBB35_158
.LBB35_39:
	s_mov_b64 s[2:3], -1
	s_mov_b64 s[8:9], 0
	s_mov_b64 s[0:1], 0
                                        ; implicit-def: $vgpr3
	s_branch .LBB35_166
.LBB35_40:
	s_mov_b64 s[6:7], -1
	s_mov_b64 s[0:1], 0
	s_mov_b64 s[2:3], 0
	s_branch .LBB35_78
.LBB35_41:
	s_mov_b64 s[2:3], -1
	s_mov_b64 s[8:9], 0
	s_mov_b64 s[0:1], 0
                                        ; implicit-def: $vgpr3
	s_branch .LBB35_161
.LBB35_42:
	s_mov_b64 s[6:7], -1
	s_mov_b64 s[0:1], 0
	s_mov_b64 s[2:3], 0
	s_branch .LBB35_61
.LBB35_43:
	s_mov_b64 s[2:3], -1
	s_mov_b64 s[8:9], 0
	s_branch .LBB35_46
.LBB35_44:
	s_mov_b64 s[6:7], -1
	s_mov_b64 s[0:1], 0
	s_mov_b64 s[2:3], 0
	s_branch .LBB35_57
.LBB35_45:
	s_mov_b64 s[8:9], -1
.LBB35_46:
	s_mov_b64 s[0:1], 0
                                        ; implicit-def: $vgpr3
.LBB35_47:
	s_and_b64 vcc, exec, s[2:3]
	s_cbranch_vccz .LBB35_160
; %bb.48:
	s_cmp_eq_u32 s10, 44
	s_cbranch_scc0 .LBB35_159
; %bb.49:
	global_load_ubyte v3, v[1:2], off
	s_movk_i32 s2, 0xff
	v_mov_b32_e32 v4, 0x7f800001
	v_mov_b32_e32 v5, 0x400000
	;; [unrolled: 1-line block ×3, first 2 shown]
	s_mov_b64 s[0:1], -1
	s_mov_b64 s[8:9], 0
	s_waitcnt vmcnt(0)
	v_lshlrev_b32_e32 v7, 23, v3
	v_cmp_ne_u32_e32 vcc, s2, v3
	v_cndmask_b32_e32 v4, v4, v7, vcc
	v_cmp_ne_u32_e32 vcc, 0, v3
	v_cndmask_b32_e32 v3, v5, v4, vcc
	v_add_u32_e32 v4, 0x7fff, v3
	v_cmp_o_f32_e32 vcc, v3, v3
	v_cndmask_b32_sdwa v3, v6, v4, vcc dst_sel:DWORD dst_unused:UNUSED_PAD src0_sel:DWORD src1_sel:WORD_1
	s_branch .LBB35_160
.LBB35_50:
	s_mov_b64 s[6:7], -1
	s_mov_b64 s[0:1], 0
	s_mov_b64 s[2:3], 0
.LBB35_51:
	s_and_b64 vcc, exec, s[6:7]
	s_cbranch_vccz .LBB35_56
; %bb.52:
	s_cmp_eq_u32 s13, 44
	s_mov_b64 s[0:1], -1
	s_cbranch_scc0 .LBB35_56
; %bb.53:
	v_and_b32_e32 v4, 0xffff, v2
	v_bfe_u32 v3, v4, 7, 8
	s_movk_i32 s0, 0xff
	v_cmp_ne_u32_e32 vcc, s0, v3
	v_mov_b32_e32 v5, 0xff
	s_and_saveexec_b64 s[2:3], vcc
	s_cbranch_execz .LBB35_55
; %bb.54:
	v_lshlrev_b32_e32 v6, 16, v4
	s_mov_b32 s0, 0x3f0000
	v_lshrrev_b32_e32 v5, 7, v4
	v_and_b32_e32 v4, 64, v4
	v_and_or_b32 v3, v6, s0, v3
	v_cmp_ne_u32_e32 vcc, 0, v4
	v_cmp_ne_u32_e64 s[0:1], 0, v3
	s_and_b64 s[0:1], vcc, s[0:1]
	v_cndmask_b32_e64 v3, 0, 1, s[0:1]
	v_add_u32_e32 v5, v5, v3
.LBB35_55:
	s_or_b64 exec, exec, s[2:3]
	s_mov_b64 s[2:3], -1
	s_mov_b64 s[0:1], 0
	global_store_byte v[0:1], v5, off
.LBB35_56:
	s_mov_b64 s[6:7], 0
.LBB35_57:
	s_and_b64 vcc, exec, s[6:7]
	s_cbranch_vccz .LBB35_60
; %bb.58:
	s_cmp_eq_u32 s13, 29
	s_mov_b64 s[0:1], -1
	s_cbranch_scc0 .LBB35_60
; %bb.59:
	v_lshlrev_b32_e32 v3, 16, v2
	v_trunc_f32_e32 v3, v3
	v_mul_f32_e32 v4, 0x2f800000, v3
	v_floor_f32_e32 v5, v4
	v_fmac_f32_e32 v3, 0xcf800000, v5
	v_cvt_u32_f32_e32 v4, v5
	v_cvt_u32_f32_e32 v3, v3
	s_mov_b64 s[2:3], -1
	s_mov_b64 s[0:1], 0
	s_mov_b64 s[6:7], 0
	global_store_dwordx2 v[0:1], v[3:4], off
	s_branch .LBB35_61
.LBB35_60:
	s_mov_b64 s[6:7], 0
.LBB35_61:
	s_and_b64 vcc, exec, s[6:7]
	s_cbranch_vccz .LBB35_77
; %bb.62:
	s_cmp_lt_i32 s13, 27
	s_mov_b64 s[2:3], -1
	s_cbranch_scc1 .LBB35_68
; %bb.63:
	s_cmp_gt_i32 s13, 27
	s_cbranch_scc0 .LBB35_65
; %bb.64:
	v_lshlrev_b32_e32 v3, 16, v2
	v_cvt_u32_f32_e32 v3, v3
	s_mov_b64 s[2:3], 0
	global_store_dword v[0:1], v3, off
.LBB35_65:
	s_andn2_b64 vcc, exec, s[2:3]
	s_cbranch_vccnz .LBB35_67
; %bb.66:
	v_lshlrev_b32_e32 v3, 16, v2
	v_cvt_u32_f32_e32 v3, v3
	global_store_short v[0:1], v3, off
.LBB35_67:
	s_mov_b64 s[2:3], 0
.LBB35_68:
	s_andn2_b64 vcc, exec, s[2:3]
	s_cbranch_vccnz .LBB35_76
; %bb.69:
	v_lshlrev_b32_e32 v5, 16, v2
	v_and_b32_e32 v4, 0x7fffffff, v5
	s_mov_b32 s2, 0x43800000
	v_cmp_gt_u32_e32 vcc, s2, v4
	v_mov_b32_e32 v6, 0x80
	s_and_saveexec_b64 s[2:3], vcc
	s_cbranch_execz .LBB35_75
; %bb.70:
	s_mov_b32 s6, 0x3bffffff
	v_and_b32_e32 v3, 0xffff, v2
	v_cmp_lt_u32_e32 vcc, s6, v4
	s_mov_b64 s[6:7], 0
                                        ; implicit-def: $vgpr4
	s_and_saveexec_b64 s[10:11], vcc
	s_xor_b64 s[10:11], exec, s[10:11]
	s_cbranch_execz .LBB35_315
; %bb.71:
	v_bfe_u32 v4, v3, 4, 1
	s_mov_b32 s14, 0x487ffff
	v_add3_u32 v4, v5, v4, s14
	s_mov_b64 s[6:7], exec
	v_lshrrev_b32_e32 v4, 20, v4
                                        ; implicit-def: $vgpr5
	s_andn2_saveexec_b64 s[10:11], s[10:11]
	s_cbranch_execnz .LBB35_316
.LBB35_72:
	s_or_b64 exec, exec, s[10:11]
	v_mov_b32_e32 v6, 0
	s_and_saveexec_b64 s[10:11], s[6:7]
.LBB35_73:
	v_lshrrev_b32_e32 v3, 8, v3
	s_movk_i32 s6, 0x80
	v_and_or_b32 v6, v3, s6, v4
.LBB35_74:
	s_or_b64 exec, exec, s[10:11]
.LBB35_75:
	s_or_b64 exec, exec, s[2:3]
	global_store_byte v[0:1], v6, off
.LBB35_76:
	s_mov_b64 s[2:3], -1
.LBB35_77:
	s_mov_b64 s[6:7], 0
.LBB35_78:
	s_and_b64 vcc, exec, s[6:7]
	s_cbranch_vccz .LBB35_119
; %bb.79:
	s_cmp_gt_i32 s13, 22
	s_mov_b64 s[6:7], -1
	s_cbranch_scc0 .LBB35_111
; %bb.80:
	s_cmp_lt_i32 s13, 24
	s_mov_b64 s[2:3], -1
	s_cbranch_scc1 .LBB35_100
; %bb.81:
	s_cmp_gt_i32 s13, 24
	s_cbranch_scc0 .LBB35_89
; %bb.82:
	v_lshlrev_b32_e32 v5, 16, v2
	v_and_b32_e32 v4, 0x7fffffff, v5
	s_mov_b32 s2, 0x47800000
	v_cmp_gt_u32_e32 vcc, s2, v4
	v_mov_b32_e32 v6, 0x80
	s_and_saveexec_b64 s[2:3], vcc
	s_cbranch_execz .LBB35_88
; %bb.83:
	s_mov_b32 s6, 0x37ffffff
	v_and_b32_e32 v3, 0xffff, v2
	v_cmp_lt_u32_e32 vcc, s6, v4
	s_mov_b64 s[6:7], 0
                                        ; implicit-def: $vgpr4
	s_and_saveexec_b64 s[10:11], vcc
	s_xor_b64 s[10:11], exec, s[10:11]
	s_cbranch_execz .LBB35_319
; %bb.84:
	v_bfe_u32 v4, v3, 5, 1
	s_mov_b32 s14, 0x88fffff
	v_add3_u32 v4, v5, v4, s14
	s_mov_b64 s[6:7], exec
	v_lshrrev_b32_e32 v4, 21, v4
                                        ; implicit-def: $vgpr5
	s_andn2_saveexec_b64 s[10:11], s[10:11]
	s_cbranch_execnz .LBB35_320
.LBB35_85:
	s_or_b64 exec, exec, s[10:11]
	v_mov_b32_e32 v6, 0
	s_and_saveexec_b64 s[10:11], s[6:7]
.LBB35_86:
	v_lshrrev_b32_e32 v3, 8, v3
	s_movk_i32 s6, 0x80
	v_and_or_b32 v6, v3, s6, v4
.LBB35_87:
	s_or_b64 exec, exec, s[10:11]
.LBB35_88:
	s_or_b64 exec, exec, s[2:3]
	s_mov_b64 s[2:3], 0
	global_store_byte v[0:1], v6, off
.LBB35_89:
	s_and_b64 vcc, exec, s[2:3]
	s_cbranch_vccz .LBB35_99
; %bb.90:
	v_lshlrev_b32_e32 v5, 16, v2
	v_and_b32_e32 v6, 0x7fffffff, v5
	s_mov_b32 s2, 0x43f00000
	v_and_b32_e32 v3, 0xffff, v2
	v_cmp_gt_u32_e32 vcc, s2, v6
                                        ; implicit-def: $vgpr4
	s_and_saveexec_b64 s[2:3], vcc
	s_xor_b64 s[2:3], exec, s[2:3]
	s_cbranch_execz .LBB35_96
; %bb.91:
	s_mov_b32 s6, 0x3c7fffff
	v_cmp_lt_u32_e32 vcc, s6, v6
                                        ; implicit-def: $vgpr4
	s_and_saveexec_b64 s[6:7], vcc
	s_xor_b64 s[6:7], exec, s[6:7]
; %bb.92:
	v_bfe_u32 v4, v3, 4, 1
	s_mov_b32 s10, 0x407ffff
	v_add3_u32 v4, v5, v4, s10
	v_lshrrev_b32_e32 v5, 20, v4
	v_and_b32_e32 v4, 0xff00000, v4
	s_mov_b32 s10, 0x7f00000
	v_mov_b32_e32 v6, 0x7e
	v_cmp_ne_u32_e32 vcc, s10, v4
	v_cndmask_b32_e32 v4, v6, v5, vcc
                                        ; implicit-def: $vgpr5
; %bb.93:
	s_andn2_saveexec_b64 s[6:7], s[6:7]
; %bb.94:
	s_mov_b32 s10, 0x46800000
	v_add_f32_e64 v4, |v5|, s10
; %bb.95:
	s_or_b64 exec, exec, s[6:7]
                                        ; implicit-def: $vgpr6
.LBB35_96:
	s_andn2_saveexec_b64 s[2:3], s[2:3]
; %bb.97:
	s_mov_b32 s6, 0x7f800000
	v_mov_b32_e32 v4, 0x7e
	v_mov_b32_e32 v5, 0x7f
	v_cmp_lt_u32_e32 vcc, s6, v6
	v_cndmask_b32_e32 v4, v4, v5, vcc
; %bb.98:
	s_or_b64 exec, exec, s[2:3]
	v_lshrrev_b32_e32 v3, 8, v3
	s_movk_i32 s2, 0x80
	v_and_or_b32 v3, v3, s2, v4
	global_store_byte v[0:1], v3, off
.LBB35_99:
	s_mov_b64 s[2:3], 0
.LBB35_100:
	s_andn2_b64 vcc, exec, s[2:3]
	s_cbranch_vccnz .LBB35_110
; %bb.101:
	v_lshlrev_b32_e32 v5, 16, v2
	v_and_b32_e32 v6, 0x7fffffff, v5
	s_mov_b32 s2, 0x47800000
	v_and_b32_e32 v3, 0xffff, v2
	v_cmp_gt_u32_e32 vcc, s2, v6
                                        ; implicit-def: $vgpr4
	s_and_saveexec_b64 s[2:3], vcc
	s_xor_b64 s[2:3], exec, s[2:3]
	s_cbranch_execz .LBB35_107
; %bb.102:
	s_mov_b32 s6, 0x387fffff
	v_cmp_lt_u32_e32 vcc, s6, v6
                                        ; implicit-def: $vgpr4
	s_and_saveexec_b64 s[6:7], vcc
	s_xor_b64 s[6:7], exec, s[6:7]
; %bb.103:
	v_bfe_u32 v4, v3, 5, 1
	s_mov_b32 s10, 0x80fffff
	v_add3_u32 v4, v5, v4, s10
	v_lshrrev_b32_e32 v4, 21, v4
                                        ; implicit-def: $vgpr5
; %bb.104:
	s_andn2_saveexec_b64 s[6:7], s[6:7]
; %bb.105:
	s_mov_b32 s10, 0x43000000
	v_add_f32_e64 v4, |v5|, s10
; %bb.106:
	s_or_b64 exec, exec, s[6:7]
                                        ; implicit-def: $vgpr6
.LBB35_107:
	s_andn2_saveexec_b64 s[2:3], s[2:3]
; %bb.108:
	s_mov_b32 s6, 0x7f800000
	v_mov_b32_e32 v4, 0x7c
	v_mov_b32_e32 v5, 0x7f
	v_cmp_lt_u32_e32 vcc, s6, v6
	v_cndmask_b32_e32 v4, v4, v5, vcc
; %bb.109:
	s_or_b64 exec, exec, s[2:3]
	v_lshrrev_b32_e32 v3, 8, v3
	s_movk_i32 s2, 0x80
	v_and_or_b32 v3, v3, s2, v4
	global_store_byte v[0:1], v3, off
.LBB35_110:
	s_mov_b64 s[6:7], 0
	s_mov_b64 s[2:3], -1
.LBB35_111:
	s_andn2_b64 vcc, exec, s[6:7]
	s_cbranch_vccnz .LBB35_119
; %bb.112:
	s_cmp_gt_i32 s13, 14
	s_mov_b64 s[6:7], -1
	s_cbranch_scc0 .LBB35_116
; %bb.113:
	s_cmp_eq_u32 s13, 15
	s_mov_b64 s[0:1], -1
	s_cbranch_scc0 .LBB35_115
; %bb.114:
	global_store_short v[0:1], v2, off
	s_mov_b64 s[2:3], -1
	s_mov_b64 s[0:1], 0
.LBB35_115:
	s_mov_b64 s[6:7], 0
.LBB35_116:
	s_and_b64 vcc, exec, s[6:7]
	s_cbranch_vccz .LBB35_119
; %bb.117:
	s_cmp_eq_u32 s13, 11
	s_mov_b64 s[0:1], -1
	s_cbranch_scc0 .LBB35_119
; %bb.118:
	v_and_b32_e32 v3, 0x7fff, v2
	v_cmp_ne_u16_e32 vcc, 0, v3
	v_cndmask_b32_e64 v3, 0, 1, vcc
	s_mov_b64 s[2:3], -1
	s_mov_b64 s[0:1], 0
	global_store_byte v[0:1], v3, off
.LBB35_119:
	s_branch .LBB35_38
.LBB35_120:
	s_and_b32 s6, 0xffff, s12
	s_cmp_lt_i32 s6, 5
	s_mov_b64 s[2:3], -1
	s_cbranch_scc1 .LBB35_141
; %bb.121:
	s_cmp_lt_i32 s6, 8
	s_cbranch_scc1 .LBB35_131
; %bb.122:
	s_cmp_lt_i32 s6, 9
	s_cbranch_scc1 .LBB35_128
; %bb.123:
	s_cmp_gt_i32 s6, 9
	s_cbranch_scc0 .LBB35_125
; %bb.124:
	v_lshlrev_b32_e32 v3, 16, v2
	v_cvt_f64_f32_e32 v[3:4], v3
	v_mov_b32_e32 v5, 0
	v_mov_b32_e32 v6, v5
	s_mov_b64 s[2:3], 0
	global_store_dwordx4 v[0:1], v[3:6], off
.LBB35_125:
	s_andn2_b64 vcc, exec, s[2:3]
	s_cbranch_vccnz .LBB35_127
; %bb.126:
	v_lshlrev_b32_e32 v3, 16, v2
	v_mov_b32_e32 v4, 0
	global_store_dwordx2 v[0:1], v[3:4], off
.LBB35_127:
	s_mov_b64 s[2:3], 0
.LBB35_128:
	s_andn2_b64 vcc, exec, s[2:3]
	s_cbranch_vccnz .LBB35_130
; %bb.129:
	v_lshlrev_b32_e32 v3, 16, v2
	v_cvt_f16_f32_e32 v3, v3
	global_store_dword v[0:1], v3, off
.LBB35_130:
	s_mov_b64 s[2:3], 0
.LBB35_131:
	s_andn2_b64 vcc, exec, s[2:3]
	s_cbranch_vccnz .LBB35_140
; %bb.132:
	s_cmp_lt_i32 s6, 6
	s_mov_b64 s[2:3], -1
	s_cbranch_scc1 .LBB35_138
; %bb.133:
	s_cmp_gt_i32 s6, 6
	s_cbranch_scc0 .LBB35_135
; %bb.134:
	v_lshlrev_b32_e32 v3, 16, v2
	v_cvt_f64_f32_e32 v[3:4], v3
	s_mov_b64 s[2:3], 0
	global_store_dwordx2 v[0:1], v[3:4], off
.LBB35_135:
	s_andn2_b64 vcc, exec, s[2:3]
	s_cbranch_vccnz .LBB35_137
; %bb.136:
	v_lshlrev_b32_e32 v3, 16, v2
	global_store_dword v[0:1], v3, off
.LBB35_137:
	s_mov_b64 s[2:3], 0
.LBB35_138:
	s_andn2_b64 vcc, exec, s[2:3]
	s_cbranch_vccnz .LBB35_140
; %bb.139:
	v_lshlrev_b32_e32 v3, 16, v2
	v_cvt_f16_f32_e32 v3, v3
	global_store_short v[0:1], v3, off
.LBB35_140:
	s_mov_b64 s[2:3], 0
.LBB35_141:
	s_andn2_b64 vcc, exec, s[2:3]
	s_cbranch_vccnz .LBB35_157
; %bb.142:
	s_cmp_lt_i32 s6, 2
	s_mov_b64 s[2:3], -1
	s_cbranch_scc1 .LBB35_152
; %bb.143:
	s_cmp_lt_i32 s6, 3
	s_cbranch_scc1 .LBB35_149
; %bb.144:
	s_cmp_gt_i32 s6, 3
	s_cbranch_scc0 .LBB35_146
; %bb.145:
	v_lshlrev_b32_e32 v3, 16, v2
	v_trunc_f32_e32 v3, v3
	s_mov_b32 s2, 0x2f800000
	v_mul_f32_e64 v4, |v3|, s2
	v_floor_f32_e32 v4, v4
	s_mov_b32 s2, 0xcf800000
	v_cvt_u32_f32_e32 v5, v4
	v_fma_f32 v4, v4, s2, |v3|
	v_cvt_u32_f32_e32 v4, v4
	v_ashrrev_i32_e32 v6, 31, v3
	v_xor_b32_e32 v5, v5, v6
	s_mov_b64 s[2:3], 0
	v_xor_b32_e32 v3, v4, v6
	v_sub_co_u32_e32 v3, vcc, v3, v6
	v_subb_co_u32_e32 v4, vcc, v5, v6, vcc
	global_store_dwordx2 v[0:1], v[3:4], off
.LBB35_146:
	s_andn2_b64 vcc, exec, s[2:3]
	s_cbranch_vccnz .LBB35_148
; %bb.147:
	v_lshlrev_b32_e32 v3, 16, v2
	v_cvt_i32_f32_e32 v3, v3
	global_store_dword v[0:1], v3, off
.LBB35_148:
	s_mov_b64 s[2:3], 0
.LBB35_149:
	s_andn2_b64 vcc, exec, s[2:3]
	s_cbranch_vccnz .LBB35_151
; %bb.150:
	v_lshlrev_b32_e32 v3, 16, v2
	v_cvt_i32_f32_e32 v3, v3
	global_store_short v[0:1], v3, off
.LBB35_151:
	s_mov_b64 s[2:3], 0
.LBB35_152:
	s_andn2_b64 vcc, exec, s[2:3]
	s_cbranch_vccnz .LBB35_157
; %bb.153:
	s_cmp_gt_i32 s6, 0
	s_mov_b64 s[2:3], -1
	s_cbranch_scc0 .LBB35_155
; %bb.154:
	v_lshlrev_b32_e32 v3, 16, v2
	v_cvt_i32_f32_e32 v3, v3
	s_mov_b64 s[2:3], 0
	global_store_byte v[0:1], v3, off
.LBB35_155:
	s_andn2_b64 vcc, exec, s[2:3]
	s_cbranch_vccnz .LBB35_157
; %bb.156:
	v_lshlrev_b32_e32 v2, 16, v2
	v_trunc_f32_e32 v2, v2
	s_mov_b32 s2, 0x2f800000
	v_mul_f32_e64 v3, |v2|, s2
	v_floor_f32_e32 v3, v3
	s_mov_b32 s2, 0xcf800000
	v_fma_f32 v3, v3, s2, |v2|
	v_cvt_u32_f32_e32 v3, v3
	v_ashrrev_i32_e32 v2, 31, v2
	v_xor_b32_e32 v3, v3, v2
	v_sub_u32_e32 v2, v3, v2
	global_store_byte v[0:1], v2, off
.LBB35_157:
.LBB35_158:
	v_add_u32_e32 v8, 0x80, v8
	s_mov_b64 s[2:3], -1
	s_branch .LBB35_269
.LBB35_159:
	s_mov_b64 s[8:9], -1
                                        ; implicit-def: $vgpr3
.LBB35_160:
	s_mov_b64 s[2:3], 0
.LBB35_161:
	s_and_b64 vcc, exec, s[2:3]
	s_cbranch_vccz .LBB35_165
; %bb.162:
	s_cmp_eq_u32 s10, 29
	s_cbranch_scc0 .LBB35_164
; %bb.163:
	global_load_dwordx2 v[3:4], v[1:2], off
	s_movk_i32 s2, 0x7fff
	s_mov_b64 s[0:1], -1
	s_mov_b64 s[8:9], 0
	s_waitcnt vmcnt(0)
	v_ffbh_u32_e32 v5, v4
	v_min_u32_e32 v5, 32, v5
	v_lshlrev_b64 v[3:4], v5, v[3:4]
	v_min_u32_e32 v3, 1, v3
	v_or_b32_e32 v3, v4, v3
	v_cvt_f32_u32_e32 v3, v3
	v_sub_u32_e32 v4, 32, v5
	v_ldexp_f32 v3, v3, v4
	v_bfe_u32 v4, v3, 16, 1
	v_add3_u32 v3, v3, v4, s2
	v_lshrrev_b32_e32 v3, 16, v3
	s_branch .LBB35_165
.LBB35_164:
	s_mov_b64 s[8:9], -1
                                        ; implicit-def: $vgpr3
.LBB35_165:
	s_mov_b64 s[2:3], 0
.LBB35_166:
	s_and_b64 vcc, exec, s[2:3]
	s_cbranch_vccz .LBB35_184
; %bb.167:
	s_cmp_lt_i32 s10, 27
	s_cbranch_scc1 .LBB35_170
; %bb.168:
	s_cmp_gt_i32 s10, 27
	s_cbranch_scc0 .LBB35_171
; %bb.169:
	global_load_dword v3, v[1:2], off
	s_movk_i32 s0, 0x7fff
	s_waitcnt vmcnt(0)
	v_cvt_f32_u32_e32 v3, v3
	v_bfe_u32 v4, v3, 16, 1
	v_add3_u32 v3, v3, v4, s0
	v_lshrrev_b32_e32 v3, 16, v3
	s_mov_b64 s[0:1], 0
	s_branch .LBB35_172
.LBB35_170:
	s_mov_b64 s[0:1], -1
                                        ; implicit-def: $vgpr3
	s_branch .LBB35_175
.LBB35_171:
	s_mov_b64 s[0:1], -1
                                        ; implicit-def: $vgpr3
.LBB35_172:
	s_andn2_b64 vcc, exec, s[0:1]
	s_cbranch_vccnz .LBB35_174
; %bb.173:
	global_load_ushort v3, v[1:2], off
	s_movk_i32 s0, 0x7fff
	s_waitcnt vmcnt(0)
	v_cvt_f32_u32_e32 v3, v3
	v_bfe_u32 v4, v3, 16, 1
	v_add3_u32 v3, v3, v4, s0
	v_lshrrev_b32_e32 v3, 16, v3
.LBB35_174:
	s_mov_b64 s[0:1], 0
.LBB35_175:
	s_andn2_b64 vcc, exec, s[0:1]
	s_cbranch_vccnz .LBB35_183
; %bb.176:
	global_load_ubyte v3, v[1:2], off
	s_movk_i32 s0, 0x7f
	s_waitcnt vmcnt(0)
	v_cmp_lt_i16_e32 vcc, s0, v3
	s_mov_b64 s[0:1], 0
	s_and_saveexec_b64 s[2:3], vcc
	s_xor_b64 s[2:3], exec, s[2:3]
	s_cbranch_execz .LBB35_196
; %bb.177:
	s_movk_i32 s0, 0x80
	v_cmp_eq_u16_e32 vcc, s0, v3
	s_mov_b64 s[0:1], -1
	s_and_saveexec_b64 s[6:7], vcc
; %bb.178:
	s_xor_b64 s[0:1], exec, -1
; %bb.179:
	s_or_b64 exec, exec, s[6:7]
	s_and_b64 s[0:1], s[0:1], exec
	s_or_saveexec_b64 s[2:3], s[2:3]
	v_mov_b32_e32 v4, 0x7f800001
	s_xor_b64 exec, exec, s[2:3]
	s_cbranch_execnz .LBB35_197
.LBB35_180:
	s_or_b64 exec, exec, s[2:3]
	s_and_saveexec_b64 s[2:3], s[0:1]
	s_cbranch_execz .LBB35_182
.LBB35_181:
	v_lshlrev_b32_e32 v4, 24, v3
	v_and_b32_e32 v3, 0xffff, v3
	v_and_b32_e32 v5, 7, v3
	v_ffbh_u32_e32 v7, v5
	v_min_u32_e32 v7, 32, v7
	v_subrev_u32_e32 v9, 28, v7
	v_bfe_u32 v6, v3, 3, 4
	v_lshlrev_b32_e32 v3, v9, v3
	v_sub_u32_e32 v7, 29, v7
	v_and_b32_e32 v3, 7, v3
	v_cmp_eq_u32_e32 vcc, 0, v6
	v_cndmask_b32_e32 v6, v6, v7, vcc
	v_cndmask_b32_e32 v3, v5, v3, vcc
	v_mov_b32_e32 v5, 0x3b800000
	v_lshlrev_b32_e32 v3, 20, v3
	v_and_b32_e32 v4, 0x80000000, v4
	v_lshl_add_u32 v5, v6, 23, v5
	v_or3_b32 v4, v4, v5, v3
.LBB35_182:
	s_or_b64 exec, exec, s[2:3]
	v_bfe_u32 v3, v4, 16, 1
	s_movk_i32 s0, 0x7fff
	v_add3_u32 v3, v4, v3, s0
	v_cmp_o_f32_e32 vcc, v4, v4
	v_mov_b32_e32 v4, 0x7fc0
	v_cndmask_b32_sdwa v3, v4, v3, vcc dst_sel:DWORD dst_unused:UNUSED_PAD src0_sel:DWORD src1_sel:WORD_1
.LBB35_183:
	s_mov_b64 s[0:1], -1
.LBB35_184:
	s_branch .LBB35_219
.LBB35_185:
	s_cmp_gt_i32 s10, 22
	s_cbranch_scc0 .LBB35_195
; %bb.186:
	s_cmp_lt_i32 s10, 24
	s_cbranch_scc1 .LBB35_198
; %bb.187:
	s_cmp_gt_i32 s10, 24
	s_cbranch_scc0 .LBB35_199
; %bb.188:
	global_load_ubyte v3, v[1:2], off
	s_movk_i32 s0, 0x7f
	s_waitcnt vmcnt(0)
	v_cmp_lt_i16_e32 vcc, s0, v3
	s_mov_b64 s[0:1], 0
	s_and_saveexec_b64 s[2:3], vcc
	s_xor_b64 s[2:3], exec, s[2:3]
	s_cbranch_execz .LBB35_211
; %bb.189:
	s_movk_i32 s0, 0x80
	v_cmp_eq_u16_e32 vcc, s0, v3
	s_mov_b64 s[0:1], -1
	s_and_saveexec_b64 s[6:7], vcc
; %bb.190:
	s_xor_b64 s[0:1], exec, -1
; %bb.191:
	s_or_b64 exec, exec, s[6:7]
	s_and_b64 s[0:1], s[0:1], exec
	s_or_saveexec_b64 s[2:3], s[2:3]
	v_mov_b32_e32 v4, 0x7f800001
	s_xor_b64 exec, exec, s[2:3]
	s_cbranch_execnz .LBB35_212
.LBB35_192:
	s_or_b64 exec, exec, s[2:3]
	s_and_saveexec_b64 s[2:3], s[0:1]
	s_cbranch_execz .LBB35_194
.LBB35_193:
	v_lshlrev_b32_e32 v4, 24, v3
	v_and_b32_e32 v3, 0xffff, v3
	v_and_b32_e32 v5, 3, v3
	v_ffbh_u32_e32 v7, v5
	v_min_u32_e32 v7, 32, v7
	v_subrev_u32_e32 v9, 29, v7
	v_bfe_u32 v6, v3, 2, 5
	v_lshlrev_b32_e32 v3, v9, v3
	v_sub_u32_e32 v7, 30, v7
	v_and_b32_e32 v3, 3, v3
	v_cmp_eq_u32_e32 vcc, 0, v6
	v_cndmask_b32_e32 v6, v6, v7, vcc
	v_cndmask_b32_e32 v3, v5, v3, vcc
	v_mov_b32_e32 v5, 0x37800000
	v_lshlrev_b32_e32 v3, 21, v3
	v_and_b32_e32 v4, 0x80000000, v4
	v_lshl_add_u32 v5, v6, 23, v5
	v_or3_b32 v4, v4, v5, v3
.LBB35_194:
	s_or_b64 exec, exec, s[2:3]
	v_bfe_u32 v3, v4, 16, 1
	s_movk_i32 s0, 0x7fff
	v_add3_u32 v3, v4, v3, s0
	v_cmp_o_f32_e32 vcc, v4, v4
	v_mov_b32_e32 v4, 0x7fc0
	v_cndmask_b32_sdwa v3, v4, v3, vcc dst_sel:DWORD dst_unused:UNUSED_PAD src0_sel:DWORD src1_sel:WORD_1
	s_mov_b64 s[0:1], 0
	s_branch .LBB35_200
.LBB35_195:
	s_mov_b64 s[2:3], -1
                                        ; implicit-def: $vgpr3
	s_branch .LBB35_206
.LBB35_196:
	s_or_saveexec_b64 s[2:3], s[2:3]
	v_mov_b32_e32 v4, 0x7f800001
	s_xor_b64 exec, exec, s[2:3]
	s_cbranch_execz .LBB35_180
.LBB35_197:
	v_cmp_ne_u16_e32 vcc, 0, v3
	s_andn2_b64 s[0:1], s[0:1], exec
	s_and_b64 s[6:7], vcc, exec
	v_mov_b32_e32 v4, 0
	s_or_b64 s[0:1], s[0:1], s[6:7]
	s_or_b64 exec, exec, s[2:3]
	s_and_saveexec_b64 s[2:3], s[0:1]
	s_cbranch_execnz .LBB35_181
	s_branch .LBB35_182
.LBB35_198:
	s_mov_b64 s[0:1], -1
                                        ; implicit-def: $vgpr3
	s_branch .LBB35_203
.LBB35_199:
	s_mov_b64 s[0:1], -1
                                        ; implicit-def: $vgpr3
.LBB35_200:
	s_and_b64 vcc, exec, s[0:1]
	s_cbranch_vccz .LBB35_202
; %bb.201:
	global_load_ubyte v3, v[1:2], off
	s_mov_b32 s0, 0x7f800000
	s_brev_b32 s1, 1
	s_movk_i32 s2, 0x7fff
	s_waitcnt vmcnt(0)
	v_lshlrev_b32_e32 v3, 24, v3
	v_and_b32_e32 v4, 0x7f000000, v3
	v_ffbh_u32_e32 v5, v4
	v_min_u32_e32 v5, 32, v5
	v_sub_u32_e64 v5, v5, 4 clamp
	v_lshlrev_b32_e32 v7, v5, v4
	v_lshlrev_b32_e32 v5, 23, v5
	v_lshrrev_b32_e32 v7, 4, v7
	v_add_u32_e32 v6, 0x1000000, v4
	v_sub_u32_e32 v5, v7, v5
	v_ashrrev_i32_e32 v6, 8, v6
	v_add_u32_e32 v5, 0x3c000000, v5
	v_and_or_b32 v5, v6, s0, v5
	v_cmp_ne_u32_e32 vcc, 0, v4
	v_cndmask_b32_e32 v4, 0, v5, vcc
	v_and_or_b32 v3, v3, s1, v4
	v_bfe_u32 v4, v4, 16, 1
	v_add3_u32 v4, v3, v4, s2
	v_cmp_o_f32_e32 vcc, v3, v3
	v_mov_b32_e32 v3, 0x7fc0
	v_cndmask_b32_sdwa v3, v3, v4, vcc dst_sel:DWORD dst_unused:UNUSED_PAD src0_sel:DWORD src1_sel:WORD_1
.LBB35_202:
	s_mov_b64 s[0:1], 0
.LBB35_203:
	s_andn2_b64 vcc, exec, s[0:1]
	s_cbranch_vccnz .LBB35_205
; %bb.204:
	global_load_ubyte v3, v[1:2], off
	s_movk_i32 s0, 0x7f00
	s_brev_b32 s1, 16
	s_brev_b32 s2, 1
	s_movk_i32 s3, 0x7fff
	s_waitcnt vmcnt(0)
	v_lshlrev_b16_e32 v4, 8, v3
	v_lshlrev_b32_e32 v3, 25, v3
	v_lshrrev_b32_e32 v5, 4, v3
	v_and_or_b32 v6, v4, s0, 0.5
	v_or_b32_e32 v5, 0x70000000, v5
	v_add_f32_e32 v6, -0.5, v6
	v_mul_f32_e32 v5, 0x7800000, v5
	v_cmp_gt_u32_e32 vcc, s1, v3
	v_bfe_i32 v4, v4, 0, 16
	v_cndmask_b32_e32 v3, v5, v6, vcc
	v_and_or_b32 v4, v4, s2, v3
	v_bfe_u32 v3, v3, 16, 1
	v_add3_u32 v3, v4, v3, s3
	v_cmp_o_f32_e32 vcc, v4, v4
	v_mov_b32_e32 v4, 0x7fc0
	v_cndmask_b32_sdwa v3, v4, v3, vcc dst_sel:DWORD dst_unused:UNUSED_PAD src0_sel:DWORD src1_sel:WORD_1
.LBB35_205:
	s_mov_b64 s[2:3], 0
	s_mov_b64 s[0:1], -1
.LBB35_206:
	s_andn2_b64 vcc, exec, s[2:3]
	s_cbranch_vccnz .LBB35_219
; %bb.207:
	s_cmp_gt_i32 s10, 14
	s_cbranch_scc0 .LBB35_210
; %bb.208:
	s_cmp_eq_u32 s10, 15
	s_cbranch_scc0 .LBB35_213
; %bb.209:
	global_load_ushort v3, v[1:2], off
	s_mov_b64 s[0:1], -1
	s_mov_b64 s[8:9], 0
	s_branch .LBB35_214
.LBB35_210:
	s_mov_b64 s[2:3], -1
                                        ; implicit-def: $vgpr3
	s_branch .LBB35_215
.LBB35_211:
	s_or_saveexec_b64 s[2:3], s[2:3]
	v_mov_b32_e32 v4, 0x7f800001
	s_xor_b64 exec, exec, s[2:3]
	s_cbranch_execz .LBB35_192
.LBB35_212:
	v_cmp_ne_u16_e32 vcc, 0, v3
	s_andn2_b64 s[0:1], s[0:1], exec
	s_and_b64 s[6:7], vcc, exec
	v_mov_b32_e32 v4, 0
	s_or_b64 s[0:1], s[0:1], s[6:7]
	s_or_b64 exec, exec, s[2:3]
	s_and_saveexec_b64 s[2:3], s[0:1]
	s_cbranch_execnz .LBB35_193
	s_branch .LBB35_194
.LBB35_213:
	s_mov_b64 s[8:9], -1
                                        ; implicit-def: $vgpr3
.LBB35_214:
	s_mov_b64 s[2:3], 0
.LBB35_215:
	s_and_b64 vcc, exec, s[2:3]
	s_cbranch_vccz .LBB35_219
; %bb.216:
	s_cmp_eq_u32 s10, 11
	s_cbranch_scc0 .LBB35_218
; %bb.217:
	global_load_ubyte v3, v[1:2], off
	s_mov_b64 s[0:1], -1
	s_mov_b64 s[8:9], 0
	s_waitcnt vmcnt(0)
	v_cmp_ne_u16_e32 vcc, 0, v3
	v_cndmask_b32_e64 v3, 0, 1.0, vcc
	v_lshrrev_b32_e32 v3, 16, v3
	s_branch .LBB35_219
.LBB35_218:
	s_mov_b64 s[8:9], -1
                                        ; implicit-def: $vgpr3
.LBB35_219:
	s_branch .LBB35_24
.LBB35_220:
	s_cmp_lt_i32 s10, 5
	s_cbranch_scc1 .LBB35_225
; %bb.221:
	s_cmp_lt_i32 s10, 8
	s_cbranch_scc1 .LBB35_226
; %bb.222:
	;; [unrolled: 3-line block ×3, first 2 shown]
	s_cmp_gt_i32 s10, 9
	s_cbranch_scc0 .LBB35_228
; %bb.224:
	global_load_dwordx2 v[3:4], v[1:2], off
	s_movk_i32 s0, 0x7fff
	s_waitcnt vmcnt(0)
	v_cvt_f32_f64_e32 v3, v[3:4]
	v_mov_b32_e32 v4, 0x7fc0
	v_bfe_u32 v5, v3, 16, 1
	v_cmp_o_f32_e32 vcc, v3, v3
	v_add3_u32 v3, v3, v5, s0
	v_cndmask_b32_sdwa v3, v4, v3, vcc dst_sel:DWORD dst_unused:UNUSED_PAD src0_sel:DWORD src1_sel:WORD_1
	s_mov_b64 s[0:1], 0
	s_branch .LBB35_229
.LBB35_225:
                                        ; implicit-def: $vgpr3
	s_branch .LBB35_247
.LBB35_226:
	s_mov_b64 s[0:1], -1
                                        ; implicit-def: $vgpr3
	s_branch .LBB35_235
.LBB35_227:
	s_mov_b64 s[0:1], -1
                                        ; implicit-def: $vgpr3
	s_branch .LBB35_232
.LBB35_228:
	s_mov_b64 s[0:1], -1
                                        ; implicit-def: $vgpr3
.LBB35_229:
	s_andn2_b64 vcc, exec, s[0:1]
	s_cbranch_vccnz .LBB35_231
; %bb.230:
	global_load_dword v3, v[1:2], off
	s_movk_i32 s0, 0x7fff
	v_mov_b32_e32 v4, 0x7fc0
	s_waitcnt vmcnt(0)
	v_bfe_u32 v5, v3, 16, 1
	v_cmp_o_f32_e32 vcc, v3, v3
	v_add3_u32 v3, v3, v5, s0
	v_cndmask_b32_sdwa v3, v4, v3, vcc dst_sel:DWORD dst_unused:UNUSED_PAD src0_sel:DWORD src1_sel:WORD_1
.LBB35_231:
	s_mov_b64 s[0:1], 0
.LBB35_232:
	s_andn2_b64 vcc, exec, s[0:1]
	s_cbranch_vccnz .LBB35_234
; %bb.233:
	global_load_dword v3, v[1:2], off
	s_movk_i32 s0, 0x7fff
	v_mov_b32_e32 v5, 0x7fc0
	s_waitcnt vmcnt(0)
	v_cvt_f32_f16_e32 v4, v3
	v_cmp_o_f16_e32 vcc, v3, v3
	v_bfe_u32 v3, v4, 16, 1
	v_add3_u32 v3, v4, v3, s0
	v_cndmask_b32_sdwa v3, v5, v3, vcc dst_sel:DWORD dst_unused:UNUSED_PAD src0_sel:DWORD src1_sel:WORD_1
.LBB35_234:
	s_mov_b64 s[0:1], 0
.LBB35_235:
	s_andn2_b64 vcc, exec, s[0:1]
	s_cbranch_vccnz .LBB35_246
; %bb.236:
	s_cmp_lt_i32 s10, 6
	s_cbranch_scc1 .LBB35_239
; %bb.237:
	s_cmp_gt_i32 s10, 6
	s_cbranch_scc0 .LBB35_240
; %bb.238:
	global_load_dwordx2 v[3:4], v[1:2], off
	s_movk_i32 s0, 0x7fff
	s_waitcnt vmcnt(0)
	v_cvt_f32_f64_e32 v3, v[3:4]
	v_mov_b32_e32 v4, 0x7fc0
	v_bfe_u32 v5, v3, 16, 1
	v_cmp_o_f32_e32 vcc, v3, v3
	v_add3_u32 v3, v3, v5, s0
	v_cndmask_b32_sdwa v3, v4, v3, vcc dst_sel:DWORD dst_unused:UNUSED_PAD src0_sel:DWORD src1_sel:WORD_1
	s_mov_b64 s[0:1], 0
	s_branch .LBB35_241
.LBB35_239:
	s_mov_b64 s[0:1], -1
                                        ; implicit-def: $vgpr3
	s_branch .LBB35_244
.LBB35_240:
	s_mov_b64 s[0:1], -1
                                        ; implicit-def: $vgpr3
.LBB35_241:
	s_andn2_b64 vcc, exec, s[0:1]
	s_cbranch_vccnz .LBB35_243
; %bb.242:
	global_load_dword v3, v[1:2], off
	s_movk_i32 s0, 0x7fff
	v_mov_b32_e32 v4, 0x7fc0
	s_waitcnt vmcnt(0)
	v_bfe_u32 v5, v3, 16, 1
	v_cmp_o_f32_e32 vcc, v3, v3
	v_add3_u32 v3, v3, v5, s0
	v_cndmask_b32_sdwa v3, v4, v3, vcc dst_sel:DWORD dst_unused:UNUSED_PAD src0_sel:DWORD src1_sel:WORD_1
.LBB35_243:
	s_mov_b64 s[0:1], 0
.LBB35_244:
	s_andn2_b64 vcc, exec, s[0:1]
	s_cbranch_vccnz .LBB35_246
; %bb.245:
	global_load_ushort v3, v[1:2], off
	s_movk_i32 s0, 0x7fff
	v_mov_b32_e32 v5, 0x7fc0
	s_waitcnt vmcnt(0)
	v_cvt_f32_f16_e32 v4, v3
	v_cmp_o_f16_e32 vcc, v3, v3
	v_bfe_u32 v3, v4, 16, 1
	v_add3_u32 v3, v4, v3, s0
	v_cndmask_b32_sdwa v3, v5, v3, vcc dst_sel:DWORD dst_unused:UNUSED_PAD src0_sel:DWORD src1_sel:WORD_1
.LBB35_246:
	s_cbranch_execnz .LBB35_266
.LBB35_247:
	s_cmp_lt_i32 s10, 2
	s_cbranch_scc1 .LBB35_251
; %bb.248:
	s_cmp_lt_i32 s10, 3
	s_cbranch_scc1 .LBB35_252
; %bb.249:
	s_cmp_gt_i32 s10, 3
	s_cbranch_scc0 .LBB35_253
; %bb.250:
	global_load_dwordx2 v[3:4], v[1:2], off
	s_movk_i32 s0, 0x7fff
	s_waitcnt vmcnt(0)
	v_xor_b32_e32 v6, v3, v4
	v_ffbh_i32_e32 v5, v4
	v_ashrrev_i32_e32 v6, 31, v6
	v_add_u32_e32 v5, -1, v5
	v_add_u32_e32 v6, 32, v6
	v_min_u32_e32 v5, v5, v6
	v_lshlrev_b64 v[3:4], v5, v[3:4]
	v_min_u32_e32 v3, 1, v3
	v_or_b32_e32 v3, v4, v3
	v_cvt_f32_i32_e32 v3, v3
	v_sub_u32_e32 v4, 32, v5
	v_ldexp_f32 v3, v3, v4
	v_bfe_u32 v4, v3, 16, 1
	v_add3_u32 v3, v3, v4, s0
	v_lshrrev_b32_e32 v3, 16, v3
	s_mov_b64 s[0:1], 0
	s_branch .LBB35_254
.LBB35_251:
	s_mov_b64 s[0:1], -1
                                        ; implicit-def: $vgpr3
	s_branch .LBB35_260
.LBB35_252:
	s_mov_b64 s[0:1], -1
                                        ; implicit-def: $vgpr3
	s_branch .LBB35_257
.LBB35_253:
	s_mov_b64 s[0:1], -1
                                        ; implicit-def: $vgpr3
.LBB35_254:
	s_andn2_b64 vcc, exec, s[0:1]
	s_cbranch_vccnz .LBB35_256
; %bb.255:
	global_load_dword v3, v[1:2], off
	s_movk_i32 s0, 0x7fff
	s_waitcnt vmcnt(0)
	v_cvt_f32_i32_e32 v3, v3
	v_bfe_u32 v4, v3, 16, 1
	v_add3_u32 v3, v3, v4, s0
	v_lshrrev_b32_e32 v3, 16, v3
.LBB35_256:
	s_mov_b64 s[0:1], 0
.LBB35_257:
	s_andn2_b64 vcc, exec, s[0:1]
	s_cbranch_vccnz .LBB35_259
; %bb.258:
	global_load_sshort v3, v[1:2], off
	s_movk_i32 s0, 0x7fff
	s_waitcnt vmcnt(0)
	v_cvt_f32_i32_e32 v3, v3
	v_bfe_u32 v4, v3, 16, 1
	v_add3_u32 v3, v3, v4, s0
	v_lshrrev_b32_e32 v3, 16, v3
.LBB35_259:
	s_mov_b64 s[0:1], 0
.LBB35_260:
	s_andn2_b64 vcc, exec, s[0:1]
	s_cbranch_vccnz .LBB35_266
; %bb.261:
	s_cmp_gt_i32 s10, 0
	s_cbranch_scc0 .LBB35_263
; %bb.262:
	global_load_sbyte v3, v[1:2], off
	s_movk_i32 s0, 0x7fff
	s_waitcnt vmcnt(0)
	v_cvt_f32_i32_e32 v3, v3
	v_bfe_u32 v4, v3, 16, 1
	v_add3_u32 v3, v3, v4, s0
	v_lshrrev_b32_e32 v3, 16, v3
	s_mov_b64 s[0:1], 0
	s_branch .LBB35_264
.LBB35_263:
	s_mov_b64 s[0:1], -1
                                        ; implicit-def: $vgpr3
.LBB35_264:
	s_andn2_b64 vcc, exec, s[0:1]
	s_cbranch_vccnz .LBB35_266
; %bb.265:
	global_load_ubyte v1, v[1:2], off
	s_movk_i32 s0, 0x7fff
	s_waitcnt vmcnt(0)
	v_cvt_f32_ubyte0_e32 v1, v1
	v_bfe_u32 v2, v1, 16, 1
	v_add3_u32 v1, v1, v2, s0
	v_lshrrev_b32_e32 v3, 16, v1
.LBB35_266:
	s_branch .LBB35_25
.LBB35_267:
	s_mov_b64 s[0:1], 0
.LBB35_268:
	s_mov_b64 s[2:3], 0
                                        ; implicit-def: $vgpr8
.LBB35_269:
	s_and_b64 s[54:55], s[0:1], exec
	s_and_b64 s[56:57], s[8:9], exec
	s_orn2_b64 s[2:3], s[2:3], exec
.LBB35_270:
	s_or_b64 exec, exec, s[58:59]
	s_mov_b64 s[6:7], 0
	s_mov_b64 s[0:1], 0
                                        ; implicit-def: $vgpr1_vgpr2
                                        ; implicit-def: $vgpr0
                                        ; implicit-def: $vgpr4
	s_and_saveexec_b64 s[58:59], s[2:3]
	s_cbranch_execz .LBB35_277
; %bb.271:
	v_cmp_gt_i32_e32 vcc, s70, v8
	s_mov_b64 s[0:1], -1
	s_mov_b64 s[60:61], s[56:57]
	s_mov_b64 s[62:63], s[54:55]
	s_and_saveexec_b64 s[64:65], vcc
	s_cbranch_execz .LBB35_550
; %bb.272:
	s_andn2_b64 vcc, exec, s[42:43]
	s_cbranch_vccnz .LBB35_280
; %bb.273:
	s_andn2_b64 vcc, exec, s[52:53]
	s_cbranch_vccnz .LBB35_281
; %bb.274:
	s_add_i32 s63, s75, 1
	s_cmp_eq_u32 s72, 2
	s_cbranch_scc1 .LBB35_282
; %bb.275:
	s_and_b32 s62, s63, 28
	v_mov_b32_e32 v2, 0
	s_mov_b32 s66, 0
	s_mov_b64 s[6:7], s[34:35]
	s_mov_b64 s[60:61], s[50:51]
	v_mov_b32_e32 v0, 0
	v_mov_b32_e32 v1, v8
.LBB35_276:                             ; =>This Inner Loop Header: Depth=1
	s_load_dwordx8 s[16:23], s[6:7], 0x4
	s_load_dwordx4 s[0:3], s[6:7], 0x24
	s_load_dwordx8 s[8:15], s[60:61], 0x0
	s_add_u32 s6, s6, 48
	s_addc_u32 s7, s7, 0
	s_waitcnt vmcnt(0) lgkmcnt(0)
	v_mul_hi_u32 v3, s17, v1
	s_add_i32 s66, s66, 4
	s_add_u32 s60, s60, 32
	s_addc_u32 s61, s61, 0
	v_add_u32_e32 v3, v1, v3
	v_lshrrev_b32_e32 v3, s18, v3
	v_mul_lo_u32 v4, v3, s16
	v_mul_hi_u32 v5, s20, v3
	s_cmp_eq_u32 s62, s66
	v_sub_u32_e32 v1, v1, v4
	v_add_u32_e32 v4, v3, v5
	v_mul_lo_u32 v5, v1, s8
	v_mul_lo_u32 v6, v1, s9
	v_lshrrev_b32_e32 v1, s21, v4
	v_mul_lo_u32 v4, v1, s19
	v_mul_hi_u32 v7, s23, v1
	v_sub_u32_e32 v3, v3, v4
	v_add_u32_e32 v4, v1, v7
	v_lshrrev_b32_e32 v4, s0, v4
	v_mul_hi_u32 v9, s2, v4
	v_mul_lo_u32 v10, v4, s22
	v_mul_lo_u32 v7, v3, s10
	v_mul_lo_u32 v3, v3, s11
	v_sub_u32_e32 v10, v1, v10
	v_add_u32_e32 v1, v4, v9
	v_lshrrev_b32_e32 v1, s3, v1
	v_mul_lo_u32 v9, v1, s1
	v_mul_lo_u32 v11, v10, s12
	;; [unrolled: 1-line block ×3, first 2 shown]
	v_add3_u32 v0, v5, v0, v7
	v_sub_u32_e32 v4, v4, v9
	v_mul_lo_u32 v9, v4, s14
	v_mul_lo_u32 v4, v4, s15
	v_add3_u32 v2, v6, v2, v3
	v_add3_u32 v0, v11, v0, v9
	;; [unrolled: 1-line block ×3, first 2 shown]
	s_cbranch_scc0 .LBB35_276
	s_branch .LBB35_283
.LBB35_277:
	s_or_b64 exec, exec, s[58:59]
	s_mov_b64 s[8:9], 0
	s_and_saveexec_b64 s[2:3], s[56:57]
	s_cbranch_execnz .LBB35_930
.LBB35_278:
	s_or_b64 exec, exec, s[2:3]
	s_and_saveexec_b64 s[2:3], s[62:63]
	s_xor_b64 s[2:3], exec, s[2:3]
	s_cbranch_execz .LBB35_931
.LBB35_279:
	global_load_ubyte v3, v[1:2], off
	s_or_b64 s[0:1], s[0:1], exec
	s_waitcnt vmcnt(0)
	v_cmp_ne_u16_e32 vcc, 0, v3
	v_cndmask_b32_e64 v3, 0, 1.0, vcc
	v_lshrrev_b32_e32 v4, 16, v3
	s_or_b64 exec, exec, s[2:3]
	s_and_saveexec_b64 s[2:3], s[6:7]
	s_cbranch_execz .LBB35_977
	s_branch .LBB35_932
.LBB35_280:
                                        ; implicit-def: $vgpr0
                                        ; implicit-def: $vgpr2
	s_andn2_b64 vcc, exec, s[0:1]
	s_cbranch_vccz .LBB35_287
	s_branch .LBB35_289
.LBB35_281:
	v_mov_b32_e32 v0, 0
	v_mov_b32_e32 v2, 0
	s_branch .LBB35_286
.LBB35_282:
	s_mov_b32 s62, 0
	v_mov_b32_e32 v0, 0
	v_mov_b32_e32 v2, 0
	;; [unrolled: 1-line block ×3, first 2 shown]
.LBB35_283:
	s_and_b32 s6, s63, 3
	s_cmp_eq_u32 s6, 0
	s_cbranch_scc1 .LBB35_286
; %bb.284:
	s_lshl_b32 s0, s62, 3
	s_add_u32 s0, s34, s0
	s_addc_u32 s1, s35, 0
	s_add_u32 s0, s0, 0xc4
	s_addc_u32 s1, s1, 0
	s_mul_i32 s2, s62, 12
	s_add_u32 s2, s34, s2
	s_addc_u32 s3, s35, 0
.LBB35_285:                             ; =>This Inner Loop Header: Depth=1
	s_load_dwordx2 s[8:9], s[2:3], 0x4
	s_load_dword s7, s[2:3], 0xc
	s_load_dwordx2 s[10:11], s[0:1], 0x0
	s_add_u32 s2, s2, 12
	s_addc_u32 s3, s3, 0
	s_waitcnt vmcnt(0) lgkmcnt(0)
	v_mul_hi_u32 v3, s9, v1
	s_add_u32 s0, s0, 8
	s_addc_u32 s1, s1, 0
	s_add_i32 s6, s6, -1
	v_add_u32_e32 v3, v1, v3
	v_lshrrev_b32_e32 v4, s7, v3
	v_mul_lo_u32 v3, v4, s8
	s_cmp_lg_u32 s6, 0
	v_sub_u32_e32 v3, v1, v3
	v_mad_u64_u32 v[0:1], s[8:9], v3, s10, v[0:1]
	v_mad_u64_u32 v[2:3], s[8:9], v3, s11, v[2:3]
	v_mov_b32_e32 v1, v4
	s_cbranch_scc1 .LBB35_285
.LBB35_286:
	s_cbranch_execnz .LBB35_289
.LBB35_287:
	s_waitcnt lgkmcnt(0)
	v_mul_hi_u32 v0, s37, v8
	s_andn2_b64 vcc, exec, s[48:49]
	v_add_u32_e32 v0, v8, v0
	v_lshrrev_b32_e32 v1, s38, v0
	v_mul_lo_u32 v0, v1, s36
	v_sub_u32_e32 v2, v8, v0
	v_mul_lo_u32 v0, v2, s28
	v_mul_lo_u32 v2, v2, s29
	s_cbranch_vccnz .LBB35_289
; %bb.288:
	s_waitcnt vmcnt(0)
	v_mul_hi_u32 v3, s46, v1
	v_add_u32_e32 v3, v1, v3
	v_lshrrev_b32_e32 v3, s47, v3
	v_mul_lo_u32 v3, v3, s39
	v_sub_u32_e32 v3, v1, v3
	v_mad_u64_u32 v[0:1], s[0:1], v3, s30, v[0:1]
	v_mad_u64_u32 v[2:3], s[0:1], v3, s31, v[2:3]
.LBB35_289:
	s_waitcnt vmcnt(0) lgkmcnt(0)
	v_mov_b32_e32 v3, s27
	s_and_b32 s10, 0xffff, s74
	v_add_co_u32_e32 v1, vcc, s26, v2
	s_cmp_lt_i32 s10, 11
	v_addc_co_u32_e32 v2, vcc, 0, v3, vcc
	s_cbranch_scc1 .LBB35_296
; %bb.290:
	s_cmp_gt_i32 s10, 25
	s_cbranch_scc0 .LBB35_309
; %bb.291:
	s_cmp_gt_i32 s10, 28
	s_cbranch_scc0 .LBB35_311
	;; [unrolled: 3-line block ×4, first 2 shown]
; %bb.294:
	s_cmp_eq_u32 s10, 46
	s_mov_b64 s[2:3], 0
	s_cbranch_scc0 .LBB35_321
; %bb.295:
	global_load_dword v3, v[1:2], off
	s_mov_b64 s[0:1], -1
	s_mov_b64 s[8:9], 0
	s_branch .LBB35_322
.LBB35_296:
	s_mov_b64 s[0:1], 0
                                        ; implicit-def: $vgpr3
	s_mov_b64 s[8:9], s[56:57]
	s_cbranch_execnz .LBB35_499
.LBB35_297:
	s_andn2_b64 vcc, exec, s[0:1]
	s_cbranch_vccnz .LBB35_547
.LBB35_298:
	s_waitcnt vmcnt(0)
	v_lshlrev_b32_e32 v1, 16, v3
	s_brev_b32 s0, 18
	v_and_b32_e32 v2, 0x7fffffff, v1
	v_cmp_nlt_f32_e64 s[0:1], |v1|, s0
                                        ; implicit-def: $vgpr3
                                        ; implicit-def: $vgpr4
	s_and_saveexec_b64 s[2:3], s[0:1]
	s_xor_b64 s[10:11], exec, s[2:3]
	s_cbranch_execz .LBB35_300
; %bb.299:
	v_and_b32_e32 v3, 0x7fffff, v2
	v_or_b32_e32 v14, 0x800000, v3
	s_mov_b32 s0, 0xfe5163ab
	v_mad_u64_u32 v[3:4], s[0:1], v14, s0, 0
	v_mov_b32_e32 v5, 0
	s_mov_b32 s0, 0x3c439041
	v_mad_u64_u32 v[6:7], s[0:1], v14, s0, v[4:5]
	s_mov_b32 s0, 0xdb629599
	v_not_b32_e32 v15, 31
	v_mov_b32_e32 v4, v7
	v_mad_u64_u32 v[9:10], s[0:1], v14, s0, v[4:5]
	s_mov_b32 s0, 0xf534ddc0
	v_not_b32_e32 v7, 63
	v_mov_b32_e32 v4, v10
	v_mad_u64_u32 v[10:11], s[0:1], v14, s0, v[4:5]
	v_lshrrev_b32_e32 v4, 23, v2
	v_add_u32_e32 v13, 0xffffff88, v4
	v_mov_b32_e32 v4, v11
	s_mov_b32 s0, 0xfc2757d1
	v_mad_u64_u32 v[11:12], s[0:1], v14, s0, v[4:5]
	v_cmp_lt_u32_e32 vcc, 63, v13
	v_cndmask_b32_e32 v4, 0, v7, vcc
	v_add_u32_e32 v7, v4, v13
	v_mov_b32_e32 v4, v12
	s_mov_b32 s0, 0x4e441529
	v_mad_u64_u32 v[12:13], s[0:1], v14, s0, v[4:5]
	v_cmp_lt_u32_e64 s[0:1], 31, v7
	v_cndmask_b32_e64 v4, 0, v15, s[0:1]
	v_add_u32_e32 v7, v4, v7
	v_mov_b32_e32 v4, v13
	s_mov_b32 s2, 0xa2f9836e
	v_mad_u64_u32 v[4:5], s[2:3], v14, s2, v[4:5]
	v_cmp_lt_u32_e64 s[2:3], 31, v7
	v_cndmask_b32_e64 v13, 0, v15, s[2:3]
	v_add_u32_e32 v7, v13, v7
	v_cndmask_b32_e32 v13, v12, v10, vcc
	v_cndmask_b32_e32 v4, v4, v11, vcc
	;; [unrolled: 1-line block ×3, first 2 shown]
	v_cndmask_b32_e64 v14, v4, v13, s[0:1]
	v_cndmask_b32_e64 v4, v5, v4, s[0:1]
	v_cndmask_b32_e32 v5, v11, v9, vcc
	v_cndmask_b32_e64 v11, v13, v5, s[0:1]
	v_cndmask_b32_e64 v4, v4, v14, s[2:3]
	;; [unrolled: 1-line block ×3, first 2 shown]
	v_sub_u32_e32 v13, 32, v7
	v_alignbit_b32 v14, v4, v12, v13
	v_cmp_eq_u32_e64 s[6:7], 0, v7
	v_cndmask_b32_e64 v7, v14, v4, s[6:7]
	v_cndmask_b32_e32 v4, v10, v6, vcc
	v_cndmask_b32_e64 v5, v5, v4, s[0:1]
	v_cndmask_b32_e64 v6, v11, v5, s[2:3]
	v_alignbit_b32 v10, v12, v6, v13
	v_cndmask_b32_e32 v3, v9, v3, vcc
	v_cndmask_b32_e64 v10, v10, v12, s[6:7]
	v_bfe_u32 v14, v7, 29, 1
	v_cndmask_b32_e64 v3, v4, v3, s[0:1]
	v_alignbit_b32 v11, v7, v10, 30
	v_sub_u32_e32 v15, 0, v14
	v_cndmask_b32_e64 v3, v5, v3, s[2:3]
	v_xor_b32_e32 v11, v11, v15
	v_alignbit_b32 v4, v6, v3, v13
	v_cndmask_b32_e64 v4, v4, v6, s[6:7]
	v_ffbh_u32_e32 v6, v11
	v_alignbit_b32 v5, v10, v4, 30
	v_min_u32_e32 v6, 32, v6
	v_alignbit_b32 v3, v4, v3, 30
	v_xor_b32_e32 v5, v5, v15
	v_sub_u32_e32 v9, 31, v6
	v_xor_b32_e32 v3, v3, v15
	v_alignbit_b32 v10, v11, v5, v9
	v_alignbit_b32 v3, v5, v3, v9
	v_alignbit_b32 v4, v10, v3, 9
	v_ffbh_u32_e32 v5, v4
	v_min_u32_e32 v5, 32, v5
	v_lshrrev_b32_e32 v12, 29, v7
	v_not_b32_e32 v9, v5
	v_alignbit_b32 v3, v4, v3, v9
	v_lshlrev_b32_e32 v4, 31, v12
	v_or_b32_e32 v9, 0x33000000, v4
	v_add_lshl_u32 v5, v5, v6, 23
	v_lshrrev_b32_e32 v3, 9, v3
	v_sub_u32_e32 v5, v9, v5
	v_or_b32_e32 v4, 0.5, v4
	v_lshlrev_b32_e32 v6, 23, v6
	v_or_b32_e32 v3, v5, v3
	v_lshrrev_b32_e32 v5, 9, v10
	v_sub_u32_e32 v4, v4, v6
	v_or_b32_e32 v4, v5, v4
	s_mov_b32 s0, 0x3fc90fda
	v_mul_f32_e32 v5, 0x3fc90fda, v4
	v_fma_f32 v6, v4, s0, -v5
	v_fmac_f32_e32 v6, 0x33a22168, v4
	v_fmac_f32_e32 v6, 0x3fc90fda, v3
	v_lshrrev_b32_e32 v3, 30, v7
	v_add_f32_e32 v4, v5, v6
	v_add_u32_e32 v3, v14, v3
.LBB35_300:
	s_andn2_saveexec_b64 s[0:1], s[10:11]
	s_cbranch_execz .LBB35_302
; %bb.301:
	s_mov_b32 s2, 0x3f22f983
	v_mul_f32_e64 v3, |v1|, s2
	v_rndne_f32_e32 v5, v3
	s_mov_b32 s2, 0xbfc90fda
	v_cvt_i32_f32_e32 v3, v5
	v_fma_f32 v4, v5, s2, |v1|
	v_fmac_f32_e32 v4, 0xb3a22168, v5
	v_fmac_f32_e32 v4, 0xa7c234c4, v5
.LBB35_302:
	s_or_b64 exec, exec, s[0:1]
	v_mul_f32_e32 v5, v4, v4
	v_mov_b32_e32 v6, 0x3c0881c4
	v_fmac_f32_e32 v6, 0xb94c1982, v5
	v_mov_b32_e32 v7, 0xbe2aaa9d
	v_fmac_f32_e32 v7, v5, v6
	v_mul_f32_e32 v6, v5, v7
	v_fmac_f32_e32 v4, v4, v6
	v_mov_b32_e32 v6, 0xbab64f3b
	v_fmac_f32_e32 v6, 0x37d75334, v5
	v_mov_b32_e32 v7, 0x3d2aabf7
	;; [unrolled: 2-line block ×3, first 2 shown]
	v_fmac_f32_e32 v6, v5, v7
	v_fma_f32 v5, v5, v6, 1.0
	v_and_b32_e32 v6, 1, v3
	v_lshlrev_b32_e32 v3, 30, v3
	v_cmp_eq_u32_e32 vcc, 0, v6
	v_and_b32_e32 v3, 0x80000000, v3
	v_cndmask_b32_e32 v4, v5, v4, vcc
	v_xor_b32_e32 v2, v2, v3
	v_xor_b32_e32 v2, v2, v4
	s_movk_i32 s0, 0x1f8
	v_xor_b32_e32 v2, v2, v1
	v_mov_b32_e32 v3, 0x7fc00000
	v_cmp_class_f32_e64 vcc, v1, s0
	v_cndmask_b32_e32 v1, v3, v2, vcc
	v_bfe_u32 v2, v1, 16, 1
	s_movk_i32 s0, 0x7fff
	v_add3_u32 v2, v1, v2, s0
	v_cmp_o_f32_e32 vcc, v1, v1
	v_mov_b32_e32 v1, 0x7fc0
	v_cndmask_b32_sdwa v2, v1, v2, vcc dst_sel:DWORD dst_unused:UNUSED_PAD src0_sel:DWORD src1_sel:WORD_1
	v_mov_b32_e32 v1, s25
	s_and_b32 s12, s73, 0xff
	v_add_co_u32_e32 v0, vcc, s24, v0
	s_cmp_lt_i32 s12, 11
	v_addc_co_u32_e32 v1, vcc, 0, v1, vcc
	s_cbranch_scc1 .LBB35_310
; %bb.303:
	s_and_b32 s13, 0xffff, s12
	s_cmp_gt_i32 s13, 25
	s_cbranch_scc0 .LBB35_312
; %bb.304:
	s_cmp_gt_i32 s13, 28
	s_cbranch_scc0 .LBB35_314
; %bb.305:
	;; [unrolled: 3-line block ×4, first 2 shown]
	s_mov_b64 s[6:7], 0
	s_mov_b64 s[0:1], -1
	s_cmp_eq_u32 s13, 46
	s_mov_b64 s[2:3], 0
	s_cbranch_scc0 .LBB35_326
; %bb.308:
	v_and_b32_e32 v3, 0xffff, v2
	global_store_dword v[0:1], v3, off
	s_mov_b64 s[2:3], -1
	s_mov_b64 s[0:1], 0
	s_branch .LBB35_326
.LBB35_309:
	s_mov_b64 s[2:3], -1
	s_mov_b64 s[0:1], 0
	s_mov_b64 s[8:9], s[56:57]
                                        ; implicit-def: $vgpr3
	s_branch .LBB35_463
.LBB35_310:
	s_mov_b64 s[6:7], -1
	s_mov_b64 s[2:3], 0
	s_mov_b64 s[0:1], s[54:55]
	s_branch .LBB35_395
.LBB35_311:
	s_mov_b64 s[2:3], -1
	s_mov_b64 s[0:1], 0
	s_mov_b64 s[8:9], s[56:57]
                                        ; implicit-def: $vgpr3
	s_branch .LBB35_444
.LBB35_312:
	s_mov_b64 s[6:7], -1
	s_mov_b64 s[2:3], 0
	s_mov_b64 s[0:1], s[54:55]
	s_branch .LBB35_353
.LBB35_313:
	s_mov_b64 s[2:3], -1
	s_mov_b64 s[0:1], 0
	s_mov_b64 s[8:9], s[56:57]
                                        ; implicit-def: $vgpr3
	s_branch .LBB35_439
.LBB35_314:
	s_mov_b64 s[6:7], -1
	s_mov_b64 s[2:3], 0
	s_mov_b64 s[0:1], s[54:55]
	s_branch .LBB35_336
.LBB35_315:
	s_andn2_saveexec_b64 s[10:11], s[10:11]
	s_cbranch_execz .LBB35_72
.LBB35_316:
	s_mov_b32 s14, 0x46000000
	v_add_f32_e64 v4, |v5|, s14
	v_and_b32_e32 v4, 0xff, v4
	v_cmp_ne_u32_e32 vcc, 0, v4
	s_andn2_b64 s[6:7], s[6:7], exec
	s_and_b64 s[14:15], vcc, exec
	s_or_b64 s[6:7], s[6:7], s[14:15]
	s_or_b64 exec, exec, s[10:11]
	v_mov_b32_e32 v6, 0
	s_and_saveexec_b64 s[10:11], s[6:7]
	s_cbranch_execnz .LBB35_73
	s_branch .LBB35_74
.LBB35_317:
	s_mov_b64 s[2:3], -1
	s_mov_b64 s[0:1], 0
	s_mov_b64 s[8:9], s[56:57]
                                        ; implicit-def: $vgpr3
	s_branch .LBB35_322
.LBB35_318:
	s_mov_b64 s[6:7], -1
	s_mov_b64 s[2:3], 0
	s_mov_b64 s[0:1], s[54:55]
	s_branch .LBB35_332
.LBB35_319:
	s_andn2_saveexec_b64 s[10:11], s[10:11]
	s_cbranch_execz .LBB35_85
.LBB35_320:
	s_mov_b32 s14, 0x42800000
	v_add_f32_e64 v4, |v5|, s14
	v_and_b32_e32 v4, 0xff, v4
	v_cmp_ne_u32_e32 vcc, 0, v4
	s_andn2_b64 s[6:7], s[6:7], exec
	s_and_b64 s[14:15], vcc, exec
	s_or_b64 s[6:7], s[6:7], s[14:15]
	s_or_b64 exec, exec, s[10:11]
	v_mov_b32_e32 v6, 0
	s_and_saveexec_b64 s[10:11], s[6:7]
	s_cbranch_execnz .LBB35_86
	s_branch .LBB35_87
.LBB35_321:
	s_mov_b64 s[8:9], -1
                                        ; implicit-def: $vgpr3
	s_mov_b64 s[0:1], 0
.LBB35_322:
	s_and_b64 vcc, exec, s[2:3]
	s_cbranch_vccz .LBB35_438
; %bb.323:
	s_cmp_eq_u32 s10, 44
	s_cbranch_scc0 .LBB35_437
; %bb.324:
	global_load_ubyte v3, v[1:2], off
	s_movk_i32 s2, 0xff
	v_mov_b32_e32 v4, 0x7f800001
	v_mov_b32_e32 v5, 0x400000
	;; [unrolled: 1-line block ×3, first 2 shown]
	s_mov_b64 s[0:1], -1
	s_mov_b64 s[8:9], 0
	s_waitcnt vmcnt(0)
	v_lshlrev_b32_e32 v7, 23, v3
	v_cmp_ne_u32_e32 vcc, s2, v3
	v_cndmask_b32_e32 v4, v4, v7, vcc
	v_cmp_ne_u32_e32 vcc, 0, v3
	v_cndmask_b32_e32 v3, v5, v4, vcc
	v_add_u32_e32 v4, 0x7fff, v3
	v_cmp_o_f32_e32 vcc, v3, v3
	v_cndmask_b32_sdwa v3, v6, v4, vcc dst_sel:DWORD dst_unused:UNUSED_PAD src0_sel:DWORD src1_sel:WORD_1
	s_branch .LBB35_438
.LBB35_325:
	s_mov_b64 s[6:7], -1
	s_mov_b64 s[2:3], 0
	s_mov_b64 s[0:1], s[54:55]
.LBB35_326:
	s_and_b64 vcc, exec, s[6:7]
	s_cbranch_vccz .LBB35_331
; %bb.327:
	s_cmp_eq_u32 s13, 44
	s_mov_b64 s[0:1], -1
	s_cbranch_scc0 .LBB35_331
; %bb.328:
	v_and_b32_e32 v4, 0xffff, v2
	v_bfe_u32 v3, v4, 7, 8
	s_movk_i32 s0, 0xff
	v_cmp_ne_u32_e32 vcc, s0, v3
	v_mov_b32_e32 v5, 0xff
	s_and_saveexec_b64 s[2:3], vcc
	s_cbranch_execz .LBB35_330
; %bb.329:
	v_lshlrev_b32_e32 v6, 16, v4
	s_mov_b32 s0, 0x3f0000
	v_lshrrev_b32_e32 v5, 7, v4
	v_and_b32_e32 v4, 64, v4
	v_and_or_b32 v3, v6, s0, v3
	v_cmp_ne_u32_e32 vcc, 0, v4
	v_cmp_ne_u32_e64 s[0:1], 0, v3
	s_and_b64 s[0:1], vcc, s[0:1]
	v_cndmask_b32_e64 v3, 0, 1, s[0:1]
	v_add_u32_e32 v5, v5, v3
.LBB35_330:
	s_or_b64 exec, exec, s[2:3]
	s_mov_b64 s[2:3], -1
	s_mov_b64 s[0:1], 0
	global_store_byte v[0:1], v5, off
.LBB35_331:
	s_mov_b64 s[6:7], 0
.LBB35_332:
	s_and_b64 vcc, exec, s[6:7]
	s_cbranch_vccz .LBB35_335
; %bb.333:
	s_cmp_eq_u32 s13, 29
	s_mov_b64 s[0:1], -1
	s_cbranch_scc0 .LBB35_335
; %bb.334:
	v_lshlrev_b32_e32 v3, 16, v2
	v_trunc_f32_e32 v3, v3
	v_mul_f32_e32 v4, 0x2f800000, v3
	v_floor_f32_e32 v5, v4
	v_fmac_f32_e32 v3, 0xcf800000, v5
	v_cvt_u32_f32_e32 v4, v5
	v_cvt_u32_f32_e32 v3, v3
	s_mov_b64 s[2:3], -1
	s_mov_b64 s[0:1], 0
	s_mov_b64 s[6:7], 0
	global_store_dwordx2 v[0:1], v[3:4], off
	s_branch .LBB35_336
.LBB35_335:
	s_mov_b64 s[6:7], 0
.LBB35_336:
	s_and_b64 vcc, exec, s[6:7]
	s_cbranch_vccz .LBB35_352
; %bb.337:
	s_cmp_lt_i32 s13, 27
	s_mov_b64 s[2:3], -1
	s_cbranch_scc1 .LBB35_343
; %bb.338:
	s_cmp_gt_i32 s13, 27
	s_cbranch_scc0 .LBB35_340
; %bb.339:
	v_lshlrev_b32_e32 v3, 16, v2
	v_cvt_u32_f32_e32 v3, v3
	s_mov_b64 s[2:3], 0
	global_store_dword v[0:1], v3, off
.LBB35_340:
	s_andn2_b64 vcc, exec, s[2:3]
	s_cbranch_vccnz .LBB35_342
; %bb.341:
	v_lshlrev_b32_e32 v3, 16, v2
	v_cvt_u32_f32_e32 v3, v3
	global_store_short v[0:1], v3, off
.LBB35_342:
	s_mov_b64 s[2:3], 0
.LBB35_343:
	s_andn2_b64 vcc, exec, s[2:3]
	s_cbranch_vccnz .LBB35_351
; %bb.344:
	v_lshlrev_b32_e32 v5, 16, v2
	v_and_b32_e32 v4, 0x7fffffff, v5
	s_mov_b32 s2, 0x43800000
	v_cmp_gt_u32_e32 vcc, s2, v4
	v_mov_b32_e32 v6, 0x80
	s_and_saveexec_b64 s[2:3], vcc
	s_cbranch_execz .LBB35_350
; %bb.345:
	s_mov_b32 s6, 0x3bffffff
	v_and_b32_e32 v3, 0xffff, v2
	v_cmp_lt_u32_e32 vcc, s6, v4
	s_mov_b64 s[6:7], 0
                                        ; implicit-def: $vgpr4
	s_and_saveexec_b64 s[10:11], vcc
	s_xor_b64 s[10:11], exec, s[10:11]
	s_cbranch_execz .LBB35_578
; %bb.346:
	v_bfe_u32 v4, v3, 4, 1
	s_mov_b32 s14, 0x487ffff
	v_add3_u32 v4, v5, v4, s14
	s_mov_b64 s[6:7], exec
	v_lshrrev_b32_e32 v4, 20, v4
                                        ; implicit-def: $vgpr5
	s_andn2_saveexec_b64 s[10:11], s[10:11]
	s_cbranch_execnz .LBB35_579
.LBB35_347:
	s_or_b64 exec, exec, s[10:11]
	v_mov_b32_e32 v6, 0
	s_and_saveexec_b64 s[10:11], s[6:7]
.LBB35_348:
	v_lshrrev_b32_e32 v3, 8, v3
	s_movk_i32 s6, 0x80
	v_and_or_b32 v6, v3, s6, v4
.LBB35_349:
	s_or_b64 exec, exec, s[10:11]
.LBB35_350:
	s_or_b64 exec, exec, s[2:3]
	global_store_byte v[0:1], v6, off
.LBB35_351:
	s_mov_b64 s[2:3], -1
.LBB35_352:
	s_mov_b64 s[6:7], 0
.LBB35_353:
	s_and_b64 vcc, exec, s[6:7]
	s_cbranch_vccz .LBB35_394
; %bb.354:
	s_cmp_gt_i32 s13, 22
	s_mov_b64 s[6:7], -1
	s_cbranch_scc0 .LBB35_386
; %bb.355:
	s_cmp_lt_i32 s13, 24
	s_mov_b64 s[2:3], -1
	s_cbranch_scc1 .LBB35_375
; %bb.356:
	s_cmp_gt_i32 s13, 24
	s_cbranch_scc0 .LBB35_364
; %bb.357:
	v_lshlrev_b32_e32 v5, 16, v2
	v_and_b32_e32 v4, 0x7fffffff, v5
	s_mov_b32 s2, 0x47800000
	v_cmp_gt_u32_e32 vcc, s2, v4
	v_mov_b32_e32 v6, 0x80
	s_and_saveexec_b64 s[2:3], vcc
	s_cbranch_execz .LBB35_363
; %bb.358:
	s_mov_b32 s6, 0x37ffffff
	v_and_b32_e32 v3, 0xffff, v2
	v_cmp_lt_u32_e32 vcc, s6, v4
	s_mov_b64 s[6:7], 0
                                        ; implicit-def: $vgpr4
	s_and_saveexec_b64 s[10:11], vcc
	s_xor_b64 s[10:11], exec, s[10:11]
	s_cbranch_execz .LBB35_581
; %bb.359:
	v_bfe_u32 v4, v3, 5, 1
	s_mov_b32 s14, 0x88fffff
	v_add3_u32 v4, v5, v4, s14
	s_mov_b64 s[6:7], exec
	v_lshrrev_b32_e32 v4, 21, v4
                                        ; implicit-def: $vgpr5
	s_andn2_saveexec_b64 s[10:11], s[10:11]
	s_cbranch_execnz .LBB35_582
.LBB35_360:
	s_or_b64 exec, exec, s[10:11]
	v_mov_b32_e32 v6, 0
	s_and_saveexec_b64 s[10:11], s[6:7]
.LBB35_361:
	v_lshrrev_b32_e32 v3, 8, v3
	s_movk_i32 s6, 0x80
	v_and_or_b32 v6, v3, s6, v4
.LBB35_362:
	s_or_b64 exec, exec, s[10:11]
.LBB35_363:
	s_or_b64 exec, exec, s[2:3]
	s_mov_b64 s[2:3], 0
	global_store_byte v[0:1], v6, off
.LBB35_364:
	s_and_b64 vcc, exec, s[2:3]
	s_cbranch_vccz .LBB35_374
; %bb.365:
	v_lshlrev_b32_e32 v5, 16, v2
	v_and_b32_e32 v6, 0x7fffffff, v5
	s_mov_b32 s2, 0x43f00000
	v_and_b32_e32 v3, 0xffff, v2
	v_cmp_gt_u32_e32 vcc, s2, v6
                                        ; implicit-def: $vgpr4
	s_and_saveexec_b64 s[2:3], vcc
	s_xor_b64 s[2:3], exec, s[2:3]
	s_cbranch_execz .LBB35_371
; %bb.366:
	s_mov_b32 s6, 0x3c7fffff
	v_cmp_lt_u32_e32 vcc, s6, v6
                                        ; implicit-def: $vgpr4
	s_and_saveexec_b64 s[6:7], vcc
	s_xor_b64 s[6:7], exec, s[6:7]
; %bb.367:
	v_bfe_u32 v4, v3, 4, 1
	s_mov_b32 s10, 0x407ffff
	v_add3_u32 v4, v5, v4, s10
	v_lshrrev_b32_e32 v5, 20, v4
	v_and_b32_e32 v4, 0xff00000, v4
	s_mov_b32 s10, 0x7f00000
	v_mov_b32_e32 v6, 0x7e
	v_cmp_ne_u32_e32 vcc, s10, v4
	v_cndmask_b32_e32 v4, v6, v5, vcc
                                        ; implicit-def: $vgpr5
; %bb.368:
	s_andn2_saveexec_b64 s[6:7], s[6:7]
; %bb.369:
	s_mov_b32 s10, 0x46800000
	v_add_f32_e64 v4, |v5|, s10
; %bb.370:
	s_or_b64 exec, exec, s[6:7]
                                        ; implicit-def: $vgpr6
.LBB35_371:
	s_andn2_saveexec_b64 s[2:3], s[2:3]
; %bb.372:
	s_mov_b32 s6, 0x7f800000
	v_mov_b32_e32 v4, 0x7e
	v_mov_b32_e32 v5, 0x7f
	v_cmp_lt_u32_e32 vcc, s6, v6
	v_cndmask_b32_e32 v4, v4, v5, vcc
; %bb.373:
	s_or_b64 exec, exec, s[2:3]
	v_lshrrev_b32_e32 v3, 8, v3
	s_movk_i32 s2, 0x80
	v_and_or_b32 v3, v3, s2, v4
	global_store_byte v[0:1], v3, off
.LBB35_374:
	s_mov_b64 s[2:3], 0
.LBB35_375:
	s_andn2_b64 vcc, exec, s[2:3]
	s_cbranch_vccnz .LBB35_385
; %bb.376:
	v_lshlrev_b32_e32 v5, 16, v2
	v_and_b32_e32 v6, 0x7fffffff, v5
	s_mov_b32 s2, 0x47800000
	v_and_b32_e32 v3, 0xffff, v2
	v_cmp_gt_u32_e32 vcc, s2, v6
                                        ; implicit-def: $vgpr4
	s_and_saveexec_b64 s[2:3], vcc
	s_xor_b64 s[2:3], exec, s[2:3]
	s_cbranch_execz .LBB35_382
; %bb.377:
	s_mov_b32 s6, 0x387fffff
	v_cmp_lt_u32_e32 vcc, s6, v6
                                        ; implicit-def: $vgpr4
	s_and_saveexec_b64 s[6:7], vcc
	s_xor_b64 s[6:7], exec, s[6:7]
; %bb.378:
	v_bfe_u32 v4, v3, 5, 1
	s_mov_b32 s10, 0x80fffff
	v_add3_u32 v4, v5, v4, s10
	v_lshrrev_b32_e32 v4, 21, v4
                                        ; implicit-def: $vgpr5
; %bb.379:
	s_andn2_saveexec_b64 s[6:7], s[6:7]
; %bb.380:
	s_mov_b32 s10, 0x43000000
	v_add_f32_e64 v4, |v5|, s10
; %bb.381:
	s_or_b64 exec, exec, s[6:7]
                                        ; implicit-def: $vgpr6
.LBB35_382:
	s_andn2_saveexec_b64 s[2:3], s[2:3]
; %bb.383:
	s_mov_b32 s6, 0x7f800000
	v_mov_b32_e32 v4, 0x7c
	v_mov_b32_e32 v5, 0x7f
	v_cmp_lt_u32_e32 vcc, s6, v6
	v_cndmask_b32_e32 v4, v4, v5, vcc
; %bb.384:
	s_or_b64 exec, exec, s[2:3]
	v_lshrrev_b32_e32 v3, 8, v3
	s_movk_i32 s2, 0x80
	v_and_or_b32 v3, v3, s2, v4
	global_store_byte v[0:1], v3, off
.LBB35_385:
	s_mov_b64 s[6:7], 0
	s_mov_b64 s[2:3], -1
.LBB35_386:
	s_andn2_b64 vcc, exec, s[6:7]
	s_cbranch_vccnz .LBB35_394
; %bb.387:
	s_cmp_gt_i32 s13, 14
	s_mov_b64 s[6:7], -1
	s_cbranch_scc0 .LBB35_391
; %bb.388:
	s_cmp_eq_u32 s13, 15
	s_mov_b64 s[0:1], -1
	s_cbranch_scc0 .LBB35_390
; %bb.389:
	global_store_short v[0:1], v2, off
	s_mov_b64 s[2:3], -1
	s_mov_b64 s[0:1], 0
.LBB35_390:
	s_mov_b64 s[6:7], 0
.LBB35_391:
	s_and_b64 vcc, exec, s[6:7]
	s_cbranch_vccz .LBB35_394
; %bb.392:
	s_cmp_eq_u32 s13, 11
	s_mov_b64 s[0:1], -1
	s_cbranch_scc0 .LBB35_394
; %bb.393:
	v_and_b32_e32 v3, 0x7fff, v2
	v_cmp_ne_u16_e32 vcc, 0, v3
	v_cndmask_b32_e64 v3, 0, 1, vcc
	s_mov_b64 s[2:3], -1
	s_mov_b64 s[0:1], 0
	global_store_byte v[0:1], v3, off
.LBB35_394:
	s_mov_b64 s[6:7], 0
.LBB35_395:
	s_and_b64 vcc, exec, s[6:7]
	s_cbranch_vccz .LBB35_434
; %bb.396:
	s_and_b32 s6, 0xffff, s12
	s_cmp_lt_i32 s6, 5
	s_mov_b64 s[2:3], -1
	s_cbranch_scc1 .LBB35_417
; %bb.397:
	s_cmp_lt_i32 s6, 8
	s_cbranch_scc1 .LBB35_407
; %bb.398:
	s_cmp_lt_i32 s6, 9
	s_cbranch_scc1 .LBB35_404
; %bb.399:
	s_cmp_gt_i32 s6, 9
	s_cbranch_scc0 .LBB35_401
; %bb.400:
	v_lshlrev_b32_e32 v3, 16, v2
	v_cvt_f64_f32_e32 v[3:4], v3
	v_mov_b32_e32 v5, 0
	v_mov_b32_e32 v6, v5
	s_mov_b64 s[2:3], 0
	global_store_dwordx4 v[0:1], v[3:6], off
.LBB35_401:
	s_andn2_b64 vcc, exec, s[2:3]
	s_cbranch_vccnz .LBB35_403
; %bb.402:
	v_lshlrev_b32_e32 v3, 16, v2
	v_mov_b32_e32 v4, 0
	global_store_dwordx2 v[0:1], v[3:4], off
.LBB35_403:
	s_mov_b64 s[2:3], 0
.LBB35_404:
	s_andn2_b64 vcc, exec, s[2:3]
	s_cbranch_vccnz .LBB35_406
; %bb.405:
	v_lshlrev_b32_e32 v3, 16, v2
	v_cvt_f16_f32_e32 v3, v3
	global_store_dword v[0:1], v3, off
.LBB35_406:
	s_mov_b64 s[2:3], 0
.LBB35_407:
	s_andn2_b64 vcc, exec, s[2:3]
	s_cbranch_vccnz .LBB35_416
; %bb.408:
	s_cmp_lt_i32 s6, 6
	s_mov_b64 s[2:3], -1
	s_cbranch_scc1 .LBB35_414
; %bb.409:
	s_cmp_gt_i32 s6, 6
	s_cbranch_scc0 .LBB35_411
; %bb.410:
	v_lshlrev_b32_e32 v3, 16, v2
	v_cvt_f64_f32_e32 v[3:4], v3
	s_mov_b64 s[2:3], 0
	global_store_dwordx2 v[0:1], v[3:4], off
.LBB35_411:
	s_andn2_b64 vcc, exec, s[2:3]
	s_cbranch_vccnz .LBB35_413
; %bb.412:
	v_lshlrev_b32_e32 v3, 16, v2
	global_store_dword v[0:1], v3, off
.LBB35_413:
	s_mov_b64 s[2:3], 0
.LBB35_414:
	s_andn2_b64 vcc, exec, s[2:3]
	s_cbranch_vccnz .LBB35_416
; %bb.415:
	v_lshlrev_b32_e32 v3, 16, v2
	v_cvt_f16_f32_e32 v3, v3
	global_store_short v[0:1], v3, off
.LBB35_416:
	s_mov_b64 s[2:3], 0
.LBB35_417:
	s_andn2_b64 vcc, exec, s[2:3]
	s_cbranch_vccnz .LBB35_433
; %bb.418:
	s_cmp_lt_i32 s6, 2
	s_mov_b64 s[2:3], -1
	s_cbranch_scc1 .LBB35_428
; %bb.419:
	s_cmp_lt_i32 s6, 3
	s_cbranch_scc1 .LBB35_425
; %bb.420:
	s_cmp_gt_i32 s6, 3
	s_cbranch_scc0 .LBB35_422
; %bb.421:
	v_lshlrev_b32_e32 v3, 16, v2
	v_trunc_f32_e32 v3, v3
	s_mov_b32 s2, 0x2f800000
	v_mul_f32_e64 v4, |v3|, s2
	v_floor_f32_e32 v4, v4
	s_mov_b32 s2, 0xcf800000
	v_cvt_u32_f32_e32 v5, v4
	v_fma_f32 v4, v4, s2, |v3|
	v_cvt_u32_f32_e32 v4, v4
	v_ashrrev_i32_e32 v6, 31, v3
	v_xor_b32_e32 v5, v5, v6
	s_mov_b64 s[2:3], 0
	v_xor_b32_e32 v3, v4, v6
	v_sub_co_u32_e32 v3, vcc, v3, v6
	v_subb_co_u32_e32 v4, vcc, v5, v6, vcc
	global_store_dwordx2 v[0:1], v[3:4], off
.LBB35_422:
	s_andn2_b64 vcc, exec, s[2:3]
	s_cbranch_vccnz .LBB35_424
; %bb.423:
	v_lshlrev_b32_e32 v3, 16, v2
	v_cvt_i32_f32_e32 v3, v3
	global_store_dword v[0:1], v3, off
.LBB35_424:
	s_mov_b64 s[2:3], 0
.LBB35_425:
	s_andn2_b64 vcc, exec, s[2:3]
	s_cbranch_vccnz .LBB35_427
; %bb.426:
	v_lshlrev_b32_e32 v3, 16, v2
	v_cvt_i32_f32_e32 v3, v3
	global_store_short v[0:1], v3, off
.LBB35_427:
	s_mov_b64 s[2:3], 0
.LBB35_428:
	s_andn2_b64 vcc, exec, s[2:3]
	s_cbranch_vccnz .LBB35_433
; %bb.429:
	s_mov_b64 s[2:3], -1
	s_cmp_gt_i32 s6, 0
	v_lshlrev_b32_e32 v2, 16, v2
	s_cbranch_scc0 .LBB35_431
; %bb.430:
	v_cvt_i32_f32_e32 v3, v2
	s_mov_b64 s[2:3], 0
	global_store_byte v[0:1], v3, off
.LBB35_431:
	s_andn2_b64 vcc, exec, s[2:3]
	s_cbranch_vccnz .LBB35_433
; %bb.432:
	v_trunc_f32_e32 v2, v2
	s_mov_b32 s2, 0x2f800000
	v_mul_f32_e64 v3, |v2|, s2
	v_floor_f32_e32 v3, v3
	s_mov_b32 s2, 0xcf800000
	v_fma_f32 v3, v3, s2, |v2|
	v_cvt_u32_f32_e32 v3, v3
	v_ashrrev_i32_e32 v2, 31, v2
	v_xor_b32_e32 v3, v3, v2
	v_sub_u32_e32 v2, v3, v2
	global_store_byte v[0:1], v2, off
.LBB35_433:
	s_mov_b64 s[2:3], -1
.LBB35_434:
	s_andn2_b64 vcc, exec, s[2:3]
	s_cbranch_vccnz .LBB35_436
; %bb.435:
	v_add_u32_e32 v8, 0x80, v8
	s_mov_b64 s[2:3], -1
	s_branch .LBB35_549
.LBB35_436:
	s_mov_b64 s[2:3], 0
	s_branch .LBB35_548
.LBB35_437:
	s_mov_b64 s[8:9], -1
                                        ; implicit-def: $vgpr3
.LBB35_438:
	s_mov_b64 s[2:3], 0
.LBB35_439:
	s_and_b64 vcc, exec, s[2:3]
	s_cbranch_vccz .LBB35_443
; %bb.440:
	s_cmp_eq_u32 s10, 29
	s_cbranch_scc0 .LBB35_442
; %bb.441:
	global_load_dwordx2 v[3:4], v[1:2], off
	s_movk_i32 s2, 0x7fff
	s_mov_b64 s[0:1], -1
	s_mov_b64 s[8:9], 0
	s_waitcnt vmcnt(0)
	v_ffbh_u32_e32 v5, v4
	v_min_u32_e32 v5, 32, v5
	v_lshlrev_b64 v[3:4], v5, v[3:4]
	v_min_u32_e32 v3, 1, v3
	v_or_b32_e32 v3, v4, v3
	v_cvt_f32_u32_e32 v3, v3
	v_sub_u32_e32 v4, 32, v5
	v_ldexp_f32 v3, v3, v4
	v_bfe_u32 v4, v3, 16, 1
	v_add3_u32 v3, v3, v4, s2
	v_lshrrev_b32_e32 v3, 16, v3
	s_branch .LBB35_443
.LBB35_442:
	s_mov_b64 s[8:9], -1
                                        ; implicit-def: $vgpr3
.LBB35_443:
	s_mov_b64 s[2:3], 0
.LBB35_444:
	s_and_b64 vcc, exec, s[2:3]
	s_cbranch_vccz .LBB35_462
; %bb.445:
	s_cmp_lt_i32 s10, 27
	s_cbranch_scc1 .LBB35_448
; %bb.446:
	s_cmp_gt_i32 s10, 27
	s_cbranch_scc0 .LBB35_449
; %bb.447:
	global_load_dword v3, v[1:2], off
	s_movk_i32 s0, 0x7fff
	s_waitcnt vmcnt(0)
	v_cvt_f32_u32_e32 v3, v3
	v_bfe_u32 v4, v3, 16, 1
	v_add3_u32 v3, v3, v4, s0
	v_lshrrev_b32_e32 v3, 16, v3
	s_mov_b64 s[0:1], 0
	s_branch .LBB35_450
.LBB35_448:
	s_mov_b64 s[0:1], -1
                                        ; implicit-def: $vgpr3
	s_branch .LBB35_453
.LBB35_449:
	s_mov_b64 s[0:1], -1
                                        ; implicit-def: $vgpr3
.LBB35_450:
	s_andn2_b64 vcc, exec, s[0:1]
	s_cbranch_vccnz .LBB35_452
; %bb.451:
	global_load_ushort v3, v[1:2], off
	s_movk_i32 s0, 0x7fff
	s_waitcnt vmcnt(0)
	v_cvt_f32_u32_e32 v3, v3
	v_bfe_u32 v4, v3, 16, 1
	v_add3_u32 v3, v3, v4, s0
	v_lshrrev_b32_e32 v3, 16, v3
.LBB35_452:
	s_mov_b64 s[0:1], 0
.LBB35_453:
	s_andn2_b64 vcc, exec, s[0:1]
	s_cbranch_vccnz .LBB35_461
; %bb.454:
	global_load_ubyte v3, v[1:2], off
	s_movk_i32 s0, 0x7f
	s_waitcnt vmcnt(0)
	v_cmp_lt_i16_e32 vcc, s0, v3
	s_mov_b64 s[0:1], 0
	s_and_saveexec_b64 s[2:3], vcc
	s_xor_b64 s[2:3], exec, s[2:3]
	s_cbranch_execz .LBB35_475
; %bb.455:
	s_movk_i32 s0, 0x80
	v_cmp_eq_u16_e32 vcc, s0, v3
	s_mov_b64 s[0:1], -1
	s_and_saveexec_b64 s[6:7], vcc
; %bb.456:
	s_xor_b64 s[0:1], exec, -1
; %bb.457:
	s_or_b64 exec, exec, s[6:7]
	s_and_b64 s[0:1], s[0:1], exec
	s_or_saveexec_b64 s[2:3], s[2:3]
	v_mov_b32_e32 v4, 0x7f800001
	s_xor_b64 exec, exec, s[2:3]
	s_cbranch_execnz .LBB35_476
.LBB35_458:
	s_or_b64 exec, exec, s[2:3]
	s_and_saveexec_b64 s[2:3], s[0:1]
	s_cbranch_execz .LBB35_460
.LBB35_459:
	v_lshlrev_b32_e32 v4, 24, v3
	v_and_b32_e32 v3, 0xffff, v3
	v_and_b32_e32 v5, 7, v3
	v_ffbh_u32_e32 v7, v5
	v_min_u32_e32 v7, 32, v7
	v_subrev_u32_e32 v9, 28, v7
	v_bfe_u32 v6, v3, 3, 4
	v_lshlrev_b32_e32 v3, v9, v3
	v_sub_u32_e32 v7, 29, v7
	v_and_b32_e32 v3, 7, v3
	v_cmp_eq_u32_e32 vcc, 0, v6
	v_cndmask_b32_e32 v6, v6, v7, vcc
	v_cndmask_b32_e32 v3, v5, v3, vcc
	v_mov_b32_e32 v5, 0x3b800000
	v_lshlrev_b32_e32 v3, 20, v3
	v_and_b32_e32 v4, 0x80000000, v4
	v_lshl_add_u32 v5, v6, 23, v5
	v_or3_b32 v4, v4, v5, v3
.LBB35_460:
	s_or_b64 exec, exec, s[2:3]
	v_bfe_u32 v3, v4, 16, 1
	s_movk_i32 s0, 0x7fff
	v_add3_u32 v3, v4, v3, s0
	v_cmp_o_f32_e32 vcc, v4, v4
	v_mov_b32_e32 v4, 0x7fc0
	v_cndmask_b32_sdwa v3, v4, v3, vcc dst_sel:DWORD dst_unused:UNUSED_PAD src0_sel:DWORD src1_sel:WORD_1
.LBB35_461:
	s_mov_b64 s[0:1], -1
.LBB35_462:
	s_mov_b64 s[2:3], 0
.LBB35_463:
	s_and_b64 vcc, exec, s[2:3]
	s_cbranch_vccz .LBB35_498
; %bb.464:
	s_cmp_gt_i32 s10, 22
	s_cbranch_scc0 .LBB35_474
; %bb.465:
	s_cmp_lt_i32 s10, 24
	s_cbranch_scc1 .LBB35_477
; %bb.466:
	s_cmp_gt_i32 s10, 24
	s_cbranch_scc0 .LBB35_478
; %bb.467:
	global_load_ubyte v3, v[1:2], off
	s_movk_i32 s0, 0x7f
	s_waitcnt vmcnt(0)
	v_cmp_lt_i16_e32 vcc, s0, v3
	s_mov_b64 s[0:1], 0
	s_and_saveexec_b64 s[2:3], vcc
	s_xor_b64 s[2:3], exec, s[2:3]
	s_cbranch_execz .LBB35_490
; %bb.468:
	s_movk_i32 s0, 0x80
	v_cmp_eq_u16_e32 vcc, s0, v3
	s_mov_b64 s[0:1], -1
	s_and_saveexec_b64 s[6:7], vcc
; %bb.469:
	s_xor_b64 s[0:1], exec, -1
; %bb.470:
	s_or_b64 exec, exec, s[6:7]
	s_and_b64 s[0:1], s[0:1], exec
	s_or_saveexec_b64 s[2:3], s[2:3]
	v_mov_b32_e32 v4, 0x7f800001
	s_xor_b64 exec, exec, s[2:3]
	s_cbranch_execnz .LBB35_491
.LBB35_471:
	s_or_b64 exec, exec, s[2:3]
	s_and_saveexec_b64 s[2:3], s[0:1]
	s_cbranch_execz .LBB35_473
.LBB35_472:
	v_lshlrev_b32_e32 v4, 24, v3
	v_and_b32_e32 v3, 0xffff, v3
	v_and_b32_e32 v5, 3, v3
	v_ffbh_u32_e32 v7, v5
	v_min_u32_e32 v7, 32, v7
	v_subrev_u32_e32 v9, 29, v7
	v_bfe_u32 v6, v3, 2, 5
	v_lshlrev_b32_e32 v3, v9, v3
	v_sub_u32_e32 v7, 30, v7
	v_and_b32_e32 v3, 3, v3
	v_cmp_eq_u32_e32 vcc, 0, v6
	v_cndmask_b32_e32 v6, v6, v7, vcc
	v_cndmask_b32_e32 v3, v5, v3, vcc
	v_mov_b32_e32 v5, 0x37800000
	v_lshlrev_b32_e32 v3, 21, v3
	v_and_b32_e32 v4, 0x80000000, v4
	v_lshl_add_u32 v5, v6, 23, v5
	v_or3_b32 v4, v4, v5, v3
.LBB35_473:
	s_or_b64 exec, exec, s[2:3]
	v_bfe_u32 v3, v4, 16, 1
	s_movk_i32 s0, 0x7fff
	v_add3_u32 v3, v4, v3, s0
	v_cmp_o_f32_e32 vcc, v4, v4
	v_mov_b32_e32 v4, 0x7fc0
	v_cndmask_b32_sdwa v3, v4, v3, vcc dst_sel:DWORD dst_unused:UNUSED_PAD src0_sel:DWORD src1_sel:WORD_1
	s_mov_b64 s[0:1], 0
	s_branch .LBB35_479
.LBB35_474:
	s_mov_b64 s[2:3], -1
                                        ; implicit-def: $vgpr3
	s_branch .LBB35_485
.LBB35_475:
	s_or_saveexec_b64 s[2:3], s[2:3]
	v_mov_b32_e32 v4, 0x7f800001
	s_xor_b64 exec, exec, s[2:3]
	s_cbranch_execz .LBB35_458
.LBB35_476:
	v_cmp_ne_u16_e32 vcc, 0, v3
	s_andn2_b64 s[0:1], s[0:1], exec
	s_and_b64 s[6:7], vcc, exec
	v_mov_b32_e32 v4, 0
	s_or_b64 s[0:1], s[0:1], s[6:7]
	s_or_b64 exec, exec, s[2:3]
	s_and_saveexec_b64 s[2:3], s[0:1]
	s_cbranch_execnz .LBB35_459
	s_branch .LBB35_460
.LBB35_477:
	s_mov_b64 s[0:1], -1
                                        ; implicit-def: $vgpr3
	s_branch .LBB35_482
.LBB35_478:
	s_mov_b64 s[0:1], -1
                                        ; implicit-def: $vgpr3
.LBB35_479:
	s_and_b64 vcc, exec, s[0:1]
	s_cbranch_vccz .LBB35_481
; %bb.480:
	global_load_ubyte v3, v[1:2], off
	s_mov_b32 s0, 0x7f800000
	s_brev_b32 s1, 1
	s_movk_i32 s2, 0x7fff
	s_waitcnt vmcnt(0)
	v_lshlrev_b32_e32 v3, 24, v3
	v_and_b32_e32 v4, 0x7f000000, v3
	v_ffbh_u32_e32 v5, v4
	v_min_u32_e32 v5, 32, v5
	v_sub_u32_e64 v5, v5, 4 clamp
	v_lshlrev_b32_e32 v7, v5, v4
	v_lshlrev_b32_e32 v5, 23, v5
	v_lshrrev_b32_e32 v7, 4, v7
	v_add_u32_e32 v6, 0x1000000, v4
	v_sub_u32_e32 v5, v7, v5
	v_ashrrev_i32_e32 v6, 8, v6
	v_add_u32_e32 v5, 0x3c000000, v5
	v_and_or_b32 v5, v6, s0, v5
	v_cmp_ne_u32_e32 vcc, 0, v4
	v_cndmask_b32_e32 v4, 0, v5, vcc
	v_and_or_b32 v3, v3, s1, v4
	v_bfe_u32 v4, v4, 16, 1
	v_add3_u32 v4, v3, v4, s2
	v_cmp_o_f32_e32 vcc, v3, v3
	v_mov_b32_e32 v3, 0x7fc0
	v_cndmask_b32_sdwa v3, v3, v4, vcc dst_sel:DWORD dst_unused:UNUSED_PAD src0_sel:DWORD src1_sel:WORD_1
.LBB35_481:
	s_mov_b64 s[0:1], 0
.LBB35_482:
	s_andn2_b64 vcc, exec, s[0:1]
	s_cbranch_vccnz .LBB35_484
; %bb.483:
	global_load_ubyte v3, v[1:2], off
	s_movk_i32 s0, 0x7f00
	s_brev_b32 s1, 16
	s_brev_b32 s2, 1
	s_movk_i32 s3, 0x7fff
	s_waitcnt vmcnt(0)
	v_lshlrev_b16_e32 v4, 8, v3
	v_lshlrev_b32_e32 v3, 25, v3
	v_lshrrev_b32_e32 v5, 4, v3
	v_and_or_b32 v6, v4, s0, 0.5
	v_or_b32_e32 v5, 0x70000000, v5
	v_add_f32_e32 v6, -0.5, v6
	v_mul_f32_e32 v5, 0x7800000, v5
	v_cmp_gt_u32_e32 vcc, s1, v3
	v_bfe_i32 v4, v4, 0, 16
	v_cndmask_b32_e32 v3, v5, v6, vcc
	v_and_or_b32 v4, v4, s2, v3
	v_bfe_u32 v3, v3, 16, 1
	v_add3_u32 v3, v4, v3, s3
	v_cmp_o_f32_e32 vcc, v4, v4
	v_mov_b32_e32 v4, 0x7fc0
	v_cndmask_b32_sdwa v3, v4, v3, vcc dst_sel:DWORD dst_unused:UNUSED_PAD src0_sel:DWORD src1_sel:WORD_1
.LBB35_484:
	s_mov_b64 s[2:3], 0
	s_mov_b64 s[0:1], -1
.LBB35_485:
	s_andn2_b64 vcc, exec, s[2:3]
	s_cbranch_vccnz .LBB35_498
; %bb.486:
	s_cmp_gt_i32 s10, 14
	s_cbranch_scc0 .LBB35_489
; %bb.487:
	s_cmp_eq_u32 s10, 15
	s_cbranch_scc0 .LBB35_492
; %bb.488:
	global_load_ushort v3, v[1:2], off
	s_mov_b64 s[0:1], -1
	s_mov_b64 s[8:9], 0
	s_branch .LBB35_493
.LBB35_489:
	s_mov_b64 s[2:3], -1
                                        ; implicit-def: $vgpr3
	s_branch .LBB35_494
.LBB35_490:
	s_or_saveexec_b64 s[2:3], s[2:3]
	v_mov_b32_e32 v4, 0x7f800001
	s_xor_b64 exec, exec, s[2:3]
	s_cbranch_execz .LBB35_471
.LBB35_491:
	v_cmp_ne_u16_e32 vcc, 0, v3
	s_andn2_b64 s[0:1], s[0:1], exec
	s_and_b64 s[6:7], vcc, exec
	v_mov_b32_e32 v4, 0
	s_or_b64 s[0:1], s[0:1], s[6:7]
	s_or_b64 exec, exec, s[2:3]
	s_and_saveexec_b64 s[2:3], s[0:1]
	s_cbranch_execnz .LBB35_472
	s_branch .LBB35_473
.LBB35_492:
	s_mov_b64 s[8:9], -1
                                        ; implicit-def: $vgpr3
.LBB35_493:
	s_mov_b64 s[2:3], 0
.LBB35_494:
	s_and_b64 vcc, exec, s[2:3]
	s_cbranch_vccz .LBB35_498
; %bb.495:
	s_cmp_eq_u32 s10, 11
	s_cbranch_scc0 .LBB35_497
; %bb.496:
	global_load_ubyte v3, v[1:2], off
	s_mov_b64 s[0:1], -1
	s_mov_b64 s[8:9], 0
	s_waitcnt vmcnt(0)
	v_cmp_ne_u16_e32 vcc, 0, v3
	v_cndmask_b32_e64 v3, 0, 1.0, vcc
	v_lshrrev_b32_e32 v3, 16, v3
	s_branch .LBB35_498
.LBB35_497:
	s_mov_b64 s[8:9], -1
                                        ; implicit-def: $vgpr3
.LBB35_498:
	s_branch .LBB35_297
.LBB35_499:
	s_cmp_lt_i32 s10, 5
	s_cbranch_scc1 .LBB35_504
; %bb.500:
	s_cmp_lt_i32 s10, 8
	s_cbranch_scc1 .LBB35_505
; %bb.501:
	;; [unrolled: 3-line block ×3, first 2 shown]
	s_cmp_gt_i32 s10, 9
	s_cbranch_scc0 .LBB35_507
; %bb.503:
	global_load_dwordx2 v[3:4], v[1:2], off
	s_movk_i32 s0, 0x7fff
	s_waitcnt vmcnt(0)
	v_cvt_f32_f64_e32 v3, v[3:4]
	v_mov_b32_e32 v4, 0x7fc0
	v_bfe_u32 v5, v3, 16, 1
	v_cmp_o_f32_e32 vcc, v3, v3
	v_add3_u32 v3, v3, v5, s0
	v_cndmask_b32_sdwa v3, v4, v3, vcc dst_sel:DWORD dst_unused:UNUSED_PAD src0_sel:DWORD src1_sel:WORD_1
	s_mov_b64 s[0:1], 0
	s_branch .LBB35_508
.LBB35_504:
	s_mov_b64 s[0:1], -1
                                        ; implicit-def: $vgpr3
	s_branch .LBB35_526
.LBB35_505:
	s_mov_b64 s[0:1], -1
                                        ; implicit-def: $vgpr3
	s_branch .LBB35_514
.LBB35_506:
	s_mov_b64 s[0:1], -1
                                        ; implicit-def: $vgpr3
	s_branch .LBB35_511
.LBB35_507:
	s_mov_b64 s[0:1], -1
                                        ; implicit-def: $vgpr3
.LBB35_508:
	s_andn2_b64 vcc, exec, s[0:1]
	s_cbranch_vccnz .LBB35_510
; %bb.509:
	global_load_dword v3, v[1:2], off
	s_movk_i32 s0, 0x7fff
	v_mov_b32_e32 v4, 0x7fc0
	s_waitcnt vmcnt(0)
	v_bfe_u32 v5, v3, 16, 1
	v_cmp_o_f32_e32 vcc, v3, v3
	v_add3_u32 v3, v3, v5, s0
	v_cndmask_b32_sdwa v3, v4, v3, vcc dst_sel:DWORD dst_unused:UNUSED_PAD src0_sel:DWORD src1_sel:WORD_1
.LBB35_510:
	s_mov_b64 s[0:1], 0
.LBB35_511:
	s_andn2_b64 vcc, exec, s[0:1]
	s_cbranch_vccnz .LBB35_513
; %bb.512:
	global_load_dword v3, v[1:2], off
	s_movk_i32 s0, 0x7fff
	v_mov_b32_e32 v5, 0x7fc0
	s_waitcnt vmcnt(0)
	v_cvt_f32_f16_e32 v4, v3
	v_cmp_o_f16_e32 vcc, v3, v3
	v_bfe_u32 v3, v4, 16, 1
	v_add3_u32 v3, v4, v3, s0
	v_cndmask_b32_sdwa v3, v5, v3, vcc dst_sel:DWORD dst_unused:UNUSED_PAD src0_sel:DWORD src1_sel:WORD_1
.LBB35_513:
	s_mov_b64 s[0:1], 0
.LBB35_514:
	s_andn2_b64 vcc, exec, s[0:1]
	s_cbranch_vccnz .LBB35_525
; %bb.515:
	s_cmp_lt_i32 s10, 6
	s_cbranch_scc1 .LBB35_518
; %bb.516:
	s_cmp_gt_i32 s10, 6
	s_cbranch_scc0 .LBB35_519
; %bb.517:
	global_load_dwordx2 v[3:4], v[1:2], off
	s_movk_i32 s0, 0x7fff
	s_waitcnt vmcnt(0)
	v_cvt_f32_f64_e32 v3, v[3:4]
	v_mov_b32_e32 v4, 0x7fc0
	v_bfe_u32 v5, v3, 16, 1
	v_cmp_o_f32_e32 vcc, v3, v3
	v_add3_u32 v3, v3, v5, s0
	v_cndmask_b32_sdwa v3, v4, v3, vcc dst_sel:DWORD dst_unused:UNUSED_PAD src0_sel:DWORD src1_sel:WORD_1
	s_mov_b64 s[0:1], 0
	s_branch .LBB35_520
.LBB35_518:
	s_mov_b64 s[0:1], -1
                                        ; implicit-def: $vgpr3
	s_branch .LBB35_523
.LBB35_519:
	s_mov_b64 s[0:1], -1
                                        ; implicit-def: $vgpr3
.LBB35_520:
	s_andn2_b64 vcc, exec, s[0:1]
	s_cbranch_vccnz .LBB35_522
; %bb.521:
	global_load_dword v3, v[1:2], off
	s_movk_i32 s0, 0x7fff
	v_mov_b32_e32 v4, 0x7fc0
	s_waitcnt vmcnt(0)
	v_bfe_u32 v5, v3, 16, 1
	v_cmp_o_f32_e32 vcc, v3, v3
	v_add3_u32 v3, v3, v5, s0
	v_cndmask_b32_sdwa v3, v4, v3, vcc dst_sel:DWORD dst_unused:UNUSED_PAD src0_sel:DWORD src1_sel:WORD_1
.LBB35_522:
	s_mov_b64 s[0:1], 0
.LBB35_523:
	s_andn2_b64 vcc, exec, s[0:1]
	s_cbranch_vccnz .LBB35_525
; %bb.524:
	global_load_ushort v3, v[1:2], off
	s_movk_i32 s0, 0x7fff
	v_mov_b32_e32 v5, 0x7fc0
	s_waitcnt vmcnt(0)
	v_cvt_f32_f16_e32 v4, v3
	v_cmp_o_f16_e32 vcc, v3, v3
	v_bfe_u32 v3, v4, 16, 1
	v_add3_u32 v3, v4, v3, s0
	v_cndmask_b32_sdwa v3, v5, v3, vcc dst_sel:DWORD dst_unused:UNUSED_PAD src0_sel:DWORD src1_sel:WORD_1
.LBB35_525:
	s_mov_b64 s[0:1], 0
.LBB35_526:
	s_andn2_b64 vcc, exec, s[0:1]
	s_cbranch_vccnz .LBB35_546
; %bb.527:
	s_cmp_lt_i32 s10, 2
	s_cbranch_scc1 .LBB35_531
; %bb.528:
	s_cmp_lt_i32 s10, 3
	s_cbranch_scc1 .LBB35_532
; %bb.529:
	s_cmp_gt_i32 s10, 3
	s_cbranch_scc0 .LBB35_533
; %bb.530:
	global_load_dwordx2 v[3:4], v[1:2], off
	s_movk_i32 s0, 0x7fff
	s_waitcnt vmcnt(0)
	v_xor_b32_e32 v6, v3, v4
	v_ffbh_i32_e32 v5, v4
	v_ashrrev_i32_e32 v6, 31, v6
	v_add_u32_e32 v5, -1, v5
	v_add_u32_e32 v6, 32, v6
	v_min_u32_e32 v5, v5, v6
	v_lshlrev_b64 v[3:4], v5, v[3:4]
	v_min_u32_e32 v3, 1, v3
	v_or_b32_e32 v3, v4, v3
	v_cvt_f32_i32_e32 v3, v3
	v_sub_u32_e32 v4, 32, v5
	v_ldexp_f32 v3, v3, v4
	v_bfe_u32 v4, v3, 16, 1
	v_add3_u32 v3, v3, v4, s0
	v_lshrrev_b32_e32 v3, 16, v3
	s_mov_b64 s[0:1], 0
	s_branch .LBB35_534
.LBB35_531:
	s_mov_b64 s[0:1], -1
                                        ; implicit-def: $vgpr3
	s_branch .LBB35_540
.LBB35_532:
	s_mov_b64 s[0:1], -1
                                        ; implicit-def: $vgpr3
	s_branch .LBB35_537
.LBB35_533:
	s_mov_b64 s[0:1], -1
                                        ; implicit-def: $vgpr3
.LBB35_534:
	s_andn2_b64 vcc, exec, s[0:1]
	s_cbranch_vccnz .LBB35_536
; %bb.535:
	global_load_dword v3, v[1:2], off
	s_movk_i32 s0, 0x7fff
	s_waitcnt vmcnt(0)
	v_cvt_f32_i32_e32 v3, v3
	v_bfe_u32 v4, v3, 16, 1
	v_add3_u32 v3, v3, v4, s0
	v_lshrrev_b32_e32 v3, 16, v3
.LBB35_536:
	s_mov_b64 s[0:1], 0
.LBB35_537:
	s_andn2_b64 vcc, exec, s[0:1]
	s_cbranch_vccnz .LBB35_539
; %bb.538:
	global_load_sshort v3, v[1:2], off
	s_movk_i32 s0, 0x7fff
	s_waitcnt vmcnt(0)
	v_cvt_f32_i32_e32 v3, v3
	v_bfe_u32 v4, v3, 16, 1
	v_add3_u32 v3, v3, v4, s0
	v_lshrrev_b32_e32 v3, 16, v3
.LBB35_539:
	s_mov_b64 s[0:1], 0
.LBB35_540:
	s_andn2_b64 vcc, exec, s[0:1]
	s_cbranch_vccnz .LBB35_546
; %bb.541:
	s_cmp_gt_i32 s10, 0
	s_cbranch_scc0 .LBB35_543
; %bb.542:
	global_load_sbyte v3, v[1:2], off
	s_movk_i32 s0, 0x7fff
	s_waitcnt vmcnt(0)
	v_cvt_f32_i32_e32 v3, v3
	v_bfe_u32 v4, v3, 16, 1
	v_add3_u32 v3, v3, v4, s0
	v_lshrrev_b32_e32 v3, 16, v3
	s_mov_b64 s[0:1], 0
	s_branch .LBB35_544
.LBB35_543:
	s_mov_b64 s[0:1], -1
                                        ; implicit-def: $vgpr3
.LBB35_544:
	s_andn2_b64 vcc, exec, s[0:1]
	s_cbranch_vccnz .LBB35_546
; %bb.545:
	global_load_ubyte v1, v[1:2], off
	s_movk_i32 s0, 0x7fff
	s_waitcnt vmcnt(0)
	v_cvt_f32_ubyte0_e32 v1, v1
	v_bfe_u32 v2, v1, 16, 1
	v_add3_u32 v1, v1, v2, s0
	v_lshrrev_b32_e32 v3, 16, v1
.LBB35_546:
	s_branch .LBB35_298
.LBB35_547:
	s_mov_b64 s[2:3], 0
	s_mov_b64 s[0:1], s[54:55]
.LBB35_548:
                                        ; implicit-def: $vgpr8
.LBB35_549:
	s_andn2_b64 s[6:7], s[54:55], exec
	s_and_b64 s[0:1], s[0:1], exec
	s_or_b64 s[62:63], s[6:7], s[0:1]
	s_andn2_b64 s[0:1], s[56:57], exec
	s_and_b64 s[6:7], s[8:9], exec
	s_or_b64 s[60:61], s[0:1], s[6:7]
	s_orn2_b64 s[0:1], s[2:3], exec
.LBB35_550:
	s_or_b64 exec, exec, s[64:65]
	s_mov_b64 s[2:3], 0
	s_mov_b64 s[8:9], 0
	;; [unrolled: 1-line block ×3, first 2 shown]
                                        ; implicit-def: $vgpr1_vgpr2
                                        ; implicit-def: $vgpr0
                                        ; implicit-def: $vgpr4
	s_and_saveexec_b64 s[64:65], s[0:1]
	s_cbranch_execz .LBB35_929
; %bb.551:
	v_cmp_gt_i32_e32 vcc, s70, v8
	s_mov_b64 s[2:3], -1
	s_mov_b64 s[6:7], s[60:61]
	s_mov_b64 s[68:69], s[62:63]
	s_and_saveexec_b64 s[66:67], vcc
	s_cbranch_execz .LBB35_829
; %bb.552:
	s_andn2_b64 vcc, exec, s[42:43]
	s_cbranch_vccnz .LBB35_557
; %bb.553:
	s_andn2_b64 vcc, exec, s[52:53]
	s_cbranch_vccnz .LBB35_558
; %bb.554:
	s_add_i32 s76, s75, 1
	s_cmp_eq_u32 s72, 2
	s_cbranch_scc1 .LBB35_559
; %bb.555:
	s_and_b32 s71, s76, 28
	v_mov_b32_e32 v2, 0
	s_mov_b32 s77, 0
	s_mov_b64 s[6:7], s[34:35]
	s_mov_b64 s[68:69], s[50:51]
	v_mov_b32_e32 v0, 0
	v_mov_b32_e32 v1, v8
.LBB35_556:                             ; =>This Inner Loop Header: Depth=1
	s_load_dwordx8 s[16:23], s[6:7], 0x4
	s_load_dwordx4 s[0:3], s[6:7], 0x24
	s_load_dwordx8 s[8:15], s[68:69], 0x0
	s_add_u32 s6, s6, 48
	s_addc_u32 s7, s7, 0
	s_waitcnt vmcnt(0) lgkmcnt(0)
	v_mul_hi_u32 v3, s17, v1
	s_add_i32 s77, s77, 4
	s_add_u32 s68, s68, 32
	s_addc_u32 s69, s69, 0
	v_add_u32_e32 v3, v1, v3
	v_lshrrev_b32_e32 v3, s18, v3
	v_mul_lo_u32 v4, v3, s16
	v_mul_hi_u32 v5, s20, v3
	s_cmp_eq_u32 s71, s77
	v_sub_u32_e32 v1, v1, v4
	v_add_u32_e32 v4, v3, v5
	v_mul_lo_u32 v5, v1, s8
	v_mul_lo_u32 v6, v1, s9
	v_lshrrev_b32_e32 v1, s21, v4
	v_mul_lo_u32 v4, v1, s19
	v_mul_hi_u32 v7, s23, v1
	v_sub_u32_e32 v3, v3, v4
	v_add_u32_e32 v4, v1, v7
	v_lshrrev_b32_e32 v4, s0, v4
	v_mul_hi_u32 v9, s2, v4
	v_mul_lo_u32 v10, v4, s22
	v_mul_lo_u32 v7, v3, s10
	;; [unrolled: 1-line block ×3, first 2 shown]
	v_sub_u32_e32 v10, v1, v10
	v_add_u32_e32 v1, v4, v9
	v_lshrrev_b32_e32 v1, s3, v1
	v_mul_lo_u32 v9, v1, s1
	v_mul_lo_u32 v11, v10, s12
	;; [unrolled: 1-line block ×3, first 2 shown]
	v_add3_u32 v0, v5, v0, v7
	v_sub_u32_e32 v4, v4, v9
	v_mul_lo_u32 v9, v4, s14
	v_mul_lo_u32 v4, v4, s15
	v_add3_u32 v2, v6, v2, v3
	v_add3_u32 v0, v11, v0, v9
	;; [unrolled: 1-line block ×3, first 2 shown]
	s_cbranch_scc0 .LBB35_556
	s_branch .LBB35_560
.LBB35_557:
	s_mov_b64 s[0:1], -1
                                        ; implicit-def: $vgpr0
                                        ; implicit-def: $vgpr2
	s_branch .LBB35_564
.LBB35_558:
	v_mov_b32_e32 v0, 0
	v_mov_b32_e32 v2, 0
	s_branch .LBB35_563
.LBB35_559:
	s_mov_b32 s71, 0
	v_mov_b32_e32 v0, 0
	v_mov_b32_e32 v2, 0
	;; [unrolled: 1-line block ×3, first 2 shown]
.LBB35_560:
	s_and_b32 s6, s76, 3
	s_cmp_eq_u32 s6, 0
	s_cbranch_scc1 .LBB35_563
; %bb.561:
	s_lshl_b32 s0, s71, 3
	s_add_u32 s0, s34, s0
	s_addc_u32 s1, s35, 0
	s_add_u32 s0, s0, 0xc4
	s_addc_u32 s1, s1, 0
	s_mul_i32 s2, s71, 12
	s_add_u32 s2, s34, s2
	s_addc_u32 s3, s35, 0
.LBB35_562:                             ; =>This Inner Loop Header: Depth=1
	s_load_dwordx2 s[8:9], s[2:3], 0x4
	s_load_dword s7, s[2:3], 0xc
	s_load_dwordx2 s[10:11], s[0:1], 0x0
	s_add_u32 s2, s2, 12
	s_addc_u32 s3, s3, 0
	s_waitcnt vmcnt(0) lgkmcnt(0)
	v_mul_hi_u32 v3, s9, v1
	s_add_u32 s0, s0, 8
	s_addc_u32 s1, s1, 0
	s_add_i32 s6, s6, -1
	v_add_u32_e32 v3, v1, v3
	v_lshrrev_b32_e32 v4, s7, v3
	v_mul_lo_u32 v3, v4, s8
	s_cmp_lg_u32 s6, 0
	v_sub_u32_e32 v3, v1, v3
	v_mad_u64_u32 v[0:1], s[8:9], v3, s10, v[0:1]
	v_mad_u64_u32 v[2:3], s[8:9], v3, s11, v[2:3]
	v_mov_b32_e32 v1, v4
	s_cbranch_scc1 .LBB35_562
.LBB35_563:
	s_mov_b64 s[0:1], 0
.LBB35_564:
	s_andn2_b64 vcc, exec, s[0:1]
	s_cbranch_vccnz .LBB35_567
; %bb.565:
	s_waitcnt lgkmcnt(0)
	v_mul_hi_u32 v0, s37, v8
	s_andn2_b64 vcc, exec, s[48:49]
	v_add_u32_e32 v0, v8, v0
	v_lshrrev_b32_e32 v1, s38, v0
	v_mul_lo_u32 v0, v1, s36
	v_sub_u32_e32 v2, v8, v0
	v_mul_lo_u32 v0, v2, s28
	v_mul_lo_u32 v2, v2, s29
	s_cbranch_vccnz .LBB35_567
; %bb.566:
	s_waitcnt vmcnt(0)
	v_mul_hi_u32 v3, s46, v1
	v_add_u32_e32 v3, v1, v3
	v_lshrrev_b32_e32 v3, s47, v3
	v_mul_lo_u32 v3, v3, s39
	v_sub_u32_e32 v3, v1, v3
	v_mad_u64_u32 v[0:1], s[0:1], v3, s30, v[0:1]
	v_mad_u64_u32 v[2:3], s[0:1], v3, s31, v[2:3]
.LBB35_567:
	s_waitcnt vmcnt(0) lgkmcnt(0)
	v_mov_b32_e32 v3, s27
	s_and_b32 s10, 0xffff, s74
	v_add_co_u32_e32 v1, vcc, s26, v2
	s_cmp_lt_i32 s10, 11
	v_addc_co_u32_e32 v2, vcc, 0, v3, vcc
	s_cbranch_scc1 .LBB35_574
; %bb.568:
	s_cmp_gt_i32 s10, 25
	s_cbranch_scc0 .LBB35_575
; %bb.569:
	s_cmp_gt_i32 s10, 28
	s_cbranch_scc0 .LBB35_576
	;; [unrolled: 3-line block ×4, first 2 shown]
; %bb.572:
	s_cmp_eq_u32 s10, 46
	s_mov_b64 s[2:3], 0
	s_cbranch_scc0 .LBB35_583
; %bb.573:
	global_load_dword v3, v[1:2], off
	s_mov_b64 s[0:1], -1
	s_mov_b64 s[8:9], 0
	s_branch .LBB35_584
.LBB35_574:
	s_mov_b64 s[2:3], -1
	s_mov_b64 s[0:1], 0
                                        ; implicit-def: $vgpr3
	s_mov_b64 s[8:9], s[60:61]
	s_branch .LBB35_649
.LBB35_575:
	s_mov_b64 s[2:3], -1
	s_mov_b64 s[0:1], 0
	s_mov_b64 s[8:9], s[60:61]
                                        ; implicit-def: $vgpr3
	s_branch .LBB35_613
.LBB35_576:
	s_mov_b64 s[2:3], -1
	s_mov_b64 s[0:1], 0
	s_mov_b64 s[8:9], s[60:61]
                                        ; implicit-def: $vgpr3
	s_branch .LBB35_594
.LBB35_577:
	s_mov_b64 s[2:3], -1
	s_mov_b64 s[0:1], 0
	s_mov_b64 s[8:9], s[60:61]
                                        ; implicit-def: $vgpr3
	s_branch .LBB35_589
.LBB35_578:
	s_andn2_saveexec_b64 s[10:11], s[10:11]
	s_cbranch_execz .LBB35_347
.LBB35_579:
	s_mov_b32 s14, 0x46000000
	v_add_f32_e64 v4, |v5|, s14
	v_and_b32_e32 v4, 0xff, v4
	v_cmp_ne_u32_e32 vcc, 0, v4
	s_andn2_b64 s[6:7], s[6:7], exec
	s_and_b64 s[14:15], vcc, exec
	s_or_b64 s[6:7], s[6:7], s[14:15]
	s_or_b64 exec, exec, s[10:11]
	v_mov_b32_e32 v6, 0
	s_and_saveexec_b64 s[10:11], s[6:7]
	s_cbranch_execnz .LBB35_348
	s_branch .LBB35_349
.LBB35_580:
	s_mov_b64 s[2:3], -1
	s_mov_b64 s[0:1], 0
	s_mov_b64 s[8:9], s[60:61]
                                        ; implicit-def: $vgpr3
	s_branch .LBB35_584
.LBB35_581:
	s_andn2_saveexec_b64 s[10:11], s[10:11]
	s_cbranch_execz .LBB35_360
.LBB35_582:
	s_mov_b32 s14, 0x42800000
	v_add_f32_e64 v4, |v5|, s14
	v_and_b32_e32 v4, 0xff, v4
	v_cmp_ne_u32_e32 vcc, 0, v4
	s_andn2_b64 s[6:7], s[6:7], exec
	s_and_b64 s[14:15], vcc, exec
	s_or_b64 s[6:7], s[6:7], s[14:15]
	s_or_b64 exec, exec, s[10:11]
	v_mov_b32_e32 v6, 0
	s_and_saveexec_b64 s[10:11], s[6:7]
	s_cbranch_execnz .LBB35_361
	s_branch .LBB35_362
.LBB35_583:
	s_mov_b64 s[8:9], -1
                                        ; implicit-def: $vgpr3
	s_mov_b64 s[0:1], 0
.LBB35_584:
	s_and_b64 vcc, exec, s[2:3]
	s_cbranch_vccz .LBB35_588
; %bb.585:
	s_cmp_eq_u32 s10, 44
	s_cbranch_scc0 .LBB35_587
; %bb.586:
	global_load_ubyte v3, v[1:2], off
	s_movk_i32 s2, 0xff
	v_mov_b32_e32 v4, 0x7f800001
	v_mov_b32_e32 v5, 0x400000
	;; [unrolled: 1-line block ×3, first 2 shown]
	s_mov_b64 s[0:1], -1
	s_mov_b64 s[8:9], 0
	s_waitcnt vmcnt(0)
	v_lshlrev_b32_e32 v7, 23, v3
	v_cmp_ne_u32_e32 vcc, s2, v3
	v_cndmask_b32_e32 v4, v4, v7, vcc
	v_cmp_ne_u32_e32 vcc, 0, v3
	v_cndmask_b32_e32 v3, v5, v4, vcc
	v_add_u32_e32 v4, 0x7fff, v3
	v_cmp_o_f32_e32 vcc, v3, v3
	v_cndmask_b32_sdwa v3, v6, v4, vcc dst_sel:DWORD dst_unused:UNUSED_PAD src0_sel:DWORD src1_sel:WORD_1
	s_branch .LBB35_588
.LBB35_587:
	s_mov_b64 s[8:9], -1
                                        ; implicit-def: $vgpr3
.LBB35_588:
	s_mov_b64 s[2:3], 0
.LBB35_589:
	s_and_b64 vcc, exec, s[2:3]
	s_cbranch_vccz .LBB35_593
; %bb.590:
	s_cmp_eq_u32 s10, 29
	s_cbranch_scc0 .LBB35_592
; %bb.591:
	global_load_dwordx2 v[3:4], v[1:2], off
	s_movk_i32 s2, 0x7fff
	s_mov_b64 s[0:1], -1
	s_mov_b64 s[8:9], 0
	s_waitcnt vmcnt(0)
	v_ffbh_u32_e32 v5, v4
	v_min_u32_e32 v5, 32, v5
	v_lshlrev_b64 v[3:4], v5, v[3:4]
	v_min_u32_e32 v3, 1, v3
	v_or_b32_e32 v3, v4, v3
	v_cvt_f32_u32_e32 v3, v3
	v_sub_u32_e32 v4, 32, v5
	v_ldexp_f32 v3, v3, v4
	v_bfe_u32 v4, v3, 16, 1
	v_add3_u32 v3, v3, v4, s2
	v_lshrrev_b32_e32 v3, 16, v3
	s_branch .LBB35_593
.LBB35_592:
	s_mov_b64 s[8:9], -1
                                        ; implicit-def: $vgpr3
.LBB35_593:
	s_mov_b64 s[2:3], 0
.LBB35_594:
	s_and_b64 vcc, exec, s[2:3]
	s_cbranch_vccz .LBB35_612
; %bb.595:
	s_cmp_lt_i32 s10, 27
	s_cbranch_scc1 .LBB35_598
; %bb.596:
	s_cmp_gt_i32 s10, 27
	s_cbranch_scc0 .LBB35_599
; %bb.597:
	global_load_dword v3, v[1:2], off
	s_movk_i32 s0, 0x7fff
	s_waitcnt vmcnt(0)
	v_cvt_f32_u32_e32 v3, v3
	v_bfe_u32 v4, v3, 16, 1
	v_add3_u32 v3, v3, v4, s0
	v_lshrrev_b32_e32 v3, 16, v3
	s_mov_b64 s[0:1], 0
	s_branch .LBB35_600
.LBB35_598:
	s_mov_b64 s[0:1], -1
                                        ; implicit-def: $vgpr3
	s_branch .LBB35_603
.LBB35_599:
	s_mov_b64 s[0:1], -1
                                        ; implicit-def: $vgpr3
.LBB35_600:
	s_andn2_b64 vcc, exec, s[0:1]
	s_cbranch_vccnz .LBB35_602
; %bb.601:
	global_load_ushort v3, v[1:2], off
	s_movk_i32 s0, 0x7fff
	s_waitcnt vmcnt(0)
	v_cvt_f32_u32_e32 v3, v3
	v_bfe_u32 v4, v3, 16, 1
	v_add3_u32 v3, v3, v4, s0
	v_lshrrev_b32_e32 v3, 16, v3
.LBB35_602:
	s_mov_b64 s[0:1], 0
.LBB35_603:
	s_andn2_b64 vcc, exec, s[0:1]
	s_cbranch_vccnz .LBB35_611
; %bb.604:
	global_load_ubyte v3, v[1:2], off
	s_movk_i32 s0, 0x7f
	s_waitcnt vmcnt(0)
	v_cmp_lt_i16_e32 vcc, s0, v3
	s_mov_b64 s[0:1], 0
	s_and_saveexec_b64 s[2:3], vcc
	s_xor_b64 s[2:3], exec, s[2:3]
	s_cbranch_execz .LBB35_625
; %bb.605:
	s_movk_i32 s0, 0x80
	v_cmp_eq_u16_e32 vcc, s0, v3
	s_mov_b64 s[0:1], -1
	s_and_saveexec_b64 s[6:7], vcc
; %bb.606:
	s_xor_b64 s[0:1], exec, -1
; %bb.607:
	s_or_b64 exec, exec, s[6:7]
	s_and_b64 s[0:1], s[0:1], exec
	s_or_saveexec_b64 s[2:3], s[2:3]
	v_mov_b32_e32 v4, 0x7f800001
	s_xor_b64 exec, exec, s[2:3]
	s_cbranch_execnz .LBB35_626
.LBB35_608:
	s_or_b64 exec, exec, s[2:3]
	s_and_saveexec_b64 s[2:3], s[0:1]
	s_cbranch_execz .LBB35_610
.LBB35_609:
	v_lshlrev_b32_e32 v4, 24, v3
	v_and_b32_e32 v3, 0xffff, v3
	v_and_b32_e32 v5, 7, v3
	v_ffbh_u32_e32 v7, v5
	v_min_u32_e32 v7, 32, v7
	v_subrev_u32_e32 v9, 28, v7
	v_bfe_u32 v6, v3, 3, 4
	v_lshlrev_b32_e32 v3, v9, v3
	v_sub_u32_e32 v7, 29, v7
	v_and_b32_e32 v3, 7, v3
	v_cmp_eq_u32_e32 vcc, 0, v6
	v_cndmask_b32_e32 v6, v6, v7, vcc
	v_cndmask_b32_e32 v3, v5, v3, vcc
	v_mov_b32_e32 v5, 0x3b800000
	v_lshlrev_b32_e32 v3, 20, v3
	v_and_b32_e32 v4, 0x80000000, v4
	v_lshl_add_u32 v5, v6, 23, v5
	v_or3_b32 v4, v4, v5, v3
.LBB35_610:
	s_or_b64 exec, exec, s[2:3]
	v_bfe_u32 v3, v4, 16, 1
	s_movk_i32 s0, 0x7fff
	v_add3_u32 v3, v4, v3, s0
	v_cmp_o_f32_e32 vcc, v4, v4
	v_mov_b32_e32 v4, 0x7fc0
	v_cndmask_b32_sdwa v3, v4, v3, vcc dst_sel:DWORD dst_unused:UNUSED_PAD src0_sel:DWORD src1_sel:WORD_1
.LBB35_611:
	s_mov_b64 s[0:1], -1
.LBB35_612:
	s_mov_b64 s[2:3], 0
.LBB35_613:
	s_and_b64 vcc, exec, s[2:3]
	s_cbranch_vccz .LBB35_648
; %bb.614:
	s_cmp_gt_i32 s10, 22
	s_cbranch_scc0 .LBB35_624
; %bb.615:
	s_cmp_lt_i32 s10, 24
	s_cbranch_scc1 .LBB35_627
; %bb.616:
	s_cmp_gt_i32 s10, 24
	s_cbranch_scc0 .LBB35_628
; %bb.617:
	global_load_ubyte v3, v[1:2], off
	s_movk_i32 s0, 0x7f
	s_waitcnt vmcnt(0)
	v_cmp_lt_i16_e32 vcc, s0, v3
	s_mov_b64 s[0:1], 0
	s_and_saveexec_b64 s[2:3], vcc
	s_xor_b64 s[2:3], exec, s[2:3]
	s_cbranch_execz .LBB35_640
; %bb.618:
	s_movk_i32 s0, 0x80
	v_cmp_eq_u16_e32 vcc, s0, v3
	s_mov_b64 s[0:1], -1
	s_and_saveexec_b64 s[6:7], vcc
; %bb.619:
	s_xor_b64 s[0:1], exec, -1
; %bb.620:
	s_or_b64 exec, exec, s[6:7]
	s_and_b64 s[0:1], s[0:1], exec
	s_or_saveexec_b64 s[2:3], s[2:3]
	v_mov_b32_e32 v4, 0x7f800001
	s_xor_b64 exec, exec, s[2:3]
	s_cbranch_execnz .LBB35_641
.LBB35_621:
	s_or_b64 exec, exec, s[2:3]
	s_and_saveexec_b64 s[2:3], s[0:1]
	s_cbranch_execz .LBB35_623
.LBB35_622:
	v_lshlrev_b32_e32 v4, 24, v3
	v_and_b32_e32 v3, 0xffff, v3
	v_and_b32_e32 v5, 3, v3
	v_ffbh_u32_e32 v7, v5
	v_min_u32_e32 v7, 32, v7
	v_subrev_u32_e32 v9, 29, v7
	v_bfe_u32 v6, v3, 2, 5
	v_lshlrev_b32_e32 v3, v9, v3
	v_sub_u32_e32 v7, 30, v7
	v_and_b32_e32 v3, 3, v3
	v_cmp_eq_u32_e32 vcc, 0, v6
	v_cndmask_b32_e32 v6, v6, v7, vcc
	v_cndmask_b32_e32 v3, v5, v3, vcc
	v_mov_b32_e32 v5, 0x37800000
	v_lshlrev_b32_e32 v3, 21, v3
	v_and_b32_e32 v4, 0x80000000, v4
	v_lshl_add_u32 v5, v6, 23, v5
	v_or3_b32 v4, v4, v5, v3
.LBB35_623:
	s_or_b64 exec, exec, s[2:3]
	v_bfe_u32 v3, v4, 16, 1
	s_movk_i32 s0, 0x7fff
	v_add3_u32 v3, v4, v3, s0
	v_cmp_o_f32_e32 vcc, v4, v4
	v_mov_b32_e32 v4, 0x7fc0
	v_cndmask_b32_sdwa v3, v4, v3, vcc dst_sel:DWORD dst_unused:UNUSED_PAD src0_sel:DWORD src1_sel:WORD_1
	s_mov_b64 s[0:1], 0
	s_branch .LBB35_629
.LBB35_624:
	s_mov_b64 s[2:3], -1
                                        ; implicit-def: $vgpr3
	s_branch .LBB35_635
.LBB35_625:
	s_or_saveexec_b64 s[2:3], s[2:3]
	v_mov_b32_e32 v4, 0x7f800001
	s_xor_b64 exec, exec, s[2:3]
	s_cbranch_execz .LBB35_608
.LBB35_626:
	v_cmp_ne_u16_e32 vcc, 0, v3
	s_andn2_b64 s[0:1], s[0:1], exec
	s_and_b64 s[6:7], vcc, exec
	v_mov_b32_e32 v4, 0
	s_or_b64 s[0:1], s[0:1], s[6:7]
	s_or_b64 exec, exec, s[2:3]
	s_and_saveexec_b64 s[2:3], s[0:1]
	s_cbranch_execnz .LBB35_609
	s_branch .LBB35_610
.LBB35_627:
	s_mov_b64 s[0:1], -1
                                        ; implicit-def: $vgpr3
	s_branch .LBB35_632
.LBB35_628:
	s_mov_b64 s[0:1], -1
                                        ; implicit-def: $vgpr3
.LBB35_629:
	s_and_b64 vcc, exec, s[0:1]
	s_cbranch_vccz .LBB35_631
; %bb.630:
	global_load_ubyte v3, v[1:2], off
	s_mov_b32 s0, 0x7f800000
	s_brev_b32 s1, 1
	s_movk_i32 s2, 0x7fff
	s_waitcnt vmcnt(0)
	v_lshlrev_b32_e32 v3, 24, v3
	v_and_b32_e32 v4, 0x7f000000, v3
	v_ffbh_u32_e32 v5, v4
	v_min_u32_e32 v5, 32, v5
	v_sub_u32_e64 v5, v5, 4 clamp
	v_lshlrev_b32_e32 v7, v5, v4
	v_lshlrev_b32_e32 v5, 23, v5
	v_lshrrev_b32_e32 v7, 4, v7
	v_add_u32_e32 v6, 0x1000000, v4
	v_sub_u32_e32 v5, v7, v5
	v_ashrrev_i32_e32 v6, 8, v6
	v_add_u32_e32 v5, 0x3c000000, v5
	v_and_or_b32 v5, v6, s0, v5
	v_cmp_ne_u32_e32 vcc, 0, v4
	v_cndmask_b32_e32 v4, 0, v5, vcc
	v_and_or_b32 v3, v3, s1, v4
	v_bfe_u32 v4, v4, 16, 1
	v_add3_u32 v4, v3, v4, s2
	v_cmp_o_f32_e32 vcc, v3, v3
	v_mov_b32_e32 v3, 0x7fc0
	v_cndmask_b32_sdwa v3, v3, v4, vcc dst_sel:DWORD dst_unused:UNUSED_PAD src0_sel:DWORD src1_sel:WORD_1
.LBB35_631:
	s_mov_b64 s[0:1], 0
.LBB35_632:
	s_andn2_b64 vcc, exec, s[0:1]
	s_cbranch_vccnz .LBB35_634
; %bb.633:
	global_load_ubyte v3, v[1:2], off
	s_movk_i32 s0, 0x7f00
	s_brev_b32 s1, 16
	s_brev_b32 s2, 1
	s_movk_i32 s3, 0x7fff
	s_waitcnt vmcnt(0)
	v_lshlrev_b16_e32 v4, 8, v3
	v_lshlrev_b32_e32 v3, 25, v3
	v_lshrrev_b32_e32 v5, 4, v3
	v_and_or_b32 v6, v4, s0, 0.5
	v_or_b32_e32 v5, 0x70000000, v5
	v_add_f32_e32 v6, -0.5, v6
	v_mul_f32_e32 v5, 0x7800000, v5
	v_cmp_gt_u32_e32 vcc, s1, v3
	v_bfe_i32 v4, v4, 0, 16
	v_cndmask_b32_e32 v3, v5, v6, vcc
	v_and_or_b32 v4, v4, s2, v3
	v_bfe_u32 v3, v3, 16, 1
	v_add3_u32 v3, v4, v3, s3
	v_cmp_o_f32_e32 vcc, v4, v4
	v_mov_b32_e32 v4, 0x7fc0
	v_cndmask_b32_sdwa v3, v4, v3, vcc dst_sel:DWORD dst_unused:UNUSED_PAD src0_sel:DWORD src1_sel:WORD_1
.LBB35_634:
	s_mov_b64 s[2:3], 0
	s_mov_b64 s[0:1], -1
.LBB35_635:
	s_andn2_b64 vcc, exec, s[2:3]
	s_cbranch_vccnz .LBB35_648
; %bb.636:
	s_cmp_gt_i32 s10, 14
	s_cbranch_scc0 .LBB35_639
; %bb.637:
	s_cmp_eq_u32 s10, 15
	s_cbranch_scc0 .LBB35_642
; %bb.638:
	global_load_ushort v3, v[1:2], off
	s_mov_b64 s[0:1], -1
	s_mov_b64 s[8:9], 0
	s_branch .LBB35_643
.LBB35_639:
	s_mov_b64 s[2:3], -1
                                        ; implicit-def: $vgpr3
	s_branch .LBB35_644
.LBB35_640:
	s_or_saveexec_b64 s[2:3], s[2:3]
	v_mov_b32_e32 v4, 0x7f800001
	s_xor_b64 exec, exec, s[2:3]
	s_cbranch_execz .LBB35_621
.LBB35_641:
	v_cmp_ne_u16_e32 vcc, 0, v3
	s_andn2_b64 s[0:1], s[0:1], exec
	s_and_b64 s[6:7], vcc, exec
	v_mov_b32_e32 v4, 0
	s_or_b64 s[0:1], s[0:1], s[6:7]
	s_or_b64 exec, exec, s[2:3]
	s_and_saveexec_b64 s[2:3], s[0:1]
	s_cbranch_execnz .LBB35_622
	s_branch .LBB35_623
.LBB35_642:
	s_mov_b64 s[8:9], -1
                                        ; implicit-def: $vgpr3
.LBB35_643:
	s_mov_b64 s[2:3], 0
.LBB35_644:
	s_and_b64 vcc, exec, s[2:3]
	s_cbranch_vccz .LBB35_648
; %bb.645:
	s_cmp_eq_u32 s10, 11
	s_cbranch_scc0 .LBB35_647
; %bb.646:
	global_load_ubyte v3, v[1:2], off
	s_mov_b64 s[0:1], -1
	s_mov_b64 s[8:9], 0
	s_waitcnt vmcnt(0)
	v_cmp_ne_u16_e32 vcc, 0, v3
	v_cndmask_b32_e64 v3, 0, 1.0, vcc
	v_lshrrev_b32_e32 v3, 16, v3
	s_branch .LBB35_648
.LBB35_647:
	s_mov_b64 s[8:9], -1
                                        ; implicit-def: $vgpr3
.LBB35_648:
	s_mov_b64 s[2:3], 0
.LBB35_649:
	s_and_b64 vcc, exec, s[2:3]
	s_cbranch_vccz .LBB35_698
; %bb.650:
	s_cmp_lt_i32 s10, 5
	s_cbranch_scc1 .LBB35_655
; %bb.651:
	s_cmp_lt_i32 s10, 8
	s_cbranch_scc1 .LBB35_656
	;; [unrolled: 3-line block ×3, first 2 shown]
; %bb.653:
	s_cmp_gt_i32 s10, 9
	s_cbranch_scc0 .LBB35_658
; %bb.654:
	global_load_dwordx2 v[3:4], v[1:2], off
	s_movk_i32 s0, 0x7fff
	s_waitcnt vmcnt(0)
	v_cvt_f32_f64_e32 v3, v[3:4]
	v_mov_b32_e32 v4, 0x7fc0
	v_bfe_u32 v5, v3, 16, 1
	v_cmp_o_f32_e32 vcc, v3, v3
	v_add3_u32 v3, v3, v5, s0
	v_cndmask_b32_sdwa v3, v4, v3, vcc dst_sel:DWORD dst_unused:UNUSED_PAD src0_sel:DWORD src1_sel:WORD_1
	s_mov_b64 s[0:1], 0
	s_branch .LBB35_659
.LBB35_655:
	s_mov_b64 s[0:1], -1
                                        ; implicit-def: $vgpr3
	s_branch .LBB35_677
.LBB35_656:
	s_mov_b64 s[0:1], -1
                                        ; implicit-def: $vgpr3
	s_branch .LBB35_665
.LBB35_657:
	s_mov_b64 s[0:1], -1
                                        ; implicit-def: $vgpr3
	s_branch .LBB35_662
.LBB35_658:
	s_mov_b64 s[0:1], -1
                                        ; implicit-def: $vgpr3
.LBB35_659:
	s_andn2_b64 vcc, exec, s[0:1]
	s_cbranch_vccnz .LBB35_661
; %bb.660:
	global_load_dword v3, v[1:2], off
	s_movk_i32 s0, 0x7fff
	v_mov_b32_e32 v4, 0x7fc0
	s_waitcnt vmcnt(0)
	v_bfe_u32 v5, v3, 16, 1
	v_cmp_o_f32_e32 vcc, v3, v3
	v_add3_u32 v3, v3, v5, s0
	v_cndmask_b32_sdwa v3, v4, v3, vcc dst_sel:DWORD dst_unused:UNUSED_PAD src0_sel:DWORD src1_sel:WORD_1
.LBB35_661:
	s_mov_b64 s[0:1], 0
.LBB35_662:
	s_andn2_b64 vcc, exec, s[0:1]
	s_cbranch_vccnz .LBB35_664
; %bb.663:
	global_load_dword v3, v[1:2], off
	s_movk_i32 s0, 0x7fff
	v_mov_b32_e32 v5, 0x7fc0
	s_waitcnt vmcnt(0)
	v_cvt_f32_f16_e32 v4, v3
	v_cmp_o_f16_e32 vcc, v3, v3
	v_bfe_u32 v3, v4, 16, 1
	v_add3_u32 v3, v4, v3, s0
	v_cndmask_b32_sdwa v3, v5, v3, vcc dst_sel:DWORD dst_unused:UNUSED_PAD src0_sel:DWORD src1_sel:WORD_1
.LBB35_664:
	s_mov_b64 s[0:1], 0
.LBB35_665:
	s_andn2_b64 vcc, exec, s[0:1]
	s_cbranch_vccnz .LBB35_676
; %bb.666:
	s_cmp_lt_i32 s10, 6
	s_cbranch_scc1 .LBB35_669
; %bb.667:
	s_cmp_gt_i32 s10, 6
	s_cbranch_scc0 .LBB35_670
; %bb.668:
	global_load_dwordx2 v[3:4], v[1:2], off
	s_movk_i32 s0, 0x7fff
	s_waitcnt vmcnt(0)
	v_cvt_f32_f64_e32 v3, v[3:4]
	v_mov_b32_e32 v4, 0x7fc0
	v_bfe_u32 v5, v3, 16, 1
	v_cmp_o_f32_e32 vcc, v3, v3
	v_add3_u32 v3, v3, v5, s0
	v_cndmask_b32_sdwa v3, v4, v3, vcc dst_sel:DWORD dst_unused:UNUSED_PAD src0_sel:DWORD src1_sel:WORD_1
	s_mov_b64 s[0:1], 0
	s_branch .LBB35_671
.LBB35_669:
	s_mov_b64 s[0:1], -1
                                        ; implicit-def: $vgpr3
	s_branch .LBB35_674
.LBB35_670:
	s_mov_b64 s[0:1], -1
                                        ; implicit-def: $vgpr3
.LBB35_671:
	s_andn2_b64 vcc, exec, s[0:1]
	s_cbranch_vccnz .LBB35_673
; %bb.672:
	global_load_dword v3, v[1:2], off
	s_movk_i32 s0, 0x7fff
	v_mov_b32_e32 v4, 0x7fc0
	s_waitcnt vmcnt(0)
	v_bfe_u32 v5, v3, 16, 1
	v_cmp_o_f32_e32 vcc, v3, v3
	v_add3_u32 v3, v3, v5, s0
	v_cndmask_b32_sdwa v3, v4, v3, vcc dst_sel:DWORD dst_unused:UNUSED_PAD src0_sel:DWORD src1_sel:WORD_1
.LBB35_673:
	s_mov_b64 s[0:1], 0
.LBB35_674:
	s_andn2_b64 vcc, exec, s[0:1]
	s_cbranch_vccnz .LBB35_676
; %bb.675:
	global_load_ushort v3, v[1:2], off
	s_movk_i32 s0, 0x7fff
	v_mov_b32_e32 v5, 0x7fc0
	s_waitcnt vmcnt(0)
	v_cvt_f32_f16_e32 v4, v3
	v_cmp_o_f16_e32 vcc, v3, v3
	v_bfe_u32 v3, v4, 16, 1
	v_add3_u32 v3, v4, v3, s0
	v_cndmask_b32_sdwa v3, v5, v3, vcc dst_sel:DWORD dst_unused:UNUSED_PAD src0_sel:DWORD src1_sel:WORD_1
.LBB35_676:
	s_mov_b64 s[0:1], 0
.LBB35_677:
	s_andn2_b64 vcc, exec, s[0:1]
	s_cbranch_vccnz .LBB35_697
; %bb.678:
	s_cmp_lt_i32 s10, 2
	s_cbranch_scc1 .LBB35_682
; %bb.679:
	s_cmp_lt_i32 s10, 3
	s_cbranch_scc1 .LBB35_683
; %bb.680:
	s_cmp_gt_i32 s10, 3
	s_cbranch_scc0 .LBB35_684
; %bb.681:
	global_load_dwordx2 v[3:4], v[1:2], off
	s_movk_i32 s0, 0x7fff
	s_waitcnt vmcnt(0)
	v_xor_b32_e32 v6, v3, v4
	v_ffbh_i32_e32 v5, v4
	v_ashrrev_i32_e32 v6, 31, v6
	v_add_u32_e32 v5, -1, v5
	v_add_u32_e32 v6, 32, v6
	v_min_u32_e32 v5, v5, v6
	v_lshlrev_b64 v[3:4], v5, v[3:4]
	v_min_u32_e32 v3, 1, v3
	v_or_b32_e32 v3, v4, v3
	v_cvt_f32_i32_e32 v3, v3
	v_sub_u32_e32 v4, 32, v5
	v_ldexp_f32 v3, v3, v4
	v_bfe_u32 v4, v3, 16, 1
	v_add3_u32 v3, v3, v4, s0
	v_lshrrev_b32_e32 v3, 16, v3
	s_mov_b64 s[0:1], 0
	s_branch .LBB35_685
.LBB35_682:
	s_mov_b64 s[0:1], -1
                                        ; implicit-def: $vgpr3
	s_branch .LBB35_691
.LBB35_683:
	s_mov_b64 s[0:1], -1
                                        ; implicit-def: $vgpr3
	s_branch .LBB35_688
.LBB35_684:
	s_mov_b64 s[0:1], -1
                                        ; implicit-def: $vgpr3
.LBB35_685:
	s_andn2_b64 vcc, exec, s[0:1]
	s_cbranch_vccnz .LBB35_687
; %bb.686:
	global_load_dword v3, v[1:2], off
	s_movk_i32 s0, 0x7fff
	s_waitcnt vmcnt(0)
	v_cvt_f32_i32_e32 v3, v3
	v_bfe_u32 v4, v3, 16, 1
	v_add3_u32 v3, v3, v4, s0
	v_lshrrev_b32_e32 v3, 16, v3
.LBB35_687:
	s_mov_b64 s[0:1], 0
.LBB35_688:
	s_andn2_b64 vcc, exec, s[0:1]
	s_cbranch_vccnz .LBB35_690
; %bb.689:
	global_load_sshort v3, v[1:2], off
	s_movk_i32 s0, 0x7fff
	s_waitcnt vmcnt(0)
	v_cvt_f32_i32_e32 v3, v3
	v_bfe_u32 v4, v3, 16, 1
	v_add3_u32 v3, v3, v4, s0
	v_lshrrev_b32_e32 v3, 16, v3
.LBB35_690:
	s_mov_b64 s[0:1], 0
.LBB35_691:
	s_andn2_b64 vcc, exec, s[0:1]
	s_cbranch_vccnz .LBB35_697
; %bb.692:
	s_cmp_gt_i32 s10, 0
	s_cbranch_scc0 .LBB35_694
; %bb.693:
	global_load_sbyte v3, v[1:2], off
	s_movk_i32 s0, 0x7fff
	s_waitcnt vmcnt(0)
	v_cvt_f32_i32_e32 v3, v3
	v_bfe_u32 v4, v3, 16, 1
	v_add3_u32 v3, v3, v4, s0
	v_lshrrev_b32_e32 v3, 16, v3
	s_mov_b64 s[0:1], 0
	s_branch .LBB35_695
.LBB35_694:
	s_mov_b64 s[0:1], -1
                                        ; implicit-def: $vgpr3
.LBB35_695:
	s_andn2_b64 vcc, exec, s[0:1]
	s_cbranch_vccnz .LBB35_697
; %bb.696:
	global_load_ubyte v1, v[1:2], off
	s_movk_i32 s0, 0x7fff
	s_waitcnt vmcnt(0)
	v_cvt_f32_ubyte0_e32 v1, v1
	v_bfe_u32 v2, v1, 16, 1
	v_add3_u32 v1, v1, v2, s0
	v_lshrrev_b32_e32 v3, 16, v1
.LBB35_697:
	s_mov_b64 s[0:1], -1
.LBB35_698:
	s_andn2_b64 vcc, exec, s[0:1]
	s_cbranch_vccnz .LBB35_710
; %bb.699:
	s_waitcnt vmcnt(0)
	v_lshlrev_b32_e32 v1, 16, v3
	s_brev_b32 s0, 18
	v_and_b32_e32 v2, 0x7fffffff, v1
	v_cmp_nlt_f32_e64 s[0:1], |v1|, s0
                                        ; implicit-def: $vgpr3
                                        ; implicit-def: $vgpr4
	s_and_saveexec_b64 s[2:3], s[0:1]
	s_xor_b64 s[10:11], exec, s[2:3]
	s_cbranch_execz .LBB35_701
; %bb.700:
	v_and_b32_e32 v3, 0x7fffff, v2
	v_or_b32_e32 v14, 0x800000, v3
	s_mov_b32 s0, 0xfe5163ab
	v_mad_u64_u32 v[3:4], s[0:1], v14, s0, 0
	v_mov_b32_e32 v5, 0
	s_mov_b32 s0, 0x3c439041
	v_mad_u64_u32 v[6:7], s[0:1], v14, s0, v[4:5]
	s_mov_b32 s0, 0xdb629599
	v_not_b32_e32 v15, 31
	v_mov_b32_e32 v4, v7
	v_mad_u64_u32 v[9:10], s[0:1], v14, s0, v[4:5]
	s_mov_b32 s0, 0xf534ddc0
	v_not_b32_e32 v7, 63
	v_mov_b32_e32 v4, v10
	v_mad_u64_u32 v[10:11], s[0:1], v14, s0, v[4:5]
	v_lshrrev_b32_e32 v4, 23, v2
	v_add_u32_e32 v13, 0xffffff88, v4
	v_mov_b32_e32 v4, v11
	s_mov_b32 s0, 0xfc2757d1
	v_mad_u64_u32 v[11:12], s[0:1], v14, s0, v[4:5]
	v_cmp_lt_u32_e32 vcc, 63, v13
	v_cndmask_b32_e32 v4, 0, v7, vcc
	v_add_u32_e32 v7, v4, v13
	v_mov_b32_e32 v4, v12
	s_mov_b32 s0, 0x4e441529
	v_mad_u64_u32 v[12:13], s[0:1], v14, s0, v[4:5]
	v_cmp_lt_u32_e64 s[0:1], 31, v7
	v_cndmask_b32_e64 v4, 0, v15, s[0:1]
	v_add_u32_e32 v7, v4, v7
	v_mov_b32_e32 v4, v13
	s_mov_b32 s2, 0xa2f9836e
	v_mad_u64_u32 v[4:5], s[2:3], v14, s2, v[4:5]
	v_cmp_lt_u32_e64 s[2:3], 31, v7
	v_cndmask_b32_e64 v13, 0, v15, s[2:3]
	v_add_u32_e32 v7, v13, v7
	v_cndmask_b32_e32 v13, v12, v10, vcc
	v_cndmask_b32_e32 v4, v4, v11, vcc
	;; [unrolled: 1-line block ×3, first 2 shown]
	v_cndmask_b32_e64 v14, v4, v13, s[0:1]
	v_cndmask_b32_e64 v4, v5, v4, s[0:1]
	v_cndmask_b32_e32 v5, v11, v9, vcc
	v_cndmask_b32_e64 v11, v13, v5, s[0:1]
	v_cndmask_b32_e64 v4, v4, v14, s[2:3]
	;; [unrolled: 1-line block ×3, first 2 shown]
	v_sub_u32_e32 v13, 32, v7
	v_alignbit_b32 v14, v4, v12, v13
	v_cmp_eq_u32_e64 s[6:7], 0, v7
	v_cndmask_b32_e64 v7, v14, v4, s[6:7]
	v_cndmask_b32_e32 v4, v10, v6, vcc
	v_cndmask_b32_e64 v5, v5, v4, s[0:1]
	v_cndmask_b32_e64 v6, v11, v5, s[2:3]
	v_alignbit_b32 v10, v12, v6, v13
	v_cndmask_b32_e32 v3, v9, v3, vcc
	v_cndmask_b32_e64 v10, v10, v12, s[6:7]
	v_bfe_u32 v14, v7, 29, 1
	v_cndmask_b32_e64 v3, v4, v3, s[0:1]
	v_alignbit_b32 v11, v7, v10, 30
	v_sub_u32_e32 v15, 0, v14
	v_cndmask_b32_e64 v3, v5, v3, s[2:3]
	v_xor_b32_e32 v11, v11, v15
	v_alignbit_b32 v4, v6, v3, v13
	v_cndmask_b32_e64 v4, v4, v6, s[6:7]
	v_ffbh_u32_e32 v6, v11
	v_alignbit_b32 v5, v10, v4, 30
	v_min_u32_e32 v6, 32, v6
	v_alignbit_b32 v3, v4, v3, 30
	v_xor_b32_e32 v5, v5, v15
	v_sub_u32_e32 v9, 31, v6
	v_xor_b32_e32 v3, v3, v15
	v_alignbit_b32 v10, v11, v5, v9
	v_alignbit_b32 v3, v5, v3, v9
	;; [unrolled: 1-line block ×3, first 2 shown]
	v_ffbh_u32_e32 v5, v4
	v_min_u32_e32 v5, 32, v5
	v_lshrrev_b32_e32 v12, 29, v7
	v_not_b32_e32 v9, v5
	v_alignbit_b32 v3, v4, v3, v9
	v_lshlrev_b32_e32 v4, 31, v12
	v_or_b32_e32 v9, 0x33000000, v4
	v_add_lshl_u32 v5, v5, v6, 23
	v_lshrrev_b32_e32 v3, 9, v3
	v_sub_u32_e32 v5, v9, v5
	v_or_b32_e32 v4, 0.5, v4
	v_lshlrev_b32_e32 v6, 23, v6
	v_or_b32_e32 v3, v5, v3
	v_lshrrev_b32_e32 v5, 9, v10
	v_sub_u32_e32 v4, v4, v6
	v_or_b32_e32 v4, v5, v4
	s_mov_b32 s0, 0x3fc90fda
	v_mul_f32_e32 v5, 0x3fc90fda, v4
	v_fma_f32 v6, v4, s0, -v5
	v_fmac_f32_e32 v6, 0x33a22168, v4
	v_fmac_f32_e32 v6, 0x3fc90fda, v3
	v_lshrrev_b32_e32 v3, 30, v7
	v_add_f32_e32 v4, v5, v6
	v_add_u32_e32 v3, v14, v3
.LBB35_701:
	s_andn2_saveexec_b64 s[0:1], s[10:11]
	s_cbranch_execz .LBB35_703
; %bb.702:
	s_mov_b32 s2, 0x3f22f983
	v_mul_f32_e64 v3, |v1|, s2
	v_rndne_f32_e32 v5, v3
	s_mov_b32 s2, 0xbfc90fda
	v_cvt_i32_f32_e32 v3, v5
	v_fma_f32 v4, v5, s2, |v1|
	v_fmac_f32_e32 v4, 0xb3a22168, v5
	v_fmac_f32_e32 v4, 0xa7c234c4, v5
.LBB35_703:
	s_or_b64 exec, exec, s[0:1]
	v_mul_f32_e32 v5, v4, v4
	v_mov_b32_e32 v6, 0x3c0881c4
	v_fmac_f32_e32 v6, 0xb94c1982, v5
	v_mov_b32_e32 v7, 0xbe2aaa9d
	v_fmac_f32_e32 v7, v5, v6
	v_mul_f32_e32 v6, v5, v7
	v_fmac_f32_e32 v4, v4, v6
	v_mov_b32_e32 v6, 0xbab64f3b
	v_fmac_f32_e32 v6, 0x37d75334, v5
	v_mov_b32_e32 v7, 0x3d2aabf7
	;; [unrolled: 2-line block ×3, first 2 shown]
	v_fmac_f32_e32 v6, v5, v7
	v_fma_f32 v5, v5, v6, 1.0
	v_and_b32_e32 v6, 1, v3
	v_lshlrev_b32_e32 v3, 30, v3
	v_cmp_eq_u32_e32 vcc, 0, v6
	v_and_b32_e32 v3, 0x80000000, v3
	v_cndmask_b32_e32 v4, v5, v4, vcc
	v_xor_b32_e32 v2, v2, v3
	v_xor_b32_e32 v2, v2, v4
	s_movk_i32 s0, 0x1f8
	v_xor_b32_e32 v2, v2, v1
	v_mov_b32_e32 v3, 0x7fc00000
	v_cmp_class_f32_e64 vcc, v1, s0
	v_cndmask_b32_e32 v1, v3, v2, vcc
	v_bfe_u32 v2, v1, 16, 1
	s_movk_i32 s0, 0x7fff
	v_add3_u32 v2, v1, v2, s0
	v_cmp_o_f32_e32 vcc, v1, v1
	v_mov_b32_e32 v1, 0x7fc0
	v_cndmask_b32_sdwa v2, v1, v2, vcc dst_sel:DWORD dst_unused:UNUSED_PAD src0_sel:DWORD src1_sel:WORD_1
	v_mov_b32_e32 v1, s25
	s_and_b32 s12, s73, 0xff
	v_add_co_u32_e32 v0, vcc, s24, v0
	s_cmp_lt_i32 s12, 11
	v_addc_co_u32_e32 v1, vcc, 0, v1, vcc
	s_cbranch_scc1 .LBB35_711
; %bb.704:
	s_and_b32 s13, 0xffff, s12
	s_cmp_gt_i32 s13, 25
	s_cbranch_scc0 .LBB35_712
; %bb.705:
	s_cmp_gt_i32 s13, 28
	s_cbranch_scc0 .LBB35_713
; %bb.706:
	;; [unrolled: 3-line block ×4, first 2 shown]
	s_mov_b64 s[6:7], 0
	s_mov_b64 s[0:1], -1
	s_cmp_eq_u32 s13, 46
	s_mov_b64 s[2:3], 0
	s_cbranch_scc0 .LBB35_716
; %bb.709:
	v_and_b32_e32 v3, 0xffff, v2
	global_store_dword v[0:1], v3, off
	s_mov_b64 s[2:3], -1
	s_mov_b64 s[0:1], 0
	s_branch .LBB35_716
.LBB35_710:
	s_mov_b64 s[2:3], 0
	s_mov_b64 s[0:1], s[62:63]
	s_branch .LBB35_827
.LBB35_711:
	s_mov_b64 s[6:7], -1
	s_mov_b64 s[2:3], 0
	s_mov_b64 s[0:1], s[62:63]
	s_branch .LBB35_785
.LBB35_712:
	s_mov_b64 s[6:7], -1
	s_mov_b64 s[2:3], 0
	s_mov_b64 s[0:1], s[62:63]
	s_branch .LBB35_743
.LBB35_713:
	s_mov_b64 s[6:7], -1
	s_mov_b64 s[2:3], 0
	s_mov_b64 s[0:1], s[62:63]
	s_branch .LBB35_726
.LBB35_714:
	s_mov_b64 s[6:7], -1
	s_mov_b64 s[2:3], 0
	s_mov_b64 s[0:1], s[62:63]
	s_branch .LBB35_722
.LBB35_715:
	s_mov_b64 s[6:7], -1
	s_mov_b64 s[2:3], 0
	s_mov_b64 s[0:1], s[62:63]
.LBB35_716:
	s_and_b64 vcc, exec, s[6:7]
	s_cbranch_vccz .LBB35_721
; %bb.717:
	s_cmp_eq_u32 s13, 44
	s_mov_b64 s[0:1], -1
	s_cbranch_scc0 .LBB35_721
; %bb.718:
	v_and_b32_e32 v4, 0xffff, v2
	v_bfe_u32 v3, v4, 7, 8
	s_movk_i32 s0, 0xff
	v_cmp_ne_u32_e32 vcc, s0, v3
	v_mov_b32_e32 v5, 0xff
	s_and_saveexec_b64 s[2:3], vcc
	s_cbranch_execz .LBB35_720
; %bb.719:
	v_lshlrev_b32_e32 v6, 16, v4
	s_mov_b32 s0, 0x3f0000
	v_lshrrev_b32_e32 v5, 7, v4
	v_and_b32_e32 v4, 64, v4
	v_and_or_b32 v3, v6, s0, v3
	v_cmp_ne_u32_e32 vcc, 0, v4
	v_cmp_ne_u32_e64 s[0:1], 0, v3
	s_and_b64 s[0:1], vcc, s[0:1]
	v_cndmask_b32_e64 v3, 0, 1, s[0:1]
	v_add_u32_e32 v5, v5, v3
.LBB35_720:
	s_or_b64 exec, exec, s[2:3]
	s_mov_b64 s[2:3], -1
	s_mov_b64 s[0:1], 0
	global_store_byte v[0:1], v5, off
.LBB35_721:
	s_mov_b64 s[6:7], 0
.LBB35_722:
	s_and_b64 vcc, exec, s[6:7]
	s_cbranch_vccz .LBB35_725
; %bb.723:
	s_cmp_eq_u32 s13, 29
	s_mov_b64 s[0:1], -1
	s_cbranch_scc0 .LBB35_725
; %bb.724:
	v_lshlrev_b32_e32 v3, 16, v2
	v_trunc_f32_e32 v3, v3
	v_mul_f32_e32 v4, 0x2f800000, v3
	v_floor_f32_e32 v5, v4
	v_fmac_f32_e32 v3, 0xcf800000, v5
	v_cvt_u32_f32_e32 v4, v5
	v_cvt_u32_f32_e32 v3, v3
	s_mov_b64 s[2:3], -1
	s_mov_b64 s[0:1], 0
	s_mov_b64 s[6:7], 0
	global_store_dwordx2 v[0:1], v[3:4], off
	s_branch .LBB35_726
.LBB35_725:
	s_mov_b64 s[6:7], 0
.LBB35_726:
	s_and_b64 vcc, exec, s[6:7]
	s_cbranch_vccz .LBB35_742
; %bb.727:
	s_cmp_lt_i32 s13, 27
	s_mov_b64 s[2:3], -1
	s_cbranch_scc1 .LBB35_733
; %bb.728:
	s_cmp_gt_i32 s13, 27
	s_cbranch_scc0 .LBB35_730
; %bb.729:
	v_lshlrev_b32_e32 v3, 16, v2
	v_cvt_u32_f32_e32 v3, v3
	s_mov_b64 s[2:3], 0
	global_store_dword v[0:1], v3, off
.LBB35_730:
	s_andn2_b64 vcc, exec, s[2:3]
	s_cbranch_vccnz .LBB35_732
; %bb.731:
	v_lshlrev_b32_e32 v3, 16, v2
	v_cvt_u32_f32_e32 v3, v3
	global_store_short v[0:1], v3, off
.LBB35_732:
	s_mov_b64 s[2:3], 0
.LBB35_733:
	s_andn2_b64 vcc, exec, s[2:3]
	s_cbranch_vccnz .LBB35_741
; %bb.734:
	v_lshlrev_b32_e32 v5, 16, v2
	v_and_b32_e32 v4, 0x7fffffff, v5
	s_mov_b32 s2, 0x43800000
	v_cmp_gt_u32_e32 vcc, s2, v4
	v_mov_b32_e32 v6, 0x80
	s_and_saveexec_b64 s[2:3], vcc
	s_cbranch_execz .LBB35_740
; %bb.735:
	s_mov_b32 s6, 0x3bffffff
	v_and_b32_e32 v3, 0xffff, v2
	v_cmp_lt_u32_e32 vcc, s6, v4
	s_mov_b64 s[6:7], 0
                                        ; implicit-def: $vgpr4
	s_and_saveexec_b64 s[10:11], vcc
	s_xor_b64 s[10:11], exec, s[10:11]
	s_cbranch_execz .LBB35_857
; %bb.736:
	v_bfe_u32 v4, v3, 4, 1
	s_mov_b32 s14, 0x487ffff
	v_add3_u32 v4, v5, v4, s14
	s_mov_b64 s[6:7], exec
	v_lshrrev_b32_e32 v4, 20, v4
                                        ; implicit-def: $vgpr5
	s_andn2_saveexec_b64 s[10:11], s[10:11]
	s_cbranch_execnz .LBB35_858
.LBB35_737:
	s_or_b64 exec, exec, s[10:11]
	v_mov_b32_e32 v6, 0
	s_and_saveexec_b64 s[10:11], s[6:7]
.LBB35_738:
	v_lshrrev_b32_e32 v3, 8, v3
	s_movk_i32 s6, 0x80
	v_and_or_b32 v6, v3, s6, v4
.LBB35_739:
	s_or_b64 exec, exec, s[10:11]
.LBB35_740:
	s_or_b64 exec, exec, s[2:3]
	global_store_byte v[0:1], v6, off
.LBB35_741:
	s_mov_b64 s[2:3], -1
.LBB35_742:
	s_mov_b64 s[6:7], 0
.LBB35_743:
	s_and_b64 vcc, exec, s[6:7]
	s_cbranch_vccz .LBB35_784
; %bb.744:
	s_cmp_gt_i32 s13, 22
	s_mov_b64 s[6:7], -1
	s_cbranch_scc0 .LBB35_776
; %bb.745:
	s_cmp_lt_i32 s13, 24
	s_mov_b64 s[2:3], -1
	s_cbranch_scc1 .LBB35_765
; %bb.746:
	s_cmp_gt_i32 s13, 24
	s_cbranch_scc0 .LBB35_754
; %bb.747:
	v_lshlrev_b32_e32 v5, 16, v2
	v_and_b32_e32 v4, 0x7fffffff, v5
	s_mov_b32 s2, 0x47800000
	v_cmp_gt_u32_e32 vcc, s2, v4
	v_mov_b32_e32 v6, 0x80
	s_and_saveexec_b64 s[2:3], vcc
	s_cbranch_execz .LBB35_753
; %bb.748:
	s_mov_b32 s6, 0x37ffffff
	v_and_b32_e32 v3, 0xffff, v2
	v_cmp_lt_u32_e32 vcc, s6, v4
	s_mov_b64 s[6:7], 0
                                        ; implicit-def: $vgpr4
	s_and_saveexec_b64 s[10:11], vcc
	s_xor_b64 s[10:11], exec, s[10:11]
	s_cbranch_execz .LBB35_860
; %bb.749:
	v_bfe_u32 v4, v3, 5, 1
	s_mov_b32 s14, 0x88fffff
	v_add3_u32 v4, v5, v4, s14
	s_mov_b64 s[6:7], exec
	v_lshrrev_b32_e32 v4, 21, v4
                                        ; implicit-def: $vgpr5
	s_andn2_saveexec_b64 s[10:11], s[10:11]
	s_cbranch_execnz .LBB35_861
.LBB35_750:
	s_or_b64 exec, exec, s[10:11]
	v_mov_b32_e32 v6, 0
	s_and_saveexec_b64 s[10:11], s[6:7]
.LBB35_751:
	v_lshrrev_b32_e32 v3, 8, v3
	s_movk_i32 s6, 0x80
	v_and_or_b32 v6, v3, s6, v4
.LBB35_752:
	s_or_b64 exec, exec, s[10:11]
.LBB35_753:
	s_or_b64 exec, exec, s[2:3]
	s_mov_b64 s[2:3], 0
	global_store_byte v[0:1], v6, off
.LBB35_754:
	s_and_b64 vcc, exec, s[2:3]
	s_cbranch_vccz .LBB35_764
; %bb.755:
	v_lshlrev_b32_e32 v5, 16, v2
	v_and_b32_e32 v6, 0x7fffffff, v5
	s_mov_b32 s2, 0x43f00000
	v_and_b32_e32 v3, 0xffff, v2
	v_cmp_gt_u32_e32 vcc, s2, v6
                                        ; implicit-def: $vgpr4
	s_and_saveexec_b64 s[2:3], vcc
	s_xor_b64 s[2:3], exec, s[2:3]
	s_cbranch_execz .LBB35_761
; %bb.756:
	s_mov_b32 s6, 0x3c7fffff
	v_cmp_lt_u32_e32 vcc, s6, v6
                                        ; implicit-def: $vgpr4
	s_and_saveexec_b64 s[6:7], vcc
	s_xor_b64 s[6:7], exec, s[6:7]
; %bb.757:
	v_bfe_u32 v4, v3, 4, 1
	s_mov_b32 s10, 0x407ffff
	v_add3_u32 v4, v5, v4, s10
	v_lshrrev_b32_e32 v5, 20, v4
	v_and_b32_e32 v4, 0xff00000, v4
	s_mov_b32 s10, 0x7f00000
	v_mov_b32_e32 v6, 0x7e
	v_cmp_ne_u32_e32 vcc, s10, v4
	v_cndmask_b32_e32 v4, v6, v5, vcc
                                        ; implicit-def: $vgpr5
; %bb.758:
	s_andn2_saveexec_b64 s[6:7], s[6:7]
; %bb.759:
	s_mov_b32 s10, 0x46800000
	v_add_f32_e64 v4, |v5|, s10
; %bb.760:
	s_or_b64 exec, exec, s[6:7]
                                        ; implicit-def: $vgpr6
.LBB35_761:
	s_andn2_saveexec_b64 s[2:3], s[2:3]
; %bb.762:
	s_mov_b32 s6, 0x7f800000
	v_mov_b32_e32 v4, 0x7e
	v_mov_b32_e32 v5, 0x7f
	v_cmp_lt_u32_e32 vcc, s6, v6
	v_cndmask_b32_e32 v4, v4, v5, vcc
; %bb.763:
	s_or_b64 exec, exec, s[2:3]
	v_lshrrev_b32_e32 v3, 8, v3
	s_movk_i32 s2, 0x80
	v_and_or_b32 v3, v3, s2, v4
	global_store_byte v[0:1], v3, off
.LBB35_764:
	s_mov_b64 s[2:3], 0
.LBB35_765:
	s_andn2_b64 vcc, exec, s[2:3]
	s_cbranch_vccnz .LBB35_775
; %bb.766:
	v_lshlrev_b32_e32 v5, 16, v2
	v_and_b32_e32 v6, 0x7fffffff, v5
	s_mov_b32 s2, 0x47800000
	v_and_b32_e32 v3, 0xffff, v2
	v_cmp_gt_u32_e32 vcc, s2, v6
                                        ; implicit-def: $vgpr4
	s_and_saveexec_b64 s[2:3], vcc
	s_xor_b64 s[2:3], exec, s[2:3]
	s_cbranch_execz .LBB35_772
; %bb.767:
	s_mov_b32 s6, 0x387fffff
	v_cmp_lt_u32_e32 vcc, s6, v6
                                        ; implicit-def: $vgpr4
	s_and_saveexec_b64 s[6:7], vcc
	s_xor_b64 s[6:7], exec, s[6:7]
; %bb.768:
	v_bfe_u32 v4, v3, 5, 1
	s_mov_b32 s10, 0x80fffff
	v_add3_u32 v4, v5, v4, s10
	v_lshrrev_b32_e32 v4, 21, v4
                                        ; implicit-def: $vgpr5
; %bb.769:
	s_andn2_saveexec_b64 s[6:7], s[6:7]
; %bb.770:
	s_mov_b32 s10, 0x43000000
	v_add_f32_e64 v4, |v5|, s10
; %bb.771:
	s_or_b64 exec, exec, s[6:7]
                                        ; implicit-def: $vgpr6
.LBB35_772:
	s_andn2_saveexec_b64 s[2:3], s[2:3]
; %bb.773:
	s_mov_b32 s6, 0x7f800000
	v_mov_b32_e32 v4, 0x7c
	v_mov_b32_e32 v5, 0x7f
	v_cmp_lt_u32_e32 vcc, s6, v6
	v_cndmask_b32_e32 v4, v4, v5, vcc
; %bb.774:
	s_or_b64 exec, exec, s[2:3]
	v_lshrrev_b32_e32 v3, 8, v3
	s_movk_i32 s2, 0x80
	v_and_or_b32 v3, v3, s2, v4
	global_store_byte v[0:1], v3, off
.LBB35_775:
	s_mov_b64 s[6:7], 0
	s_mov_b64 s[2:3], -1
.LBB35_776:
	s_andn2_b64 vcc, exec, s[6:7]
	s_cbranch_vccnz .LBB35_784
; %bb.777:
	s_cmp_gt_i32 s13, 14
	s_mov_b64 s[6:7], -1
	s_cbranch_scc0 .LBB35_781
; %bb.778:
	s_cmp_eq_u32 s13, 15
	s_mov_b64 s[0:1], -1
	s_cbranch_scc0 .LBB35_780
; %bb.779:
	global_store_short v[0:1], v2, off
	s_mov_b64 s[2:3], -1
	s_mov_b64 s[0:1], 0
.LBB35_780:
	s_mov_b64 s[6:7], 0
.LBB35_781:
	s_and_b64 vcc, exec, s[6:7]
	s_cbranch_vccz .LBB35_784
; %bb.782:
	s_cmp_eq_u32 s13, 11
	s_mov_b64 s[0:1], -1
	s_cbranch_scc0 .LBB35_784
; %bb.783:
	v_and_b32_e32 v3, 0x7fff, v2
	v_cmp_ne_u16_e32 vcc, 0, v3
	v_cndmask_b32_e64 v3, 0, 1, vcc
	s_mov_b64 s[2:3], -1
	s_mov_b64 s[0:1], 0
	global_store_byte v[0:1], v3, off
.LBB35_784:
	s_mov_b64 s[6:7], 0
.LBB35_785:
	s_and_b64 vcc, exec, s[6:7]
	s_cbranch_vccz .LBB35_824
; %bb.786:
	s_and_b32 s6, 0xffff, s12
	s_cmp_lt_i32 s6, 5
	s_mov_b64 s[2:3], -1
	s_cbranch_scc1 .LBB35_807
; %bb.787:
	s_cmp_lt_i32 s6, 8
	s_cbranch_scc1 .LBB35_797
; %bb.788:
	s_cmp_lt_i32 s6, 9
	s_cbranch_scc1 .LBB35_794
; %bb.789:
	s_cmp_gt_i32 s6, 9
	s_cbranch_scc0 .LBB35_791
; %bb.790:
	v_lshlrev_b32_e32 v3, 16, v2
	v_cvt_f64_f32_e32 v[3:4], v3
	v_mov_b32_e32 v5, 0
	v_mov_b32_e32 v6, v5
	s_mov_b64 s[2:3], 0
	global_store_dwordx4 v[0:1], v[3:6], off
.LBB35_791:
	s_andn2_b64 vcc, exec, s[2:3]
	s_cbranch_vccnz .LBB35_793
; %bb.792:
	v_lshlrev_b32_e32 v3, 16, v2
	v_mov_b32_e32 v4, 0
	global_store_dwordx2 v[0:1], v[3:4], off
.LBB35_793:
	s_mov_b64 s[2:3], 0
.LBB35_794:
	s_andn2_b64 vcc, exec, s[2:3]
	s_cbranch_vccnz .LBB35_796
; %bb.795:
	v_lshlrev_b32_e32 v3, 16, v2
	v_cvt_f16_f32_e32 v3, v3
	global_store_dword v[0:1], v3, off
.LBB35_796:
	s_mov_b64 s[2:3], 0
.LBB35_797:
	s_andn2_b64 vcc, exec, s[2:3]
	s_cbranch_vccnz .LBB35_806
; %bb.798:
	s_cmp_lt_i32 s6, 6
	s_mov_b64 s[2:3], -1
	s_cbranch_scc1 .LBB35_804
; %bb.799:
	s_cmp_gt_i32 s6, 6
	s_cbranch_scc0 .LBB35_801
; %bb.800:
	v_lshlrev_b32_e32 v3, 16, v2
	v_cvt_f64_f32_e32 v[3:4], v3
	s_mov_b64 s[2:3], 0
	global_store_dwordx2 v[0:1], v[3:4], off
.LBB35_801:
	s_andn2_b64 vcc, exec, s[2:3]
	s_cbranch_vccnz .LBB35_803
; %bb.802:
	v_lshlrev_b32_e32 v3, 16, v2
	global_store_dword v[0:1], v3, off
.LBB35_803:
	s_mov_b64 s[2:3], 0
.LBB35_804:
	s_andn2_b64 vcc, exec, s[2:3]
	s_cbranch_vccnz .LBB35_806
; %bb.805:
	v_lshlrev_b32_e32 v3, 16, v2
	v_cvt_f16_f32_e32 v3, v3
	global_store_short v[0:1], v3, off
.LBB35_806:
	s_mov_b64 s[2:3], 0
.LBB35_807:
	s_andn2_b64 vcc, exec, s[2:3]
	s_cbranch_vccnz .LBB35_823
; %bb.808:
	s_cmp_lt_i32 s6, 2
	s_mov_b64 s[2:3], -1
	s_cbranch_scc1 .LBB35_818
; %bb.809:
	s_cmp_lt_i32 s6, 3
	s_cbranch_scc1 .LBB35_815
; %bb.810:
	s_cmp_gt_i32 s6, 3
	s_cbranch_scc0 .LBB35_812
; %bb.811:
	v_lshlrev_b32_e32 v3, 16, v2
	v_trunc_f32_e32 v3, v3
	s_mov_b32 s2, 0x2f800000
	v_mul_f32_e64 v4, |v3|, s2
	v_floor_f32_e32 v4, v4
	s_mov_b32 s2, 0xcf800000
	v_cvt_u32_f32_e32 v5, v4
	v_fma_f32 v4, v4, s2, |v3|
	v_cvt_u32_f32_e32 v4, v4
	v_ashrrev_i32_e32 v6, 31, v3
	v_xor_b32_e32 v5, v5, v6
	s_mov_b64 s[2:3], 0
	v_xor_b32_e32 v3, v4, v6
	v_sub_co_u32_e32 v3, vcc, v3, v6
	v_subb_co_u32_e32 v4, vcc, v5, v6, vcc
	global_store_dwordx2 v[0:1], v[3:4], off
.LBB35_812:
	s_andn2_b64 vcc, exec, s[2:3]
	s_cbranch_vccnz .LBB35_814
; %bb.813:
	v_lshlrev_b32_e32 v3, 16, v2
	v_cvt_i32_f32_e32 v3, v3
	global_store_dword v[0:1], v3, off
.LBB35_814:
	s_mov_b64 s[2:3], 0
.LBB35_815:
	s_andn2_b64 vcc, exec, s[2:3]
	s_cbranch_vccnz .LBB35_817
; %bb.816:
	v_lshlrev_b32_e32 v3, 16, v2
	v_cvt_i32_f32_e32 v3, v3
	global_store_short v[0:1], v3, off
.LBB35_817:
	s_mov_b64 s[2:3], 0
.LBB35_818:
	s_andn2_b64 vcc, exec, s[2:3]
	s_cbranch_vccnz .LBB35_823
; %bb.819:
	s_mov_b64 s[2:3], -1
	s_cmp_gt_i32 s6, 0
	v_lshlrev_b32_e32 v2, 16, v2
	s_cbranch_scc0 .LBB35_821
; %bb.820:
	v_cvt_i32_f32_e32 v3, v2
	s_mov_b64 s[2:3], 0
	global_store_byte v[0:1], v3, off
.LBB35_821:
	s_andn2_b64 vcc, exec, s[2:3]
	s_cbranch_vccnz .LBB35_823
; %bb.822:
	v_trunc_f32_e32 v2, v2
	s_mov_b32 s2, 0x2f800000
	v_mul_f32_e64 v3, |v2|, s2
	v_floor_f32_e32 v3, v3
	s_mov_b32 s2, 0xcf800000
	v_fma_f32 v3, v3, s2, |v2|
	v_cvt_u32_f32_e32 v3, v3
	v_ashrrev_i32_e32 v2, 31, v2
	v_xor_b32_e32 v3, v3, v2
	v_sub_u32_e32 v2, v3, v2
	global_store_byte v[0:1], v2, off
.LBB35_823:
	s_mov_b64 s[2:3], -1
.LBB35_824:
	s_andn2_b64 vcc, exec, s[2:3]
	s_cbranch_vccnz .LBB35_826
; %bb.825:
	v_add_u32_e32 v8, 0x80, v8
	s_mov_b64 s[2:3], -1
	s_branch .LBB35_828
.LBB35_826:
	s_mov_b64 s[2:3], 0
.LBB35_827:
                                        ; implicit-def: $vgpr8
.LBB35_828:
	s_andn2_b64 s[6:7], s[62:63], exec
	s_and_b64 s[0:1], s[0:1], exec
	s_or_b64 s[68:69], s[6:7], s[0:1]
	s_andn2_b64 s[0:1], s[60:61], exec
	s_and_b64 s[6:7], s[8:9], exec
	s_or_b64 s[6:7], s[0:1], s[6:7]
	s_orn2_b64 s[2:3], s[2:3], exec
.LBB35_829:
	s_or_b64 exec, exec, s[66:67]
	s_mov_b64 s[0:1], 0
	s_mov_b64 s[8:9], 0
	s_mov_b64 s[10:11], 0
                                        ; implicit-def: $vgpr1_vgpr2
                                        ; implicit-def: $vgpr0
                                        ; implicit-def: $vgpr4
	s_and_saveexec_b64 s[66:67], s[2:3]
	s_cbranch_execz .LBB35_928
; %bb.830:
	v_cmp_gt_i32_e32 vcc, s70, v8
	s_mov_b64 s[2:3], 0
	s_mov_b64 s[12:13], s[6:7]
                                        ; implicit-def: $vgpr1_vgpr2
                                        ; implicit-def: $vgpr0
                                        ; implicit-def: $vgpr4
	s_and_saveexec_b64 s[70:71], vcc
	s_cbranch_execz .LBB35_927
; %bb.831:
	s_andn2_b64 vcc, exec, s[42:43]
	s_cbranch_vccnz .LBB35_836
; %bb.832:
	s_andn2_b64 vcc, exec, s[52:53]
	s_cbranch_vccnz .LBB35_837
; %bb.833:
	s_add_i32 s76, s75, 1
	s_cmp_eq_u32 s72, 2
	s_cbranch_scc1 .LBB35_838
; %bb.834:
	s_and_b32 s75, s76, 28
	v_mov_b32_e32 v2, 0
	s_mov_b32 s77, 0
	s_mov_b64 s[52:53], s[34:35]
	v_mov_b32_e32 v0, 0
	v_mov_b32_e32 v1, v8
.LBB35_835:                             ; =>This Inner Loop Header: Depth=1
	s_load_dwordx8 s[16:23], s[52:53], 0x4
	s_load_dwordx4 s[0:3], s[52:53], 0x24
	s_load_dwordx8 s[8:15], s[50:51], 0x0
	s_add_u32 s52, s52, 48
	s_addc_u32 s53, s53, 0
	s_waitcnt vmcnt(0) lgkmcnt(0)
	v_mul_hi_u32 v3, s17, v1
	s_add_i32 s77, s77, 4
	s_add_u32 s50, s50, 32
	s_addc_u32 s51, s51, 0
	v_add_u32_e32 v3, v1, v3
	v_lshrrev_b32_e32 v3, s18, v3
	v_mul_lo_u32 v4, v3, s16
	v_mul_hi_u32 v5, s20, v3
	s_cmp_eq_u32 s75, s77
	v_sub_u32_e32 v1, v1, v4
	v_add_u32_e32 v4, v3, v5
	v_mul_lo_u32 v5, v1, s8
	v_mul_lo_u32 v6, v1, s9
	v_lshrrev_b32_e32 v1, s21, v4
	v_mul_lo_u32 v4, v1, s19
	v_mul_hi_u32 v7, s23, v1
	v_sub_u32_e32 v3, v3, v4
	v_add_u32_e32 v4, v1, v7
	v_lshrrev_b32_e32 v4, s0, v4
	v_mul_hi_u32 v9, s2, v4
	v_mul_lo_u32 v10, v4, s22
	v_mul_lo_u32 v7, v3, s10
	;; [unrolled: 1-line block ×3, first 2 shown]
	v_sub_u32_e32 v10, v1, v10
	v_add_u32_e32 v1, v4, v9
	v_lshrrev_b32_e32 v1, s3, v1
	v_mul_lo_u32 v9, v1, s1
	v_mul_lo_u32 v11, v10, s12
	;; [unrolled: 1-line block ×3, first 2 shown]
	v_add3_u32 v0, v5, v0, v7
	v_sub_u32_e32 v4, v4, v9
	v_mul_lo_u32 v9, v4, s14
	v_mul_lo_u32 v4, v4, s15
	v_add3_u32 v2, v6, v2, v3
	v_add3_u32 v0, v11, v0, v9
	;; [unrolled: 1-line block ×3, first 2 shown]
	s_cbranch_scc0 .LBB35_835
	s_branch .LBB35_839
.LBB35_836:
	s_mov_b64 s[0:1], -1
                                        ; implicit-def: $vgpr0
                                        ; implicit-def: $vgpr2
	s_branch .LBB35_843
.LBB35_837:
	v_mov_b32_e32 v0, 0
	v_mov_b32_e32 v2, 0
	s_branch .LBB35_842
.LBB35_838:
	s_mov_b32 s75, 0
	v_mov_b32_e32 v0, 0
	v_mov_b32_e32 v2, 0
	;; [unrolled: 1-line block ×3, first 2 shown]
.LBB35_839:
	s_and_b32 s8, s76, 3
	s_cmp_eq_u32 s8, 0
	s_cbranch_scc1 .LBB35_842
; %bb.840:
	s_lshl_b32 s0, s75, 3
	s_add_u32 s0, s34, s0
	s_addc_u32 s1, s35, 0
	s_add_u32 s0, s0, 0xc4
	s_addc_u32 s1, s1, 0
	s_mul_i32 s2, s75, 12
	s_add_u32 s2, s34, s2
	s_addc_u32 s3, s35, 0
.LBB35_841:                             ; =>This Inner Loop Header: Depth=1
	s_load_dwordx2 s[10:11], s[2:3], 0x4
	s_load_dword s9, s[2:3], 0xc
	s_load_dwordx2 s[12:13], s[0:1], 0x0
	s_add_u32 s2, s2, 12
	s_addc_u32 s3, s3, 0
	s_waitcnt vmcnt(0) lgkmcnt(0)
	v_mul_hi_u32 v3, s11, v1
	s_add_u32 s0, s0, 8
	s_addc_u32 s1, s1, 0
	s_add_i32 s8, s8, -1
	v_add_u32_e32 v3, v1, v3
	v_lshrrev_b32_e32 v4, s9, v3
	v_mul_lo_u32 v3, v4, s10
	s_cmp_lg_u32 s8, 0
	v_sub_u32_e32 v3, v1, v3
	v_mad_u64_u32 v[0:1], s[10:11], v3, s12, v[0:1]
	v_mad_u64_u32 v[2:3], s[10:11], v3, s13, v[2:3]
	v_mov_b32_e32 v1, v4
	s_cbranch_scc1 .LBB35_841
.LBB35_842:
	s_mov_b64 s[0:1], 0
.LBB35_843:
	s_andn2_b64 vcc, exec, s[0:1]
	s_cbranch_vccnz .LBB35_846
; %bb.844:
	s_waitcnt lgkmcnt(0)
	v_mul_hi_u32 v0, s37, v8
	s_andn2_b64 vcc, exec, s[48:49]
	v_add_u32_e32 v0, v8, v0
	v_lshrrev_b32_e32 v1, s38, v0
	v_mul_lo_u32 v0, v1, s36
	v_sub_u32_e32 v2, v8, v0
	v_mul_lo_u32 v0, v2, s28
	v_mul_lo_u32 v2, v2, s29
	s_cbranch_vccnz .LBB35_846
; %bb.845:
	s_waitcnt vmcnt(0)
	v_mul_hi_u32 v3, s46, v1
	v_add_u32_e32 v3, v1, v3
	v_lshrrev_b32_e32 v3, s47, v3
	v_mul_lo_u32 v3, v3, s39
	v_sub_u32_e32 v3, v1, v3
	v_mad_u64_u32 v[0:1], s[0:1], v3, s30, v[0:1]
	v_mad_u64_u32 v[2:3], s[0:1], v3, s31, v[2:3]
.LBB35_846:
	s_waitcnt vmcnt(0) lgkmcnt(0)
	v_mov_b32_e32 v3, s27
	s_and_b32 s14, 0xffff, s74
	v_add_co_u32_e32 v1, vcc, s26, v2
	s_cmp_lt_i32 s14, 11
	v_addc_co_u32_e32 v2, vcc, 0, v3, vcc
	s_cbranch_scc1 .LBB35_853
; %bb.847:
	s_cmp_gt_i32 s14, 25
	s_mov_b64 s[2:3], 0
	s_cbranch_scc0 .LBB35_854
; %bb.848:
	s_cmp_gt_i32 s14, 28
	s_cbranch_scc0 .LBB35_855
; %bb.849:
	s_cmp_gt_i32 s14, 43
	;; [unrolled: 3-line block ×3, first 2 shown]
	s_cbranch_scc0 .LBB35_859
; %bb.851:
	s_cmp_eq_u32 s14, 46
	s_mov_b64 s[10:11], 0
	s_cbranch_scc0 .LBB35_862
; %bb.852:
	global_load_dword v4, v[1:2], off
	s_mov_b64 s[0:1], 0
	s_mov_b64 s[8:9], -1
	s_branch .LBB35_863
.LBB35_853:
	s_mov_b64 s[12:13], -1
	s_mov_b64 s[8:9], 0
	s_mov_b64 s[2:3], 0
	;; [unrolled: 1-line block ×3, first 2 shown]
                                        ; implicit-def: $vgpr4
	s_branch .LBB35_926
.LBB35_854:
	s_mov_b64 s[10:11], -1
	s_mov_b64 s[8:9], 0
	s_mov_b64 s[0:1], s[6:7]
                                        ; implicit-def: $vgpr4
	s_branch .LBB35_892
.LBB35_855:
	s_mov_b64 s[10:11], -1
	s_mov_b64 s[8:9], 0
	s_mov_b64 s[0:1], s[6:7]
                                        ; implicit-def: $vgpr4
	s_branch .LBB35_873
.LBB35_856:
	s_mov_b64 s[10:11], -1
	s_mov_b64 s[8:9], 0
	s_mov_b64 s[0:1], s[6:7]
                                        ; implicit-def: $vgpr4
	s_branch .LBB35_868
.LBB35_857:
	s_andn2_saveexec_b64 s[10:11], s[10:11]
	s_cbranch_execz .LBB35_737
.LBB35_858:
	s_mov_b32 s14, 0x46000000
	v_add_f32_e64 v4, |v5|, s14
	v_and_b32_e32 v4, 0xff, v4
	v_cmp_ne_u32_e32 vcc, 0, v4
	s_andn2_b64 s[6:7], s[6:7], exec
	s_and_b64 s[14:15], vcc, exec
	s_or_b64 s[6:7], s[6:7], s[14:15]
	s_or_b64 exec, exec, s[10:11]
	v_mov_b32_e32 v6, 0
	s_and_saveexec_b64 s[10:11], s[6:7]
	s_cbranch_execnz .LBB35_738
	s_branch .LBB35_739
.LBB35_859:
	s_mov_b64 s[10:11], -1
	s_mov_b64 s[8:9], 0
	s_mov_b64 s[0:1], s[6:7]
                                        ; implicit-def: $vgpr4
	s_branch .LBB35_863
.LBB35_860:
	s_andn2_saveexec_b64 s[10:11], s[10:11]
	s_cbranch_execz .LBB35_750
.LBB35_861:
	s_mov_b32 s14, 0x42800000
	v_add_f32_e64 v4, |v5|, s14
	v_and_b32_e32 v4, 0xff, v4
	v_cmp_ne_u32_e32 vcc, 0, v4
	s_andn2_b64 s[6:7], s[6:7], exec
	s_and_b64 s[14:15], vcc, exec
	s_or_b64 s[6:7], s[6:7], s[14:15]
	s_or_b64 exec, exec, s[10:11]
	v_mov_b32_e32 v6, 0
	s_and_saveexec_b64 s[10:11], s[6:7]
	s_cbranch_execnz .LBB35_751
	s_branch .LBB35_752
.LBB35_862:
	s_mov_b64 s[0:1], -1
                                        ; implicit-def: $vgpr4
	s_mov_b64 s[8:9], 0
.LBB35_863:
	s_and_b64 vcc, exec, s[10:11]
	s_cbranch_vccz .LBB35_867
; %bb.864:
	s_cmp_eq_u32 s14, 44
	s_cbranch_scc0 .LBB35_866
; %bb.865:
	global_load_ubyte v3, v[1:2], off
	s_movk_i32 s8, 0xff
	s_waitcnt vmcnt(1)
	v_mov_b32_e32 v4, 0x7f800001
	v_mov_b32_e32 v5, 0x400000
	v_mov_b32_e32 v6, 0x7fc0
	s_mov_b64 s[0:1], 0
	s_waitcnt vmcnt(0)
	v_lshlrev_b32_e32 v7, 23, v3
	v_cmp_ne_u32_e32 vcc, s8, v3
	v_cndmask_b32_e32 v4, v4, v7, vcc
	v_cmp_ne_u32_e32 vcc, 0, v3
	v_cndmask_b32_e32 v3, v5, v4, vcc
	v_add_u32_e32 v4, 0x7fff, v3
	v_cmp_o_f32_e32 vcc, v3, v3
	v_cndmask_b32_sdwa v4, v6, v4, vcc dst_sel:DWORD dst_unused:UNUSED_PAD src0_sel:DWORD src1_sel:WORD_1
	s_mov_b64 s[8:9], -1
	s_branch .LBB35_867
.LBB35_866:
	s_mov_b64 s[0:1], -1
                                        ; implicit-def: $vgpr4
.LBB35_867:
	s_mov_b64 s[10:11], 0
.LBB35_868:
	s_and_b64 vcc, exec, s[10:11]
	s_cbranch_vccz .LBB35_872
; %bb.869:
	s_cmp_eq_u32 s14, 29
	s_cbranch_scc0 .LBB35_871
; %bb.870:
	global_load_dwordx2 v[3:4], v[1:2], off
	s_movk_i32 s8, 0x7fff
	s_mov_b64 s[0:1], 0
	s_mov_b64 s[10:11], 0
	s_waitcnt vmcnt(0)
	v_ffbh_u32_e32 v5, v4
	v_min_u32_e32 v5, 32, v5
	v_lshlrev_b64 v[3:4], v5, v[3:4]
	v_min_u32_e32 v3, 1, v3
	v_or_b32_e32 v3, v4, v3
	v_cvt_f32_u32_e32 v3, v3
	v_sub_u32_e32 v4, 32, v5
	v_ldexp_f32 v3, v3, v4
	v_bfe_u32 v4, v3, 16, 1
	v_add3_u32 v3, v3, v4, s8
	v_lshrrev_b32_e32 v4, 16, v3
	s_mov_b64 s[8:9], -1
	s_branch .LBB35_873
.LBB35_871:
	s_mov_b64 s[0:1], -1
                                        ; implicit-def: $vgpr4
.LBB35_872:
	s_mov_b64 s[10:11], 0
.LBB35_873:
	s_and_b64 vcc, exec, s[10:11]
	s_cbranch_vccz .LBB35_891
; %bb.874:
	s_cmp_lt_i32 s14, 27
	s_cbranch_scc1 .LBB35_877
; %bb.875:
	s_cmp_gt_i32 s14, 27
	s_cbranch_scc0 .LBB35_878
; %bb.876:
	global_load_dword v3, v[1:2], off
	s_movk_i32 s8, 0x7fff
	s_waitcnt vmcnt(0)
	v_cvt_f32_u32_e32 v3, v3
	v_bfe_u32 v4, v3, 16, 1
	v_add3_u32 v3, v3, v4, s8
	v_lshrrev_b32_e32 v4, 16, v3
	s_mov_b64 s[8:9], 0
	s_branch .LBB35_879
.LBB35_877:
	s_mov_b64 s[8:9], -1
                                        ; implicit-def: $vgpr4
	s_branch .LBB35_882
.LBB35_878:
	s_mov_b64 s[8:9], -1
                                        ; implicit-def: $vgpr4
.LBB35_879:
	s_andn2_b64 vcc, exec, s[8:9]
	s_cbranch_vccnz .LBB35_881
; %bb.880:
	global_load_ushort v3, v[1:2], off
	s_movk_i32 s8, 0x7fff
	s_waitcnt vmcnt(0)
	v_cvt_f32_u32_e32 v3, v3
	v_bfe_u32 v4, v3, 16, 1
	v_add3_u32 v3, v3, v4, s8
	v_lshrrev_b32_e32 v4, 16, v3
.LBB35_881:
	s_mov_b64 s[8:9], 0
.LBB35_882:
	s_andn2_b64 vcc, exec, s[8:9]
	s_cbranch_vccnz .LBB35_890
; %bb.883:
	global_load_ubyte v3, v[1:2], off
	s_movk_i32 s8, 0x7f
	s_waitcnt vmcnt(0)
	v_cmp_lt_i16_e32 vcc, s8, v3
	s_mov_b64 s[8:9], 0
	s_and_saveexec_b64 s[10:11], vcc
	s_xor_b64 s[10:11], exec, s[10:11]
	s_cbranch_execz .LBB35_904
; %bb.884:
	s_movk_i32 s8, 0x80
	v_cmp_eq_u16_e32 vcc, s8, v3
	s_mov_b64 s[8:9], -1
	s_and_saveexec_b64 s[12:13], vcc
; %bb.885:
	s_xor_b64 s[8:9], exec, -1
; %bb.886:
	s_or_b64 exec, exec, s[12:13]
	s_and_b64 s[8:9], s[8:9], exec
	s_or_saveexec_b64 s[10:11], s[10:11]
	v_mov_b32_e32 v4, 0x7f800001
	s_xor_b64 exec, exec, s[10:11]
	s_cbranch_execnz .LBB35_905
.LBB35_887:
	s_or_b64 exec, exec, s[10:11]
	s_and_saveexec_b64 s[10:11], s[8:9]
	s_cbranch_execz .LBB35_889
.LBB35_888:
	v_lshlrev_b32_e32 v4, 24, v3
	v_and_b32_e32 v3, 0xffff, v3
	v_and_b32_e32 v5, 7, v3
	v_ffbh_u32_e32 v7, v5
	v_min_u32_e32 v7, 32, v7
	v_subrev_u32_e32 v8, 28, v7
	v_bfe_u32 v6, v3, 3, 4
	v_lshlrev_b32_e32 v3, v8, v3
	v_sub_u32_e32 v7, 29, v7
	v_and_b32_e32 v3, 7, v3
	v_cmp_eq_u32_e32 vcc, 0, v6
	v_cndmask_b32_e32 v6, v6, v7, vcc
	v_cndmask_b32_e32 v3, v5, v3, vcc
	v_mov_b32_e32 v5, 0x3b800000
	v_lshlrev_b32_e32 v3, 20, v3
	v_and_b32_e32 v4, 0x80000000, v4
	v_lshl_add_u32 v5, v6, 23, v5
	v_or3_b32 v4, v4, v5, v3
.LBB35_889:
	s_or_b64 exec, exec, s[10:11]
	v_bfe_u32 v3, v4, 16, 1
	s_movk_i32 s8, 0x7fff
	v_add3_u32 v3, v4, v3, s8
	v_cmp_o_f32_e32 vcc, v4, v4
	v_mov_b32_e32 v4, 0x7fc0
	v_cndmask_b32_sdwa v4, v4, v3, vcc dst_sel:DWORD dst_unused:UNUSED_PAD src0_sel:DWORD src1_sel:WORD_1
.LBB35_890:
	s_mov_b64 s[8:9], -1
.LBB35_891:
	s_mov_b64 s[10:11], 0
.LBB35_892:
	s_and_b64 vcc, exec, s[10:11]
	s_cbranch_vccz .LBB35_925
; %bb.893:
	s_cmp_gt_i32 s14, 22
	s_cbranch_scc0 .LBB35_903
; %bb.894:
	s_cmp_lt_i32 s14, 24
	s_cbranch_scc1 .LBB35_906
; %bb.895:
	s_cmp_gt_i32 s14, 24
	s_cbranch_scc0 .LBB35_907
; %bb.896:
	global_load_ubyte v3, v[1:2], off
	s_movk_i32 s2, 0x7f
	s_waitcnt vmcnt(0)
	v_cmp_lt_i16_e32 vcc, s2, v3
	s_mov_b64 s[2:3], 0
	s_and_saveexec_b64 s[8:9], vcc
	s_xor_b64 s[8:9], exec, s[8:9]
	s_cbranch_execz .LBB35_919
; %bb.897:
	s_movk_i32 s2, 0x80
	v_cmp_eq_u16_e32 vcc, s2, v3
	s_mov_b64 s[2:3], -1
	s_and_saveexec_b64 s[10:11], vcc
; %bb.898:
	s_xor_b64 s[2:3], exec, -1
; %bb.899:
	s_or_b64 exec, exec, s[10:11]
	s_and_b64 s[2:3], s[2:3], exec
	s_or_saveexec_b64 s[8:9], s[8:9]
	v_mov_b32_e32 v4, 0x7f800001
	s_xor_b64 exec, exec, s[8:9]
	s_cbranch_execnz .LBB35_920
.LBB35_900:
	s_or_b64 exec, exec, s[8:9]
	s_and_saveexec_b64 s[8:9], s[2:3]
	s_cbranch_execz .LBB35_902
.LBB35_901:
	v_lshlrev_b32_e32 v4, 24, v3
	v_and_b32_e32 v3, 0xffff, v3
	v_and_b32_e32 v5, 3, v3
	v_ffbh_u32_e32 v7, v5
	v_min_u32_e32 v7, 32, v7
	v_subrev_u32_e32 v8, 29, v7
	v_bfe_u32 v6, v3, 2, 5
	v_lshlrev_b32_e32 v3, v8, v3
	v_sub_u32_e32 v7, 30, v7
	v_and_b32_e32 v3, 3, v3
	v_cmp_eq_u32_e32 vcc, 0, v6
	v_cndmask_b32_e32 v6, v6, v7, vcc
	v_cndmask_b32_e32 v3, v5, v3, vcc
	v_mov_b32_e32 v5, 0x37800000
	v_lshlrev_b32_e32 v3, 21, v3
	v_and_b32_e32 v4, 0x80000000, v4
	v_lshl_add_u32 v5, v6, 23, v5
	v_or3_b32 v4, v4, v5, v3
.LBB35_902:
	s_or_b64 exec, exec, s[8:9]
	v_bfe_u32 v3, v4, 16, 1
	s_movk_i32 s2, 0x7fff
	v_add3_u32 v3, v4, v3, s2
	v_cmp_o_f32_e32 vcc, v4, v4
	v_mov_b32_e32 v4, 0x7fc0
	v_cndmask_b32_sdwa v4, v4, v3, vcc dst_sel:DWORD dst_unused:UNUSED_PAD src0_sel:DWORD src1_sel:WORD_1
	s_mov_b64 s[2:3], 0
	s_branch .LBB35_908
.LBB35_903:
	s_mov_b64 s[2:3], -1
                                        ; implicit-def: $vgpr4
	s_branch .LBB35_914
.LBB35_904:
	s_or_saveexec_b64 s[10:11], s[10:11]
	v_mov_b32_e32 v4, 0x7f800001
	s_xor_b64 exec, exec, s[10:11]
	s_cbranch_execz .LBB35_887
.LBB35_905:
	v_cmp_ne_u16_e32 vcc, 0, v3
	s_andn2_b64 s[8:9], s[8:9], exec
	s_and_b64 s[12:13], vcc, exec
	v_mov_b32_e32 v4, 0
	s_or_b64 s[8:9], s[8:9], s[12:13]
	s_or_b64 exec, exec, s[10:11]
	s_and_saveexec_b64 s[10:11], s[8:9]
	s_cbranch_execnz .LBB35_888
	s_branch .LBB35_889
.LBB35_906:
	s_mov_b64 s[2:3], -1
                                        ; implicit-def: $vgpr4
	s_branch .LBB35_911
.LBB35_907:
	s_mov_b64 s[2:3], -1
                                        ; implicit-def: $vgpr4
.LBB35_908:
	s_and_b64 vcc, exec, s[2:3]
	s_cbranch_vccz .LBB35_910
; %bb.909:
	global_load_ubyte v3, v[1:2], off
	s_mov_b32 s2, 0x7f800000
	s_brev_b32 s3, 1
	s_movk_i32 s8, 0x7fff
	s_waitcnt vmcnt(0)
	v_lshlrev_b32_e32 v3, 24, v3
	v_and_b32_e32 v4, 0x7f000000, v3
	v_ffbh_u32_e32 v5, v4
	v_min_u32_e32 v5, 32, v5
	v_sub_u32_e64 v5, v5, 4 clamp
	v_lshlrev_b32_e32 v7, v5, v4
	v_lshlrev_b32_e32 v5, 23, v5
	v_lshrrev_b32_e32 v7, 4, v7
	v_add_u32_e32 v6, 0x1000000, v4
	v_sub_u32_e32 v5, v7, v5
	v_ashrrev_i32_e32 v6, 8, v6
	v_add_u32_e32 v5, 0x3c000000, v5
	v_and_or_b32 v5, v6, s2, v5
	v_cmp_ne_u32_e32 vcc, 0, v4
	v_cndmask_b32_e32 v4, 0, v5, vcc
	v_and_or_b32 v3, v3, s3, v4
	v_bfe_u32 v4, v4, 16, 1
	v_add3_u32 v4, v3, v4, s8
	v_cmp_o_f32_e32 vcc, v3, v3
	v_mov_b32_e32 v3, 0x7fc0
	v_cndmask_b32_sdwa v4, v3, v4, vcc dst_sel:DWORD dst_unused:UNUSED_PAD src0_sel:DWORD src1_sel:WORD_1
.LBB35_910:
	s_mov_b64 s[2:3], 0
.LBB35_911:
	s_andn2_b64 vcc, exec, s[2:3]
	s_cbranch_vccnz .LBB35_913
; %bb.912:
	global_load_ubyte v3, v[1:2], off
	s_movk_i32 s2, 0x7f00
	s_brev_b32 s3, 16
	s_brev_b32 s8, 1
	s_movk_i32 s9, 0x7fff
	s_waitcnt vmcnt(0)
	v_lshlrev_b16_e32 v4, 8, v3
	v_lshlrev_b32_e32 v3, 25, v3
	v_lshrrev_b32_e32 v5, 4, v3
	v_and_or_b32 v6, v4, s2, 0.5
	v_or_b32_e32 v5, 0x70000000, v5
	v_add_f32_e32 v6, -0.5, v6
	v_mul_f32_e32 v5, 0x7800000, v5
	v_cmp_gt_u32_e32 vcc, s3, v3
	v_bfe_i32 v4, v4, 0, 16
	v_cndmask_b32_e32 v3, v5, v6, vcc
	v_and_or_b32 v4, v4, s8, v3
	v_bfe_u32 v3, v3, 16, 1
	v_add3_u32 v3, v4, v3, s9
	v_cmp_o_f32_e32 vcc, v4, v4
	v_mov_b32_e32 v4, 0x7fc0
	v_cndmask_b32_sdwa v4, v4, v3, vcc dst_sel:DWORD dst_unused:UNUSED_PAD src0_sel:DWORD src1_sel:WORD_1
.LBB35_913:
	s_mov_b64 s[2:3], 0
	s_mov_b64 s[8:9], -1
.LBB35_914:
	s_andn2_b64 vcc, exec, s[2:3]
	s_mov_b64 s[2:3], 0
	s_cbranch_vccnz .LBB35_925
; %bb.915:
	s_cmp_gt_i32 s14, 14
	s_cbranch_scc0 .LBB35_918
; %bb.916:
	s_cmp_eq_u32 s14, 15
	s_cbranch_scc0 .LBB35_921
; %bb.917:
	global_load_ushort v4, v[1:2], off
	s_mov_b64 s[0:1], 0
	s_mov_b64 s[8:9], -1
	s_branch .LBB35_922
.LBB35_918:
	s_mov_b64 s[10:11], -1
                                        ; implicit-def: $vgpr4
	s_branch .LBB35_923
.LBB35_919:
	s_or_saveexec_b64 s[8:9], s[8:9]
	v_mov_b32_e32 v4, 0x7f800001
	s_xor_b64 exec, exec, s[8:9]
	s_cbranch_execz .LBB35_900
.LBB35_920:
	v_cmp_ne_u16_e32 vcc, 0, v3
	s_andn2_b64 s[2:3], s[2:3], exec
	s_and_b64 s[10:11], vcc, exec
	v_mov_b32_e32 v4, 0
	s_or_b64 s[2:3], s[2:3], s[10:11]
	s_or_b64 exec, exec, s[8:9]
	s_and_saveexec_b64 s[8:9], s[2:3]
	s_cbranch_execnz .LBB35_901
	s_branch .LBB35_902
.LBB35_921:
	s_mov_b64 s[0:1], -1
                                        ; implicit-def: $vgpr4
.LBB35_922:
	s_mov_b64 s[10:11], 0
.LBB35_923:
	s_and_b64 vcc, exec, s[10:11]
	s_cbranch_vccz .LBB35_925
; %bb.924:
	s_cmp_lg_u32 s14, 11
	s_cselect_b64 s[10:11], -1, 0
	s_andn2_b64 s[0:1], s[0:1], exec
	s_and_b64 s[10:11], s[10:11], exec
	s_mov_b64 s[2:3], -1
	s_or_b64 s[0:1], s[0:1], s[10:11]
.LBB35_925:
	s_mov_b64 s[12:13], 0
.LBB35_926:
	s_and_b64 s[10:11], s[8:9], exec
	s_and_b64 s[8:9], s[12:13], exec
	s_andn2_b64 s[12:13], s[6:7], exec
	s_and_b64 s[0:1], s[0:1], exec
	s_and_b64 s[2:3], s[2:3], exec
	s_or_b64 s[12:13], s[12:13], s[0:1]
.LBB35_927:
	s_or_b64 exec, exec, s[70:71]
	s_and_b64 s[0:1], s[2:3], exec
	s_andn2_b64 s[2:3], s[6:7], exec
	s_and_b64 s[6:7], s[12:13], exec
	s_and_b64 s[10:11], s[10:11], exec
	s_and_b64 s[8:9], s[8:9], exec
	s_or_b64 s[6:7], s[2:3], s[6:7]
.LBB35_928:
	s_or_b64 exec, exec, s[66:67]
	s_andn2_b64 s[2:3], s[62:63], exec
	s_and_b64 s[12:13], s[68:69], exec
	s_or_b64 s[62:63], s[2:3], s[12:13]
	s_and_b64 s[2:3], s[0:1], exec
	s_andn2_b64 s[0:1], s[60:61], exec
	s_and_b64 s[6:7], s[6:7], exec
	s_and_b64 s[10:11], s[10:11], exec
	;; [unrolled: 1-line block ×3, first 2 shown]
	s_or_b64 s[60:61], s[0:1], s[6:7]
.LBB35_929:
	s_or_b64 exec, exec, s[64:65]
	s_andn2_b64 s[0:1], s[54:55], exec
	s_and_b64 s[6:7], s[62:63], exec
	s_or_b64 s[54:55], s[0:1], s[6:7]
	s_and_b64 s[6:7], s[8:9], exec
	s_and_b64 s[62:63], s[2:3], exec
	s_andn2_b64 s[2:3], s[56:57], exec
	s_and_b64 s[8:9], s[60:61], exec
	s_and_b64 s[0:1], s[10:11], exec
	s_or_b64 s[56:57], s[2:3], s[8:9]
	s_or_b64 exec, exec, s[58:59]
	s_mov_b64 s[8:9], 0
	s_and_saveexec_b64 s[2:3], s[56:57]
	s_cbranch_execz .LBB35_278
.LBB35_930:
	s_mov_b64 s[8:9], exec
	s_andn2_b64 s[62:63], s[62:63], exec
	s_trap 2
	s_or_b64 exec, exec, s[2:3]
	s_and_saveexec_b64 s[2:3], s[62:63]
	s_xor_b64 s[2:3], exec, s[2:3]
	s_cbranch_execnz .LBB35_279
.LBB35_931:
	s_or_b64 exec, exec, s[2:3]
	s_and_saveexec_b64 s[2:3], s[6:7]
	s_cbranch_execz .LBB35_977
.LBB35_932:
	s_sext_i32_i16 s6, s74
	s_cmp_lt_i32 s6, 5
	s_cbranch_scc1 .LBB35_937
; %bb.933:
	s_cmp_lt_i32 s6, 8
	s_cbranch_scc1 .LBB35_938
; %bb.934:
	s_cmp_lt_i32 s6, 9
	s_cbranch_scc1 .LBB35_939
; %bb.935:
	s_cmp_gt_i32 s6, 9
	s_cbranch_scc0 .LBB35_940
; %bb.936:
	global_load_dwordx2 v[3:4], v[1:2], off
	s_movk_i32 s6, 0x7fff
	s_waitcnt vmcnt(0)
	v_cvt_f32_f64_e32 v3, v[3:4]
	v_mov_b32_e32 v4, 0x7fc0
	v_bfe_u32 v5, v3, 16, 1
	v_cmp_o_f32_e32 vcc, v3, v3
	v_add3_u32 v3, v3, v5, s6
	v_cndmask_b32_sdwa v4, v4, v3, vcc dst_sel:DWORD dst_unused:UNUSED_PAD src0_sel:DWORD src1_sel:WORD_1
	s_mov_b64 s[6:7], 0
	s_branch .LBB35_941
.LBB35_937:
                                        ; implicit-def: $vgpr4
	s_branch .LBB35_958
.LBB35_938:
                                        ; implicit-def: $vgpr4
	s_branch .LBB35_947
.LBB35_939:
	s_mov_b64 s[6:7], -1
                                        ; implicit-def: $vgpr4
	s_branch .LBB35_944
.LBB35_940:
	s_mov_b64 s[6:7], -1
                                        ; implicit-def: $vgpr4
.LBB35_941:
	s_andn2_b64 vcc, exec, s[6:7]
	s_cbranch_vccnz .LBB35_943
; %bb.942:
	global_load_dword v3, v[1:2], off
	s_movk_i32 s6, 0x7fff
	s_waitcnt vmcnt(1)
	v_mov_b32_e32 v4, 0x7fc0
	s_waitcnt vmcnt(0)
	v_bfe_u32 v5, v3, 16, 1
	v_cmp_o_f32_e32 vcc, v3, v3
	v_add3_u32 v3, v3, v5, s6
	v_cndmask_b32_sdwa v4, v4, v3, vcc dst_sel:DWORD dst_unused:UNUSED_PAD src0_sel:DWORD src1_sel:WORD_1
.LBB35_943:
	s_mov_b64 s[6:7], 0
.LBB35_944:
	s_andn2_b64 vcc, exec, s[6:7]
	s_cbranch_vccnz .LBB35_946
; %bb.945:
	global_load_dword v3, v[1:2], off
	s_movk_i32 s6, 0x7fff
	v_mov_b32_e32 v5, 0x7fc0
	s_waitcnt vmcnt(0)
	v_cvt_f32_f16_e32 v4, v3
	v_cmp_o_f16_e32 vcc, v3, v3
	v_bfe_u32 v3, v4, 16, 1
	v_add3_u32 v3, v4, v3, s6
	v_cndmask_b32_sdwa v4, v5, v3, vcc dst_sel:DWORD dst_unused:UNUSED_PAD src0_sel:DWORD src1_sel:WORD_1
.LBB35_946:
	s_cbranch_execnz .LBB35_957
.LBB35_947:
	s_sext_i32_i16 s6, s74
	s_cmp_lt_i32 s6, 6
	s_cbranch_scc1 .LBB35_950
; %bb.948:
	s_cmp_gt_i32 s6, 6
	s_cbranch_scc0 .LBB35_951
; %bb.949:
	global_load_dwordx2 v[3:4], v[1:2], off
	s_movk_i32 s6, 0x7fff
	s_waitcnt vmcnt(0)
	v_cvt_f32_f64_e32 v3, v[3:4]
	v_mov_b32_e32 v4, 0x7fc0
	v_bfe_u32 v5, v3, 16, 1
	v_cmp_o_f32_e32 vcc, v3, v3
	v_add3_u32 v3, v3, v5, s6
	v_cndmask_b32_sdwa v4, v4, v3, vcc dst_sel:DWORD dst_unused:UNUSED_PAD src0_sel:DWORD src1_sel:WORD_1
	s_mov_b64 s[6:7], 0
	s_branch .LBB35_952
.LBB35_950:
	s_mov_b64 s[6:7], -1
                                        ; implicit-def: $vgpr4
	s_branch .LBB35_955
.LBB35_951:
	s_mov_b64 s[6:7], -1
                                        ; implicit-def: $vgpr4
.LBB35_952:
	s_andn2_b64 vcc, exec, s[6:7]
	s_cbranch_vccnz .LBB35_954
; %bb.953:
	global_load_dword v3, v[1:2], off
	s_movk_i32 s6, 0x7fff
	s_waitcnt vmcnt(1)
	v_mov_b32_e32 v4, 0x7fc0
	s_waitcnt vmcnt(0)
	v_bfe_u32 v5, v3, 16, 1
	v_cmp_o_f32_e32 vcc, v3, v3
	v_add3_u32 v3, v3, v5, s6
	v_cndmask_b32_sdwa v4, v4, v3, vcc dst_sel:DWORD dst_unused:UNUSED_PAD src0_sel:DWORD src1_sel:WORD_1
.LBB35_954:
	s_mov_b64 s[6:7], 0
.LBB35_955:
	s_andn2_b64 vcc, exec, s[6:7]
	s_cbranch_vccnz .LBB35_957
; %bb.956:
	global_load_ushort v3, v[1:2], off
	s_movk_i32 s6, 0x7fff
	v_mov_b32_e32 v5, 0x7fc0
	s_waitcnt vmcnt(0)
	v_cvt_f32_f16_e32 v4, v3
	v_cmp_o_f16_e32 vcc, v3, v3
	v_bfe_u32 v3, v4, 16, 1
	v_add3_u32 v3, v4, v3, s6
	v_cndmask_b32_sdwa v4, v5, v3, vcc dst_sel:DWORD dst_unused:UNUSED_PAD src0_sel:DWORD src1_sel:WORD_1
.LBB35_957:
	s_cbranch_execnz .LBB35_976
.LBB35_958:
	s_sext_i32_i16 s6, s74
	s_cmp_lt_i32 s6, 2
	s_cbranch_scc1 .LBB35_962
; %bb.959:
	s_cmp_lt_i32 s6, 3
	s_cbranch_scc1 .LBB35_963
; %bb.960:
	s_cmp_gt_i32 s6, 3
	s_cbranch_scc0 .LBB35_964
; %bb.961:
	global_load_dwordx2 v[3:4], v[1:2], off
	s_movk_i32 s6, 0x7fff
	s_waitcnt vmcnt(0)
	v_xor_b32_e32 v6, v3, v4
	v_ffbh_i32_e32 v5, v4
	v_ashrrev_i32_e32 v6, 31, v6
	v_add_u32_e32 v5, -1, v5
	v_add_u32_e32 v6, 32, v6
	v_min_u32_e32 v5, v5, v6
	v_lshlrev_b64 v[3:4], v5, v[3:4]
	v_min_u32_e32 v3, 1, v3
	v_or_b32_e32 v3, v4, v3
	v_cvt_f32_i32_e32 v3, v3
	v_sub_u32_e32 v4, 32, v5
	v_ldexp_f32 v3, v3, v4
	v_bfe_u32 v4, v3, 16, 1
	v_add3_u32 v3, v3, v4, s6
	v_lshrrev_b32_e32 v4, 16, v3
	s_mov_b64 s[6:7], 0
	s_branch .LBB35_965
.LBB35_962:
                                        ; implicit-def: $vgpr4
	s_branch .LBB35_971
.LBB35_963:
	s_mov_b64 s[6:7], -1
                                        ; implicit-def: $vgpr4
	s_branch .LBB35_968
.LBB35_964:
	s_mov_b64 s[6:7], -1
                                        ; implicit-def: $vgpr4
.LBB35_965:
	s_andn2_b64 vcc, exec, s[6:7]
	s_cbranch_vccnz .LBB35_967
; %bb.966:
	global_load_dword v3, v[1:2], off
	s_movk_i32 s6, 0x7fff
	s_waitcnt vmcnt(0)
	v_cvt_f32_i32_e32 v3, v3
	v_bfe_u32 v4, v3, 16, 1
	v_add3_u32 v3, v3, v4, s6
	v_lshrrev_b32_e32 v4, 16, v3
.LBB35_967:
	s_mov_b64 s[6:7], 0
.LBB35_968:
	s_andn2_b64 vcc, exec, s[6:7]
	s_cbranch_vccnz .LBB35_970
; %bb.969:
	global_load_sshort v3, v[1:2], off
	s_movk_i32 s6, 0x7fff
	s_waitcnt vmcnt(0)
	v_cvt_f32_i32_e32 v3, v3
	v_bfe_u32 v4, v3, 16, 1
	v_add3_u32 v3, v3, v4, s6
	v_lshrrev_b32_e32 v4, 16, v3
.LBB35_970:
	s_cbranch_execnz .LBB35_976
.LBB35_971:
	s_sext_i32_i16 s6, s74
	s_cmp_gt_i32 s6, 0
	s_cbranch_scc0 .LBB35_973
; %bb.972:
	global_load_sbyte v3, v[1:2], off
	s_movk_i32 s6, 0x7fff
	s_waitcnt vmcnt(0)
	v_cvt_f32_i32_e32 v3, v3
	v_bfe_u32 v4, v3, 16, 1
	v_add3_u32 v3, v3, v4, s6
	v_lshrrev_b32_e32 v4, 16, v3
	s_mov_b64 s[6:7], 0
	s_branch .LBB35_974
.LBB35_973:
	s_mov_b64 s[6:7], -1
                                        ; implicit-def: $vgpr4
.LBB35_974:
	s_andn2_b64 vcc, exec, s[6:7]
	s_cbranch_vccnz .LBB35_976
; %bb.975:
	global_load_ubyte v1, v[1:2], off
	s_movk_i32 s6, 0x7fff
	s_waitcnt vmcnt(0)
	v_cvt_f32_ubyte0_e32 v1, v1
	v_bfe_u32 v2, v1, 16, 1
	v_add3_u32 v1, v1, v2, s6
	v_lshrrev_b32_e32 v4, 16, v1
.LBB35_976:
	s_or_b64 s[0:1], s[0:1], exec
.LBB35_977:
	s_or_b64 exec, exec, s[2:3]
	s_mov_b64 s[6:7], 0
	s_mov_b64 s[2:3], 0
                                        ; implicit-def: $sgpr16
                                        ; implicit-def: $vgpr1_vgpr2
                                        ; implicit-def: $vgpr3
	s_and_saveexec_b64 s[10:11], s[0:1]
	s_cbranch_execz .LBB35_999
; %bb.978:
	s_waitcnt vmcnt(0)
	v_lshlrev_b32_e32 v1, 16, v4
	s_brev_b32 s0, 18
	v_and_b32_e32 v2, 0x7fffffff, v1
	v_cmp_nlt_f32_e64 s[0:1], |v1|, s0
                                        ; implicit-def: $vgpr3
                                        ; implicit-def: $vgpr4
	s_and_saveexec_b64 s[2:3], s[0:1]
	s_xor_b64 s[12:13], exec, s[2:3]
	s_cbranch_execz .LBB35_980
; %bb.979:
	v_and_b32_e32 v3, 0x7fffff, v2
	v_or_b32_e32 v12, 0x800000, v3
	s_mov_b32 s0, 0xfe5163ab
	v_mad_u64_u32 v[3:4], s[0:1], v12, s0, 0
	v_mov_b32_e32 v5, 0
	s_mov_b32 s0, 0x3c439041
	v_mad_u64_u32 v[6:7], s[0:1], v12, s0, v[4:5]
	s_mov_b32 s0, 0xdb629599
	v_not_b32_e32 v11, 63
	v_mov_b32_e32 v4, v7
	v_mad_u64_u32 v[7:8], s[0:1], v12, s0, v[4:5]
	s_mov_b32 s0, 0xf534ddc0
	v_not_b32_e32 v14, 31
	v_mov_b32_e32 v4, v8
	v_mad_u64_u32 v[8:9], s[0:1], v12, s0, v[4:5]
	v_lshrrev_b32_e32 v4, 23, v2
	v_add_u32_e32 v13, 0xffffff88, v4
	v_mov_b32_e32 v4, v9
	s_mov_b32 s0, 0xfc2757d1
	v_mad_u64_u32 v[9:10], s[0:1], v12, s0, v[4:5]
	v_cmp_lt_u32_e32 vcc, 63, v13
	v_cndmask_b32_e32 v4, 0, v11, vcc
	v_add_u32_e32 v13, v4, v13
	v_mov_b32_e32 v4, v10
	s_mov_b32 s0, 0x4e441529
	v_mad_u64_u32 v[10:11], s[0:1], v12, s0, v[4:5]
	v_cmp_lt_u32_e64 s[0:1], 31, v13
	v_cndmask_b32_e64 v4, 0, v14, s[0:1]
	v_add_u32_e32 v13, v4, v13
	v_mov_b32_e32 v4, v11
	s_mov_b32 s2, 0xa2f9836e
	v_mad_u64_u32 v[4:5], s[2:3], v12, s2, v[4:5]
	v_cmp_lt_u32_e64 s[2:3], 31, v13
	v_cndmask_b32_e64 v11, 0, v14, s[2:3]
	v_cndmask_b32_e32 v12, v10, v8, vcc
	v_cndmask_b32_e32 v4, v4, v9, vcc
	;; [unrolled: 1-line block ×3, first 2 shown]
	v_add_u32_e32 v11, v11, v13
	v_cndmask_b32_e64 v13, v4, v12, s[0:1]
	v_cndmask_b32_e64 v4, v5, v4, s[0:1]
	v_cndmask_b32_e32 v5, v9, v7, vcc
	v_cndmask_b32_e64 v9, v12, v5, s[0:1]
	v_cndmask_b32_e64 v4, v4, v13, s[2:3]
	;; [unrolled: 1-line block ×3, first 2 shown]
	v_sub_u32_e32 v12, 32, v11
	v_alignbit_b32 v13, v4, v10, v12
	v_cmp_eq_u32_e64 s[6:7], 0, v11
	v_cndmask_b32_e64 v11, v13, v4, s[6:7]
	v_cndmask_b32_e32 v4, v8, v6, vcc
	v_cndmask_b32_e64 v5, v5, v4, s[0:1]
	v_cndmask_b32_e64 v6, v9, v5, s[2:3]
	v_alignbit_b32 v8, v10, v6, v12
	v_cndmask_b32_e32 v3, v7, v3, vcc
	v_cndmask_b32_e64 v8, v8, v10, s[6:7]
	v_bfe_u32 v13, v11, 29, 1
	v_cndmask_b32_e64 v3, v4, v3, s[0:1]
	v_alignbit_b32 v9, v11, v8, 30
	v_sub_u32_e32 v14, 0, v13
	v_cndmask_b32_e64 v3, v5, v3, s[2:3]
	v_xor_b32_e32 v9, v9, v14
	v_alignbit_b32 v4, v6, v3, v12
	v_cndmask_b32_e64 v4, v4, v6, s[6:7]
	v_ffbh_u32_e32 v6, v9
	v_alignbit_b32 v5, v8, v4, 30
	v_min_u32_e32 v6, 32, v6
	v_alignbit_b32 v3, v4, v3, 30
	v_xor_b32_e32 v5, v5, v14
	v_sub_u32_e32 v7, 31, v6
	v_xor_b32_e32 v3, v3, v14
	v_alignbit_b32 v8, v9, v5, v7
	v_alignbit_b32 v3, v5, v3, v7
	;; [unrolled: 1-line block ×3, first 2 shown]
	v_ffbh_u32_e32 v5, v4
	v_min_u32_e32 v5, 32, v5
	v_lshrrev_b32_e32 v10, 29, v11
	v_not_b32_e32 v7, v5
	v_alignbit_b32 v3, v4, v3, v7
	v_lshlrev_b32_e32 v4, 31, v10
	v_or_b32_e32 v7, 0x33000000, v4
	v_add_lshl_u32 v5, v5, v6, 23
	v_lshrrev_b32_e32 v3, 9, v3
	v_sub_u32_e32 v5, v7, v5
	v_or_b32_e32 v4, 0.5, v4
	v_lshlrev_b32_e32 v6, 23, v6
	v_or_b32_e32 v3, v5, v3
	v_lshrrev_b32_e32 v5, 9, v8
	v_sub_u32_e32 v4, v4, v6
	v_or_b32_e32 v4, v5, v4
	s_mov_b32 s0, 0x3fc90fda
	v_mul_f32_e32 v5, 0x3fc90fda, v4
	v_fma_f32 v6, v4, s0, -v5
	v_fmac_f32_e32 v6, 0x33a22168, v4
	v_fmac_f32_e32 v6, 0x3fc90fda, v3
	v_lshrrev_b32_e32 v3, 30, v11
	v_add_f32_e32 v4, v5, v6
	v_add_u32_e32 v3, v13, v3
.LBB35_980:
	s_andn2_saveexec_b64 s[0:1], s[12:13]
	s_cbranch_execz .LBB35_982
; %bb.981:
	s_mov_b32 s2, 0x3f22f983
	v_mul_f32_e64 v3, |v1|, s2
	v_rndne_f32_e32 v5, v3
	s_mov_b32 s2, 0xbfc90fda
	v_cvt_i32_f32_e32 v3, v5
	v_fma_f32 v4, v5, s2, |v1|
	v_fmac_f32_e32 v4, 0xb3a22168, v5
	v_fmac_f32_e32 v4, 0xa7c234c4, v5
.LBB35_982:
	s_or_b64 exec, exec, s[0:1]
	v_mul_f32_e32 v5, v4, v4
	v_mov_b32_e32 v6, 0x3c0881c4
	v_fmac_f32_e32 v6, 0xb94c1982, v5
	v_mov_b32_e32 v7, 0xbe2aaa9d
	v_fmac_f32_e32 v7, v5, v6
	v_mul_f32_e32 v6, v5, v7
	v_fmac_f32_e32 v4, v4, v6
	v_mov_b32_e32 v6, 0xbab64f3b
	v_fmac_f32_e32 v6, 0x37d75334, v5
	v_mov_b32_e32 v7, 0x3d2aabf7
	;; [unrolled: 2-line block ×3, first 2 shown]
	v_fmac_f32_e32 v6, v5, v7
	v_fma_f32 v5, v5, v6, 1.0
	v_and_b32_e32 v6, 1, v3
	v_lshlrev_b32_e32 v3, 30, v3
	v_cmp_eq_u32_e32 vcc, 0, v6
	v_and_b32_e32 v3, 0x80000000, v3
	v_cndmask_b32_e32 v4, v5, v4, vcc
	v_xor_b32_e32 v2, v2, v3
	v_xor_b32_e32 v2, v2, v4
	s_movk_i32 s0, 0x1f8
	v_xor_b32_e32 v2, v2, v1
	v_mov_b32_e32 v3, 0x7fc00000
	v_cmp_class_f32_e64 vcc, v1, s0
	v_cndmask_b32_e32 v1, v3, v2, vcc
	v_bfe_u32 v2, v1, 16, 1
	s_movk_i32 s0, 0x7fff
	v_add3_u32 v2, v1, v2, s0
	v_cmp_o_f32_e32 vcc, v1, v1
	v_mov_b32_e32 v1, 0x7fc0
	v_cndmask_b32_sdwa v3, v1, v2, vcc dst_sel:DWORD dst_unused:UNUSED_PAD src0_sel:DWORD src1_sel:WORD_1
	s_waitcnt lgkmcnt(0)
	v_mov_b32_e32 v2, s25
	s_and_b32 s16, s73, 0xff
	v_add_co_u32_e32 v1, vcc, s24, v0
	s_cmp_lt_i32 s16, 11
	v_addc_co_u32_e32 v2, vcc, 0, v2, vcc
	s_cbranch_scc1 .LBB35_1002
; %bb.983:
	s_and_b32 s17, 0xffff, s16
	s_mov_b64 s[6:7], -1
	s_cmp_gt_i32 s17, 25
	s_mov_b64 s[0:1], s[54:55]
	s_cbranch_scc0 .LBB35_1020
; %bb.984:
	s_mov_b64 s[2:3], -1
	s_cmp_gt_i32 s17, 28
	s_mov_b64 s[0:1], s[54:55]
	s_cbranch_scc0 .LBB35_1004
; %bb.985:
	s_cmp_gt_i32 s17, 43
	s_mov_b64 s[0:1], s[54:55]
	s_cbranch_scc0 .LBB35_996
; %bb.986:
	;; [unrolled: 4-line block ×3, first 2 shown]
	s_cmp_eq_u32 s17, 46
	s_mov_b64 s[0:1], -1
	s_cbranch_scc0 .LBB35_989
; %bb.988:
	v_and_b32_e32 v0, 0xffff, v3
	global_store_dword v[1:2], v0, off
	s_mov_b64 s[0:1], 0
.LBB35_989:
	s_mov_b64 s[2:3], 0
.LBB35_990:
	s_and_b64 vcc, exec, s[2:3]
	s_cbranch_vccz .LBB35_995
; %bb.991:
	s_cmp_eq_u32 s17, 44
	s_mov_b64 s[0:1], -1
	s_cbranch_scc0 .LBB35_995
; %bb.992:
	v_and_b32_e32 v4, 0xffff, v3
	v_bfe_u32 v0, v4, 7, 8
	s_movk_i32 s0, 0xff
	v_cmp_ne_u32_e32 vcc, s0, v0
	v_mov_b32_e32 v5, 0xff
	s_and_saveexec_b64 s[2:3], vcc
	s_cbranch_execz .LBB35_994
; %bb.993:
	v_lshlrev_b32_e32 v6, 16, v4
	s_mov_b32 s0, 0x3f0000
	v_lshrrev_b32_e32 v5, 7, v4
	v_and_b32_e32 v4, 64, v4
	v_and_or_b32 v0, v6, s0, v0
	v_cmp_ne_u32_e32 vcc, 0, v4
	v_cmp_ne_u32_e64 s[0:1], 0, v0
	s_and_b64 s[0:1], vcc, s[0:1]
	v_cndmask_b32_e64 v0, 0, 1, s[0:1]
	v_add_u32_e32 v5, v5, v0
.LBB35_994:
	s_or_b64 exec, exec, s[2:3]
	s_mov_b64 s[0:1], 0
	global_store_byte v[1:2], v5, off
.LBB35_995:
	s_mov_b64 s[2:3], 0
.LBB35_996:
	s_and_b64 vcc, exec, s[2:3]
	s_cbranch_vccz .LBB35_1003
; %bb.997:
	s_cmp_eq_u32 s17, 29
	s_mov_b64 s[0:1], -1
	s_cbranch_scc0 .LBB35_1003
; %bb.998:
	v_lshlrev_b32_e32 v0, 16, v3
	v_trunc_f32_e32 v0, v0
	v_mul_f32_e32 v4, 0x2f800000, v0
	v_floor_f32_e32 v4, v4
	v_fmac_f32_e32 v0, 0xcf800000, v4
	v_cvt_u32_f32_e32 v5, v4
	v_cvt_u32_f32_e32 v4, v0
	s_mov_b64 s[0:1], 0
	s_mov_b64 s[2:3], 0
	global_store_dwordx2 v[1:2], v[4:5], off
	s_branch .LBB35_1004
.LBB35_999:
	s_or_b64 exec, exec, s[10:11]
	s_and_saveexec_b64 s[0:1], s[54:55]
	s_cbranch_execnz .LBB35_1062
.LBB35_1000:
	s_or_b64 exec, exec, s[0:1]
	s_and_saveexec_b64 s[0:1], s[6:7]
	s_xor_b64 s[0:1], exec, s[0:1]
	s_cbranch_execz .LBB35_1063
.LBB35_1001:
	s_waitcnt vmcnt(0)
	v_and_b32_e32 v0, 0x7fff, v3
	v_cmp_ne_u16_e32 vcc, 0, v0
	v_cndmask_b32_e64 v0, 0, 1, vcc
	global_store_byte v[1:2], v0, off
	s_or_b64 exec, exec, s[0:1]
	s_and_saveexec_b64 s[0:1], s[2:3]
	s_xor_b64 s[0:1], exec, s[0:1]
	s_cbranch_execz .LBB35_1101
	s_branch .LBB35_1064
.LBB35_1002:
	s_mov_b64 s[6:7], 0
	s_mov_b64 s[2:3], -1
	s_mov_b64 s[0:1], s[54:55]
	s_branch .LBB35_1061
.LBB35_1003:
	s_mov_b64 s[2:3], 0
.LBB35_1004:
	s_and_b64 vcc, exec, s[2:3]
	s_cbranch_vccz .LBB35_1019
; %bb.1005:
	s_cmp_lt_i32 s17, 27
	s_mov_b64 s[2:3], -1
	s_cbranch_scc1 .LBB35_1011
; %bb.1006:
	s_cmp_gt_i32 s17, 27
	s_cbranch_scc0 .LBB35_1008
; %bb.1007:
	v_lshlrev_b32_e32 v0, 16, v3
	v_cvt_u32_f32_e32 v0, v0
	s_mov_b64 s[2:3], 0
	global_store_dword v[1:2], v0, off
.LBB35_1008:
	s_andn2_b64 vcc, exec, s[2:3]
	s_cbranch_vccnz .LBB35_1010
; %bb.1009:
	v_lshlrev_b32_e32 v0, 16, v3
	v_cvt_u32_f32_e32 v0, v0
	global_store_short v[1:2], v0, off
.LBB35_1010:
	s_mov_b64 s[2:3], 0
.LBB35_1011:
	s_andn2_b64 vcc, exec, s[2:3]
	s_cbranch_vccnz .LBB35_1019
; %bb.1012:
	v_lshlrev_b32_e32 v5, 16, v3
	v_and_b32_e32 v4, 0x7fffffff, v5
	s_mov_b32 s2, 0x43800000
	v_cmp_gt_u32_e32 vcc, s2, v4
	v_mov_b32_e32 v6, 0x80
	s_and_saveexec_b64 s[2:3], vcc
	s_cbranch_execz .LBB35_1018
; %bb.1013:
	s_mov_b32 s6, 0x3bffffff
	v_and_b32_e32 v0, 0xffff, v3
	v_cmp_lt_u32_e32 vcc, s6, v4
	s_mov_b64 s[6:7], 0
                                        ; implicit-def: $vgpr4
	s_and_saveexec_b64 s[12:13], vcc
	s_xor_b64 s[12:13], exec, s[12:13]
	s_cbranch_execz .LBB35_1172
; %bb.1014:
	v_bfe_u32 v4, v0, 4, 1
	s_mov_b32 s14, 0x487ffff
	v_add3_u32 v4, v5, v4, s14
	s_mov_b64 s[6:7], exec
	v_lshrrev_b32_e32 v4, 20, v4
                                        ; implicit-def: $vgpr5
	s_andn2_saveexec_b64 s[12:13], s[12:13]
	s_cbranch_execnz .LBB35_1173
.LBB35_1015:
	s_or_b64 exec, exec, s[12:13]
	v_mov_b32_e32 v6, 0
	s_and_saveexec_b64 s[12:13], s[6:7]
.LBB35_1016:
	v_lshrrev_b32_e32 v0, 8, v0
	s_movk_i32 s6, 0x80
	v_and_or_b32 v6, v0, s6, v4
.LBB35_1017:
	s_or_b64 exec, exec, s[12:13]
.LBB35_1018:
	s_or_b64 exec, exec, s[2:3]
	global_store_byte v[1:2], v6, off
.LBB35_1019:
	s_mov_b64 s[6:7], 0
.LBB35_1020:
	s_mov_b64 s[2:3], 0
	s_and_b64 vcc, exec, s[6:7]
	s_cbranch_vccz .LBB35_1060
; %bb.1021:
	s_cmp_gt_i32 s17, 22
	s_mov_b64 s[6:7], -1
	s_cbranch_scc0 .LBB35_1053
; %bb.1022:
	s_cmp_lt_i32 s17, 24
	s_cbranch_scc1 .LBB35_1042
; %bb.1023:
	s_cmp_gt_i32 s17, 24
	s_cbranch_scc0 .LBB35_1031
; %bb.1024:
	v_lshlrev_b32_e32 v5, 16, v3
	v_and_b32_e32 v4, 0x7fffffff, v5
	s_mov_b32 s6, 0x47800000
	v_cmp_gt_u32_e32 vcc, s6, v4
	v_mov_b32_e32 v6, 0x80
	s_and_saveexec_b64 s[6:7], vcc
	s_cbranch_execz .LBB35_1030
; %bb.1025:
	s_mov_b32 s12, 0x37ffffff
	v_and_b32_e32 v0, 0xffff, v3
	v_cmp_lt_u32_e32 vcc, s12, v4
	s_mov_b64 s[12:13], 0
                                        ; implicit-def: $vgpr4
	s_and_saveexec_b64 s[14:15], vcc
	s_xor_b64 s[14:15], exec, s[14:15]
	s_cbranch_execz .LBB35_1301
; %bb.1026:
	v_bfe_u32 v4, v0, 5, 1
	s_mov_b32 s18, 0x88fffff
	v_add3_u32 v4, v5, v4, s18
	s_mov_b64 s[12:13], exec
	v_lshrrev_b32_e32 v4, 21, v4
                                        ; implicit-def: $vgpr5
	s_andn2_saveexec_b64 s[14:15], s[14:15]
	s_cbranch_execnz .LBB35_1302
.LBB35_1027:
	s_or_b64 exec, exec, s[14:15]
	v_mov_b32_e32 v6, 0
	s_and_saveexec_b64 s[14:15], s[12:13]
.LBB35_1028:
	v_lshrrev_b32_e32 v0, 8, v0
	s_movk_i32 s12, 0x80
	v_and_or_b32 v6, v0, s12, v4
.LBB35_1029:
	s_or_b64 exec, exec, s[14:15]
.LBB35_1030:
	s_or_b64 exec, exec, s[6:7]
	s_mov_b64 s[6:7], 0
	global_store_byte v[1:2], v6, off
.LBB35_1031:
	s_and_b64 vcc, exec, s[6:7]
	s_cbranch_vccz .LBB35_1041
; %bb.1032:
	v_lshlrev_b32_e32 v5, 16, v3
	v_and_b32_e32 v6, 0x7fffffff, v5
	s_mov_b32 s6, 0x43f00000
	v_and_b32_e32 v0, 0xffff, v3
	v_cmp_gt_u32_e32 vcc, s6, v6
                                        ; implicit-def: $vgpr4
	s_and_saveexec_b64 s[6:7], vcc
	s_xor_b64 s[6:7], exec, s[6:7]
	s_cbranch_execz .LBB35_1038
; %bb.1033:
	s_mov_b32 s12, 0x3c7fffff
	v_cmp_lt_u32_e32 vcc, s12, v6
                                        ; implicit-def: $vgpr4
	s_and_saveexec_b64 s[12:13], vcc
	s_xor_b64 s[12:13], exec, s[12:13]
; %bb.1034:
	v_bfe_u32 v4, v0, 4, 1
	s_mov_b32 s14, 0x407ffff
	v_add3_u32 v4, v5, v4, s14
	v_lshrrev_b32_e32 v5, 20, v4
	v_and_b32_e32 v4, 0xff00000, v4
	s_mov_b32 s14, 0x7f00000
	v_mov_b32_e32 v6, 0x7e
	v_cmp_ne_u32_e32 vcc, s14, v4
	v_cndmask_b32_e32 v4, v6, v5, vcc
                                        ; implicit-def: $vgpr5
; %bb.1035:
	s_andn2_saveexec_b64 s[12:13], s[12:13]
; %bb.1036:
	s_mov_b32 s14, 0x46800000
	v_add_f32_e64 v4, |v5|, s14
; %bb.1037:
	s_or_b64 exec, exec, s[12:13]
                                        ; implicit-def: $vgpr6
.LBB35_1038:
	s_andn2_saveexec_b64 s[6:7], s[6:7]
; %bb.1039:
	s_mov_b32 s12, 0x7f800000
	v_mov_b32_e32 v4, 0x7e
	v_mov_b32_e32 v5, 0x7f
	v_cmp_lt_u32_e32 vcc, s12, v6
	v_cndmask_b32_e32 v4, v4, v5, vcc
; %bb.1040:
	s_or_b64 exec, exec, s[6:7]
	v_lshrrev_b32_e32 v0, 8, v0
	s_movk_i32 s6, 0x80
	v_and_or_b32 v0, v0, s6, v4
	global_store_byte v[1:2], v0, off
.LBB35_1041:
	s_mov_b64 s[6:7], 0
.LBB35_1042:
	s_andn2_b64 vcc, exec, s[6:7]
	s_cbranch_vccnz .LBB35_1052
; %bb.1043:
	v_lshlrev_b32_e32 v5, 16, v3
	v_and_b32_e32 v6, 0x7fffffff, v5
	s_mov_b32 s6, 0x47800000
	v_and_b32_e32 v0, 0xffff, v3
	v_cmp_gt_u32_e32 vcc, s6, v6
                                        ; implicit-def: $vgpr4
	s_and_saveexec_b64 s[6:7], vcc
	s_xor_b64 s[6:7], exec, s[6:7]
	s_cbranch_execz .LBB35_1049
; %bb.1044:
	s_mov_b32 s12, 0x387fffff
	v_cmp_lt_u32_e32 vcc, s12, v6
                                        ; implicit-def: $vgpr4
	s_and_saveexec_b64 s[12:13], vcc
	s_xor_b64 s[12:13], exec, s[12:13]
; %bb.1045:
	v_bfe_u32 v4, v0, 5, 1
	s_mov_b32 s14, 0x80fffff
	v_add3_u32 v4, v5, v4, s14
	v_lshrrev_b32_e32 v4, 21, v4
                                        ; implicit-def: $vgpr5
; %bb.1046:
	s_andn2_saveexec_b64 s[12:13], s[12:13]
; %bb.1047:
	s_mov_b32 s14, 0x43000000
	v_add_f32_e64 v4, |v5|, s14
; %bb.1048:
	s_or_b64 exec, exec, s[12:13]
                                        ; implicit-def: $vgpr6
.LBB35_1049:
	s_andn2_saveexec_b64 s[6:7], s[6:7]
; %bb.1050:
	s_mov_b32 s12, 0x7f800000
	v_mov_b32_e32 v4, 0x7c
	v_mov_b32_e32 v5, 0x7f
	v_cmp_lt_u32_e32 vcc, s12, v6
	v_cndmask_b32_e32 v4, v4, v5, vcc
; %bb.1051:
	s_or_b64 exec, exec, s[6:7]
	v_lshrrev_b32_e32 v0, 8, v0
	s_movk_i32 s6, 0x80
	v_and_or_b32 v0, v0, s6, v4
	global_store_byte v[1:2], v0, off
.LBB35_1052:
	s_mov_b64 s[6:7], 0
.LBB35_1053:
	s_andn2_b64 vcc, exec, s[6:7]
	s_mov_b64 s[6:7], 0
	s_cbranch_vccnz .LBB35_1061
; %bb.1054:
	s_cmp_gt_i32 s17, 14
	s_mov_b64 s[12:13], -1
	s_cbranch_scc0 .LBB35_1058
; %bb.1055:
	s_cmp_eq_u32 s17, 15
	s_mov_b64 s[0:1], -1
	s_cbranch_scc0 .LBB35_1057
; %bb.1056:
	global_store_short v[1:2], v3, off
	s_mov_b64 s[0:1], 0
.LBB35_1057:
	s_mov_b64 s[12:13], 0
.LBB35_1058:
	s_and_b64 vcc, exec, s[12:13]
	s_cbranch_vccz .LBB35_1061
; %bb.1059:
	s_cmp_lg_u32 s17, 11
	s_cselect_b64 s[12:13], -1, 0
	s_andn2_b64 s[0:1], s[0:1], exec
	s_and_b64 s[12:13], s[12:13], exec
	s_mov_b64 s[6:7], -1
	s_or_b64 s[0:1], s[0:1], s[12:13]
	s_branch .LBB35_1061
.LBB35_1060:
	s_mov_b64 s[6:7], 0
.LBB35_1061:
	s_andn2_b64 s[12:13], s[54:55], exec
	s_and_b64 s[0:1], s[0:1], exec
	s_and_b64 s[2:3], s[2:3], exec
	;; [unrolled: 1-line block ×3, first 2 shown]
	s_or_b64 s[54:55], s[12:13], s[0:1]
	s_or_b64 exec, exec, s[10:11]
	s_and_saveexec_b64 s[0:1], s[54:55]
	s_cbranch_execz .LBB35_1000
.LBB35_1062:
	s_or_b64 s[8:9], s[8:9], exec
	s_andn2_b64 s[6:7], s[6:7], exec
	s_trap 2
	s_or_b64 exec, exec, s[0:1]
	s_and_saveexec_b64 s[0:1], s[6:7]
	s_xor_b64 s[0:1], exec, s[0:1]
	s_cbranch_execnz .LBB35_1001
.LBB35_1063:
	s_or_b64 exec, exec, s[0:1]
	s_and_saveexec_b64 s[0:1], s[2:3]
	s_xor_b64 s[0:1], exec, s[0:1]
	s_cbranch_execz .LBB35_1101
.LBB35_1064:
	s_sext_i32_i16 s6, s16
	s_cmp_lt_i32 s6, 5
	s_mov_b64 s[2:3], -1
	s_cbranch_scc1 .LBB35_1085
; %bb.1065:
	s_cmp_lt_i32 s6, 8
	s_cbranch_scc1 .LBB35_1075
; %bb.1066:
	s_cmp_lt_i32 s6, 9
	s_cbranch_scc1 .LBB35_1072
; %bb.1067:
	s_cmp_gt_i32 s6, 9
	s_cbranch_scc0 .LBB35_1069
; %bb.1068:
	s_waitcnt vmcnt(0)
	v_lshlrev_b32_e32 v0, 16, v3
	v_cvt_f64_f32_e32 v[4:5], v0
	v_mov_b32_e32 v6, 0
	v_mov_b32_e32 v7, v6
	s_mov_b64 s[2:3], 0
	global_store_dwordx4 v[1:2], v[4:7], off
.LBB35_1069:
	s_andn2_b64 vcc, exec, s[2:3]
	s_cbranch_vccnz .LBB35_1071
; %bb.1070:
	s_waitcnt vmcnt(0)
	v_lshlrev_b32_e32 v4, 16, v3
	v_mov_b32_e32 v5, 0
	global_store_dwordx2 v[1:2], v[4:5], off
.LBB35_1071:
	s_mov_b64 s[2:3], 0
.LBB35_1072:
	s_andn2_b64 vcc, exec, s[2:3]
	s_cbranch_vccnz .LBB35_1074
; %bb.1073:
	s_waitcnt vmcnt(0)
	v_lshlrev_b32_e32 v0, 16, v3
	v_cvt_f16_f32_e32 v0, v0
	global_store_dword v[1:2], v0, off
.LBB35_1074:
	s_mov_b64 s[2:3], 0
.LBB35_1075:
	s_andn2_b64 vcc, exec, s[2:3]
	s_cbranch_vccnz .LBB35_1084
; %bb.1076:
	s_sext_i32_i16 s6, s16
	s_cmp_lt_i32 s6, 6
	s_mov_b64 s[2:3], -1
	s_cbranch_scc1 .LBB35_1082
; %bb.1077:
	s_cmp_gt_i32 s6, 6
	s_cbranch_scc0 .LBB35_1079
; %bb.1078:
	s_waitcnt vmcnt(0)
	v_lshlrev_b32_e32 v0, 16, v3
	v_cvt_f64_f32_e32 v[4:5], v0
	s_mov_b64 s[2:3], 0
	global_store_dwordx2 v[1:2], v[4:5], off
.LBB35_1079:
	s_andn2_b64 vcc, exec, s[2:3]
	s_cbranch_vccnz .LBB35_1081
; %bb.1080:
	s_waitcnt vmcnt(0)
	v_lshlrev_b32_e32 v0, 16, v3
	global_store_dword v[1:2], v0, off
.LBB35_1081:
	s_mov_b64 s[2:3], 0
.LBB35_1082:
	s_andn2_b64 vcc, exec, s[2:3]
	s_cbranch_vccnz .LBB35_1084
; %bb.1083:
	s_waitcnt vmcnt(0)
	v_lshlrev_b32_e32 v0, 16, v3
	v_cvt_f16_f32_e32 v0, v0
	global_store_short v[1:2], v0, off
.LBB35_1084:
	s_mov_b64 s[2:3], 0
.LBB35_1085:
	s_andn2_b64 vcc, exec, s[2:3]
	s_cbranch_vccnz .LBB35_1101
; %bb.1086:
	s_sext_i32_i16 s6, s16
	s_cmp_lt_i32 s6, 2
	s_mov_b64 s[2:3], -1
	s_cbranch_scc1 .LBB35_1096
; %bb.1087:
	s_cmp_lt_i32 s6, 3
	s_cbranch_scc1 .LBB35_1093
; %bb.1088:
	s_cmp_gt_i32 s6, 3
	s_cbranch_scc0 .LBB35_1090
; %bb.1089:
	s_waitcnt vmcnt(0)
	v_lshlrev_b32_e32 v0, 16, v3
	v_trunc_f32_e32 v0, v0
	s_mov_b32 s2, 0x2f800000
	v_mul_f32_e64 v4, |v0|, s2
	v_floor_f32_e32 v4, v4
	s_mov_b32 s2, 0xcf800000
	v_cvt_u32_f32_e32 v5, v4
	v_fma_f32 v4, v4, s2, |v0|
	v_cvt_u32_f32_e32 v4, v4
	v_ashrrev_i32_e32 v0, 31, v0
	v_xor_b32_e32 v5, v5, v0
	s_mov_b64 s[2:3], 0
	v_xor_b32_e32 v4, v4, v0
	v_sub_co_u32_e32 v4, vcc, v4, v0
	v_subb_co_u32_e32 v5, vcc, v5, v0, vcc
	global_store_dwordx2 v[1:2], v[4:5], off
.LBB35_1090:
	s_andn2_b64 vcc, exec, s[2:3]
	s_cbranch_vccnz .LBB35_1092
; %bb.1091:
	s_waitcnt vmcnt(0)
	v_lshlrev_b32_e32 v0, 16, v3
	v_cvt_i32_f32_e32 v0, v0
	global_store_dword v[1:2], v0, off
.LBB35_1092:
	s_mov_b64 s[2:3], 0
.LBB35_1093:
	s_andn2_b64 vcc, exec, s[2:3]
	s_cbranch_vccnz .LBB35_1095
; %bb.1094:
	s_waitcnt vmcnt(0)
	v_lshlrev_b32_e32 v0, 16, v3
	v_cvt_i32_f32_e32 v0, v0
	global_store_short v[1:2], v0, off
.LBB35_1095:
	s_mov_b64 s[2:3], 0
.LBB35_1096:
	s_andn2_b64 vcc, exec, s[2:3]
	s_cbranch_vccnz .LBB35_1101
; %bb.1097:
	s_sext_i32_i16 s2, s16
	s_cmp_gt_i32 s2, 0
	s_mov_b64 s[2:3], -1
	s_cbranch_scc0 .LBB35_1099
; %bb.1098:
	s_waitcnt vmcnt(0)
	v_lshlrev_b32_e32 v0, 16, v3
	v_cvt_i32_f32_e32 v0, v0
	s_mov_b64 s[2:3], 0
	global_store_byte v[1:2], v0, off
.LBB35_1099:
	s_andn2_b64 vcc, exec, s[2:3]
	s_cbranch_vccnz .LBB35_1101
; %bb.1100:
	s_waitcnt vmcnt(0)
	v_lshlrev_b32_e32 v0, 16, v3
	v_trunc_f32_e32 v0, v0
	s_mov_b32 s2, 0x2f800000
	v_mul_f32_e64 v3, |v0|, s2
	v_floor_f32_e32 v3, v3
	s_mov_b32 s2, 0xcf800000
	v_fma_f32 v3, v3, s2, |v0|
	v_cvt_u32_f32_e32 v3, v3
	v_ashrrev_i32_e32 v0, 31, v0
	v_xor_b32_e32 v3, v3, v0
	v_sub_u32_e32 v0, v3, v0
	global_store_byte v[1:2], v0, off
.LBB35_1101:
	s_or_b64 exec, exec, s[0:1]
	s_and_b64 s[6:7], s[8:9], exec
                                        ; implicit-def: $vgpr15
                                        ; implicit-def: $vgpr8
.LBB35_1102:
	s_waitcnt lgkmcnt(0)
	s_or_saveexec_b64 s[28:29], s[44:45]
	s_mov_b64 s[0:1], 0
                                        ; implicit-def: $vgpr0_vgpr1
                                        ; implicit-def: $sgpr16
                                        ; implicit-def: $vgpr2
	s_xor_b64 exec, exec, s[28:29]
	s_cbranch_execz .LBB35_2122
; %bb.1103:
	v_cndmask_b32_e64 v0, 0, 1, s[42:43]
	v_cmp_ne_u32_e64 s[0:1], 1, v0
	s_andn2_b64 vcc, exec, s[42:43]
	s_cbranch_vccnz .LBB35_1109
; %bb.1104:
	s_cmp_lg_u32 s33, 0
	s_mov_b32 s36, 0
	s_cbranch_scc0 .LBB35_1110
; %bb.1105:
	s_min_u32 s37, s72, 15
	s_add_i32 s37, s37, 1
	s_cmp_eq_u32 s72, 2
	s_cbranch_scc1 .LBB35_1111
; %bb.1106:
	s_and_b32 s36, s37, 28
	s_add_u32 s2, s34, 0xc4
	s_addc_u32 s3, s35, 0
	v_mov_b32_e32 v13, 0
	s_mov_b32 s38, 0
	s_mov_b64 s[30:31], s[34:35]
	v_mov_b32_e32 v6, 0
	v_mov_b32_e32 v0, v8
.LBB35_1107:                            ; =>This Inner Loop Header: Depth=1
	s_load_dwordx8 s[16:23], s[30:31], 0x4
	s_load_dwordx4 s[24:27], s[30:31], 0x24
	s_load_dwordx8 s[8:15], s[2:3], 0x0
	s_add_u32 s30, s30, 48
	s_addc_u32 s31, s31, 0
	s_waitcnt lgkmcnt(0)
	v_mul_hi_u32 v1, s17, v0
	s_add_i32 s38, s38, 4
	s_add_u32 s2, s2, 32
	s_addc_u32 s3, s3, 0
	v_add_u32_e32 v1, v0, v1
	v_lshrrev_b32_e32 v1, s18, v1
	v_mul_lo_u32 v2, v1, s16
	s_waitcnt vmcnt(0)
	v_mul_hi_u32 v3, s20, v1
	s_cmp_lg_u32 s36, s38
	v_sub_u32_e32 v0, v0, v2
	v_add_u32_e32 v2, v1, v3
	v_mul_lo_u32 v3, v0, s8
	v_mul_lo_u32 v4, v0, s9
	v_lshrrev_b32_e32 v0, s21, v2
	v_mul_lo_u32 v2, v0, s19
	v_mul_hi_u32 v5, s23, v0
	v_sub_u32_e32 v1, v1, v2
	v_add_u32_e32 v2, v0, v5
	v_lshrrev_b32_e32 v2, s24, v2
	v_mul_hi_u32 v7, s26, v2
	v_mul_lo_u32 v9, v2, s22
	v_mul_lo_u32 v5, v1, s10
	;; [unrolled: 1-line block ×3, first 2 shown]
	v_sub_u32_e32 v9, v0, v9
	v_add_u32_e32 v0, v2, v7
	v_lshrrev_b32_e32 v0, s27, v0
	v_mul_lo_u32 v7, v0, s25
	v_mul_lo_u32 v10, v9, s12
	;; [unrolled: 1-line block ×3, first 2 shown]
	v_add3_u32 v3, v3, v6, v5
	v_sub_u32_e32 v2, v2, v7
	v_mul_lo_u32 v7, v2, s14
	v_mul_lo_u32 v2, v2, s15
	v_add3_u32 v1, v4, v13, v1
	v_add3_u32 v6, v10, v3, v7
	;; [unrolled: 1-line block ×3, first 2 shown]
	s_cbranch_scc1 .LBB35_1107
; %bb.1108:
	s_and_b32 s10, s37, 3
	s_cmp_eq_u32 s10, 0
	s_cbranch_scc0 .LBB35_1112
	s_branch .LBB35_1114
.LBB35_1109:
                                        ; implicit-def: $vgpr6
                                        ; implicit-def: $vgpr13
	s_branch .LBB35_1115
.LBB35_1110:
	v_mov_b32_e32 v6, 0
	v_mov_b32_e32 v13, 0
	s_branch .LBB35_1114
.LBB35_1111:
	v_mov_b32_e32 v6, 0
	v_mov_b32_e32 v13, 0
	;; [unrolled: 1-line block ×3, first 2 shown]
	s_and_b32 s10, s37, 3
	s_cmp_eq_u32 s10, 0
	s_cbranch_scc1 .LBB35_1114
.LBB35_1112:
	s_lshl_b32 s2, s36, 3
	s_add_u32 s2, s34, s2
	s_addc_u32 s3, s35, 0
	s_add_u32 s2, s2, 0xc4
	s_addc_u32 s3, s3, 0
	s_mul_i32 s8, s36, 12
	s_add_u32 s8, s34, s8
	s_addc_u32 s9, s35, 0
.LBB35_1113:                            ; =>This Inner Loop Header: Depth=1
	s_load_dwordx2 s[12:13], s[8:9], 0x4
	s_load_dword s11, s[8:9], 0xc
	s_load_dwordx2 s[14:15], s[2:3], 0x0
	s_add_u32 s8, s8, 12
	s_addc_u32 s9, s9, 0
	s_waitcnt lgkmcnt(0)
	v_mul_hi_u32 v1, s13, v0
	s_add_u32 s2, s2, 8
	s_addc_u32 s3, s3, 0
	s_add_i32 s10, s10, -1
	v_add_u32_e32 v1, v0, v1
	v_lshrrev_b32_e32 v1, s11, v1
	v_mul_lo_u32 v2, v1, s12
	s_cmp_lg_u32 s10, 0
	v_sub_u32_e32 v0, v0, v2
	v_mad_u64_u32 v[6:7], s[12:13], v0, s14, v[6:7]
	v_mad_u64_u32 v[13:14], s[12:13], v0, s15, v[13:14]
	v_mov_b32_e32 v0, v1
	s_cbranch_scc1 .LBB35_1113
.LBB35_1114:
	s_cbranch_execnz .LBB35_1117
.LBB35_1115:
	s_load_dwordx4 s[8:11], s[34:35], 0x4
	s_load_dwordx2 s[2:3], s[34:35], 0xc4
	s_cmp_lt_u32 s33, 2
	s_waitcnt lgkmcnt(0)
	v_mul_hi_u32 v0, s9, v8
	v_add_u32_e32 v0, v8, v0
	v_lshrrev_b32_e32 v0, s10, v0
	v_mul_lo_u32 v1, v0, s8
	v_sub_u32_e32 v1, v8, v1
	v_mul_lo_u32 v6, v1, s2
	v_mul_lo_u32 v13, v1, s3
	s_cbranch_scc1 .LBB35_1117
; %bb.1116:
	s_load_dwordx4 s[8:11], s[34:35], 0x10
	s_load_dwordx2 s[2:3], s[34:35], 0xcc
	s_waitcnt lgkmcnt(0)
	v_mul_hi_u32 v1, s9, v0
	v_add_u32_e32 v1, v0, v1
	v_lshrrev_b32_e32 v1, s10, v1
	v_mul_lo_u32 v1, v1, s8
	v_sub_u32_e32 v0, v0, v1
	v_mad_u64_u32 v[6:7], s[8:9], v0, s2, v[6:7]
	v_mad_u64_u32 v[13:14], s[2:3], v0, s3, v[13:14]
.LBB35_1117:
	s_and_b64 vcc, exec, s[0:1]
	v_add_u32_e32 v0, 0x80, v8
	s_cbranch_vccnz .LBB35_1123
; %bb.1118:
	s_cmp_lg_u32 s33, 0
	s_mov_b32 s36, 0
	s_cbranch_scc0 .LBB35_1124
; %bb.1119:
	s_min_u32 s37, s72, 15
	s_add_i32 s37, s37, 1
	s_cmp_eq_u32 s72, 2
	s_cbranch_scc1 .LBB35_1125
; %bb.1120:
	s_and_b32 s36, s37, 28
	s_add_u32 s2, s34, 0xc4
	s_addc_u32 s3, s35, 0
	v_mov_b32_e32 v11, 0
	s_mov_b32 s38, 0
	s_mov_b64 s[30:31], s[34:35]
	s_waitcnt vmcnt(0)
	v_mov_b32_e32 v4, 0
	v_mov_b32_e32 v1, v0
.LBB35_1121:                            ; =>This Inner Loop Header: Depth=1
	s_load_dwordx8 s[16:23], s[30:31], 0x4
	s_load_dwordx4 s[24:27], s[30:31], 0x24
	s_load_dwordx8 s[8:15], s[2:3], 0x0
	s_add_u32 s30, s30, 48
	s_addc_u32 s31, s31, 0
	s_waitcnt lgkmcnt(0)
	v_mul_hi_u32 v2, s17, v1
	s_add_i32 s38, s38, 4
	s_add_u32 s2, s2, 32
	s_addc_u32 s3, s3, 0
	v_add_u32_e32 v2, v1, v2
	v_lshrrev_b32_e32 v2, s18, v2
	v_mul_lo_u32 v3, v2, s16
	v_mul_hi_u32 v5, s20, v2
	s_cmp_lg_u32 s36, s38
	v_sub_u32_e32 v1, v1, v3
	v_add_u32_e32 v3, v2, v5
	v_mul_lo_u32 v5, v1, s8
	v_mul_lo_u32 v7, v1, s9
	v_lshrrev_b32_e32 v1, s21, v3
	v_mul_lo_u32 v3, v1, s19
	v_mul_hi_u32 v9, s23, v1
	v_sub_u32_e32 v2, v2, v3
	v_add_u32_e32 v3, v1, v9
	v_lshrrev_b32_e32 v3, s24, v3
	v_mul_hi_u32 v10, s26, v3
	v_mul_lo_u32 v12, v3, s22
	v_mul_lo_u32 v9, v2, s10
	;; [unrolled: 1-line block ×3, first 2 shown]
	v_sub_u32_e32 v12, v1, v12
	v_add_u32_e32 v1, v3, v10
	v_lshrrev_b32_e32 v1, s27, v1
	v_mul_lo_u32 v10, v1, s25
	v_mul_lo_u32 v14, v12, s12
	;; [unrolled: 1-line block ×3, first 2 shown]
	v_add3_u32 v4, v5, v4, v9
	v_sub_u32_e32 v3, v3, v10
	v_mul_lo_u32 v10, v3, s14
	v_mul_lo_u32 v3, v3, s15
	v_add3_u32 v2, v7, v11, v2
	v_add3_u32 v4, v14, v4, v10
	;; [unrolled: 1-line block ×3, first 2 shown]
	s_cbranch_scc1 .LBB35_1121
; %bb.1122:
	s_and_b32 s10, s37, 3
	s_cmp_eq_u32 s10, 0
	s_cbranch_scc0 .LBB35_1126
	s_branch .LBB35_1128
.LBB35_1123:
                                        ; implicit-def: $vgpr4
                                        ; implicit-def: $vgpr11
	s_branch .LBB35_1129
.LBB35_1124:
	s_waitcnt vmcnt(0)
	v_mov_b32_e32 v4, 0
	v_mov_b32_e32 v11, 0
	s_branch .LBB35_1128
.LBB35_1125:
	s_waitcnt vmcnt(0)
	v_mov_b32_e32 v4, 0
	v_mov_b32_e32 v11, 0
	;; [unrolled: 1-line block ×3, first 2 shown]
	s_and_b32 s10, s37, 3
	s_cmp_eq_u32 s10, 0
	s_cbranch_scc1 .LBB35_1128
.LBB35_1126:
	s_lshl_b32 s2, s36, 3
	s_add_u32 s2, s34, s2
	s_addc_u32 s3, s35, 0
	s_add_u32 s2, s2, 0xc4
	s_addc_u32 s3, s3, 0
	s_mul_i32 s8, s36, 12
	s_add_u32 s8, s34, s8
	s_addc_u32 s9, s35, 0
.LBB35_1127:                            ; =>This Inner Loop Header: Depth=1
	s_load_dwordx2 s[12:13], s[8:9], 0x4
	s_load_dword s11, s[8:9], 0xc
	s_load_dwordx2 s[14:15], s[2:3], 0x0
	s_add_u32 s8, s8, 12
	s_addc_u32 s9, s9, 0
	s_waitcnt lgkmcnt(0)
	v_mul_hi_u32 v2, s13, v1
	s_add_u32 s2, s2, 8
	s_addc_u32 s3, s3, 0
	s_add_i32 s10, s10, -1
	v_add_u32_e32 v2, v1, v2
	v_lshrrev_b32_e32 v2, s11, v2
	v_mul_lo_u32 v3, v2, s12
	s_cmp_lg_u32 s10, 0
	v_sub_u32_e32 v1, v1, v3
	v_mad_u64_u32 v[4:5], s[12:13], v1, s14, v[4:5]
	v_mad_u64_u32 v[11:12], s[12:13], v1, s15, v[11:12]
	v_mov_b32_e32 v1, v2
	s_cbranch_scc1 .LBB35_1127
.LBB35_1128:
	s_cbranch_execnz .LBB35_1131
.LBB35_1129:
	s_load_dwordx4 s[8:11], s[34:35], 0x4
	s_load_dwordx2 s[2:3], s[34:35], 0xc4
	s_cmp_lt_u32 s33, 2
	s_waitcnt lgkmcnt(0)
	v_mul_hi_u32 v1, s9, v0
	v_add_u32_e32 v1, v0, v1
	v_lshrrev_b32_e32 v1, s10, v1
	v_mul_lo_u32 v2, v1, s8
	v_sub_u32_e32 v0, v0, v2
	s_waitcnt vmcnt(0)
	v_mul_lo_u32 v4, v0, s2
	v_mul_lo_u32 v11, v0, s3
	s_cbranch_scc1 .LBB35_1131
; %bb.1130:
	s_load_dwordx4 s[8:11], s[34:35], 0x10
	s_load_dwordx2 s[2:3], s[34:35], 0xcc
	s_waitcnt lgkmcnt(0)
	v_mul_hi_u32 v0, s9, v1
	v_add_u32_e32 v0, v1, v0
	v_lshrrev_b32_e32 v0, s10, v0
	v_mul_lo_u32 v0, v0, s8
	v_sub_u32_e32 v0, v1, v0
	v_mad_u64_u32 v[4:5], s[8:9], v0, s2, v[4:5]
	v_mad_u64_u32 v[11:12], s[2:3], v0, s3, v[11:12]
.LBB35_1131:
	s_and_b64 vcc, exec, s[0:1]
	v_add_u32_e32 v0, 0x100, v8
	s_cbranch_vccnz .LBB35_1137
; %bb.1132:
	s_cmp_lg_u32 s33, 0
	s_mov_b32 s36, 0
	s_cbranch_scc0 .LBB35_1138
; %bb.1133:
	s_min_u32 s37, s72, 15
	s_add_i32 s37, s37, 1
	s_cmp_eq_u32 s72, 2
	s_cbranch_scc1 .LBB35_1139
; %bb.1134:
	s_and_b32 s36, s37, 28
	s_add_u32 s2, s34, 0xc4
	s_addc_u32 s3, s35, 0
	v_mov_b32_e32 v9, 0
	s_mov_b32 s38, 0
	s_mov_b64 s[30:31], s[34:35]
	v_mov_b32_e32 v2, 0
	v_mov_b32_e32 v1, v0
.LBB35_1135:                            ; =>This Inner Loop Header: Depth=1
	s_load_dwordx8 s[16:23], s[30:31], 0x4
	s_load_dwordx4 s[24:27], s[30:31], 0x24
	s_load_dwordx8 s[8:15], s[2:3], 0x0
	s_add_u32 s30, s30, 48
	s_addc_u32 s31, s31, 0
	s_waitcnt vmcnt(0) lgkmcnt(0)
	v_mul_hi_u32 v3, s17, v1
	s_add_i32 s38, s38, 4
	s_add_u32 s2, s2, 32
	s_addc_u32 s3, s3, 0
	v_add_u32_e32 v3, v1, v3
	v_lshrrev_b32_e32 v3, s18, v3
	v_mul_lo_u32 v5, v3, s16
	v_mul_hi_u32 v7, s20, v3
	s_cmp_lg_u32 s36, s38
	v_sub_u32_e32 v1, v1, v5
	v_add_u32_e32 v5, v3, v7
	v_mul_lo_u32 v7, v1, s8
	v_mul_lo_u32 v8, v1, s9
	v_lshrrev_b32_e32 v1, s21, v5
	v_mul_lo_u32 v5, v1, s19
	v_mul_hi_u32 v10, s23, v1
	v_sub_u32_e32 v3, v3, v5
	v_add_u32_e32 v5, v1, v10
	v_lshrrev_b32_e32 v5, s24, v5
	v_mul_hi_u32 v12, s26, v5
	v_mul_lo_u32 v14, v5, s22
	v_mul_lo_u32 v10, v3, s10
	;; [unrolled: 1-line block ×3, first 2 shown]
	v_sub_u32_e32 v14, v1, v14
	v_add_u32_e32 v1, v5, v12
	v_lshrrev_b32_e32 v1, s27, v1
	v_mul_lo_u32 v12, v1, s25
	v_mul_lo_u32 v16, v14, s12
	;; [unrolled: 1-line block ×3, first 2 shown]
	v_add3_u32 v2, v7, v2, v10
	v_sub_u32_e32 v5, v5, v12
	v_mul_lo_u32 v12, v5, s14
	v_mul_lo_u32 v5, v5, s15
	v_add3_u32 v3, v8, v9, v3
	v_add3_u32 v2, v16, v2, v12
	;; [unrolled: 1-line block ×3, first 2 shown]
	s_cbranch_scc1 .LBB35_1135
; %bb.1136:
	s_and_b32 s10, s37, 3
	s_cmp_eq_u32 s10, 0
	s_cbranch_scc0 .LBB35_1140
	s_branch .LBB35_1142
.LBB35_1137:
                                        ; implicit-def: $vgpr2
                                        ; implicit-def: $vgpr9
	s_branch .LBB35_1143
.LBB35_1138:
	v_mov_b32_e32 v2, 0
	v_mov_b32_e32 v9, 0
	s_branch .LBB35_1142
.LBB35_1139:
	v_mov_b32_e32 v2, 0
	v_mov_b32_e32 v9, 0
	;; [unrolled: 1-line block ×3, first 2 shown]
	s_and_b32 s10, s37, 3
	s_cmp_eq_u32 s10, 0
	s_cbranch_scc1 .LBB35_1142
.LBB35_1140:
	s_lshl_b32 s2, s36, 3
	s_add_u32 s2, s34, s2
	s_addc_u32 s3, s35, 0
	s_add_u32 s2, s2, 0xc4
	s_addc_u32 s3, s3, 0
	s_mul_i32 s8, s36, 12
	s_add_u32 s8, s34, s8
	s_addc_u32 s9, s35, 0
.LBB35_1141:                            ; =>This Inner Loop Header: Depth=1
	s_load_dwordx2 s[12:13], s[8:9], 0x4
	s_load_dword s11, s[8:9], 0xc
	s_load_dwordx2 s[14:15], s[2:3], 0x0
	s_add_u32 s8, s8, 12
	s_addc_u32 s9, s9, 0
	s_waitcnt vmcnt(0) lgkmcnt(0)
	v_mul_hi_u32 v3, s13, v1
	s_add_u32 s2, s2, 8
	s_addc_u32 s3, s3, 0
	s_add_i32 s10, s10, -1
	v_add_u32_e32 v3, v1, v3
	v_lshrrev_b32_e32 v5, s11, v3
	v_mul_lo_u32 v3, v5, s12
	s_cmp_lg_u32 s10, 0
	v_sub_u32_e32 v1, v1, v3
	v_mad_u64_u32 v[2:3], s[12:13], v1, s14, v[2:3]
	v_mad_u64_u32 v[9:10], s[12:13], v1, s15, v[9:10]
	v_mov_b32_e32 v1, v5
	s_cbranch_scc1 .LBB35_1141
.LBB35_1142:
	s_cbranch_execnz .LBB35_1145
.LBB35_1143:
	s_load_dwordx4 s[8:11], s[34:35], 0x4
	s_load_dwordx2 s[2:3], s[34:35], 0xc4
	s_cmp_lt_u32 s33, 2
	s_waitcnt lgkmcnt(0)
	v_mul_hi_u32 v1, s9, v0
	v_add_u32_e32 v1, v0, v1
	v_lshrrev_b32_e32 v1, s10, v1
	v_mul_lo_u32 v2, v1, s8
	v_sub_u32_e32 v0, v0, v2
	v_mul_lo_u32 v2, v0, s2
	v_mul_lo_u32 v9, v0, s3
	s_cbranch_scc1 .LBB35_1145
; %bb.1144:
	s_load_dwordx4 s[8:11], s[34:35], 0x10
	s_load_dwordx2 s[2:3], s[34:35], 0xcc
	s_waitcnt lgkmcnt(0)
	v_mul_hi_u32 v0, s9, v1
	v_add_u32_e32 v0, v1, v0
	v_lshrrev_b32_e32 v0, s10, v0
	v_mul_lo_u32 v0, v0, s8
	v_sub_u32_e32 v0, v1, v0
	s_waitcnt vmcnt(0)
	v_mad_u64_u32 v[2:3], s[8:9], v0, s2, v[2:3]
	v_mad_u64_u32 v[9:10], s[2:3], v0, s3, v[9:10]
.LBB35_1145:
	s_and_b64 vcc, exec, s[0:1]
	s_cbranch_vccnz .LBB35_1151
; %bb.1146:
	s_cmp_lg_u32 s33, 0
	s_mov_b32 s30, 0
	s_cbranch_scc0 .LBB35_1152
; %bb.1147:
	s_min_u32 s31, s72, 15
	s_add_i32 s31, s31, 1
	s_cmp_eq_u32 s72, 2
	s_cbranch_scc1 .LBB35_1153
; %bb.1148:
	s_and_b32 s30, s31, 28
	s_add_u32 s24, s34, 0xc4
	s_addc_u32 s25, s35, 0
	v_mov_b32_e32 v7, 0
	s_mov_b32 s36, 0
	s_mov_b64 s[26:27], s[34:35]
	v_mov_b32_e32 v0, 0
	v_mov_b32_e32 v1, v15
.LBB35_1149:                            ; =>This Inner Loop Header: Depth=1
	s_load_dwordx8 s[16:23], s[26:27], 0x4
	s_load_dwordx4 s[0:3], s[26:27], 0x24
	s_load_dwordx8 s[8:15], s[24:25], 0x0
	s_add_u32 s26, s26, 48
	s_addc_u32 s27, s27, 0
	s_waitcnt vmcnt(0) lgkmcnt(0)
	v_mul_hi_u32 v3, s17, v1
	s_add_i32 s36, s36, 4
	s_add_u32 s24, s24, 32
	s_addc_u32 s25, s25, 0
	v_add_u32_e32 v3, v1, v3
	v_lshrrev_b32_e32 v3, s18, v3
	v_mul_lo_u32 v5, v3, s16
	v_mul_hi_u32 v8, s20, v3
	s_cmp_lg_u32 s30, s36
	v_sub_u32_e32 v1, v1, v5
	v_add_u32_e32 v5, v3, v8
	v_mul_lo_u32 v8, v1, s8
	v_mul_lo_u32 v10, v1, s9
	v_lshrrev_b32_e32 v1, s21, v5
	v_mul_lo_u32 v5, v1, s19
	v_mul_hi_u32 v12, s23, v1
	v_sub_u32_e32 v3, v3, v5
	v_add_u32_e32 v5, v1, v12
	v_lshrrev_b32_e32 v5, s0, v5
	v_mul_hi_u32 v14, s2, v5
	v_mul_lo_u32 v16, v5, s22
	v_mul_lo_u32 v12, v3, s10
	;; [unrolled: 1-line block ×3, first 2 shown]
	v_sub_u32_e32 v16, v1, v16
	v_add_u32_e32 v1, v5, v14
	v_lshrrev_b32_e32 v1, s3, v1
	v_mul_lo_u32 v14, v1, s1
	v_mul_lo_u32 v17, v16, s12
	;; [unrolled: 1-line block ×3, first 2 shown]
	v_add3_u32 v0, v8, v0, v12
	v_sub_u32_e32 v5, v5, v14
	v_mul_lo_u32 v14, v5, s14
	v_mul_lo_u32 v5, v5, s15
	v_add3_u32 v3, v10, v7, v3
	v_add3_u32 v0, v17, v0, v14
	;; [unrolled: 1-line block ×3, first 2 shown]
	s_cbranch_scc1 .LBB35_1149
; %bb.1150:
	s_and_b32 s8, s31, 3
	s_cmp_eq_u32 s8, 0
	s_cbranch_scc0 .LBB35_1154
	s_branch .LBB35_1156
.LBB35_1151:
                                        ; implicit-def: $vgpr0
                                        ; implicit-def: $vgpr7
	s_branch .LBB35_1157
.LBB35_1152:
	v_mov_b32_e32 v0, 0
	v_mov_b32_e32 v7, 0
	s_branch .LBB35_1156
.LBB35_1153:
	v_mov_b32_e32 v0, 0
	v_mov_b32_e32 v7, 0
	;; [unrolled: 1-line block ×3, first 2 shown]
	s_and_b32 s8, s31, 3
	s_cmp_eq_u32 s8, 0
	s_cbranch_scc1 .LBB35_1156
.LBB35_1154:
	s_lshl_b32 s0, s30, 3
	s_add_u32 s0, s34, s0
	s_addc_u32 s1, s35, 0
	s_add_u32 s0, s0, 0xc4
	s_addc_u32 s1, s1, 0
	s_mul_i32 s2, s30, 12
	s_add_u32 s2, s34, s2
	s_addc_u32 s3, s35, 0
.LBB35_1155:                            ; =>This Inner Loop Header: Depth=1
	s_load_dwordx2 s[10:11], s[2:3], 0x4
	s_load_dword s9, s[2:3], 0xc
	s_load_dwordx2 s[12:13], s[0:1], 0x0
	s_add_u32 s2, s2, 12
	s_addc_u32 s3, s3, 0
	s_waitcnt vmcnt(0) lgkmcnt(0)
	v_mul_hi_u32 v3, s11, v1
	s_add_u32 s0, s0, 8
	s_addc_u32 s1, s1, 0
	s_add_i32 s8, s8, -1
	v_add_u32_e32 v3, v1, v3
	v_lshrrev_b32_e32 v3, s9, v3
	v_mul_lo_u32 v5, v3, s10
	s_cmp_lg_u32 s8, 0
	v_sub_u32_e32 v5, v1, v5
	v_mad_u64_u32 v[0:1], s[10:11], v5, s12, v[0:1]
	v_mad_u64_u32 v[7:8], s[10:11], v5, s13, v[7:8]
	v_mov_b32_e32 v1, v3
	s_cbranch_scc1 .LBB35_1155
.LBB35_1156:
	s_cbranch_execnz .LBB35_1159
.LBB35_1157:
	s_load_dwordx4 s[0:3], s[34:35], 0x4
	s_load_dwordx2 s[8:9], s[34:35], 0xc4
	s_cmp_lt_u32 s33, 2
	s_waitcnt lgkmcnt(0)
	v_mul_hi_u32 v0, s1, v15
	v_add_u32_e32 v0, v15, v0
	v_lshrrev_b32_e32 v1, s2, v0
	v_mul_lo_u32 v0, v1, s0
	s_waitcnt vmcnt(0)
	v_sub_u32_e32 v3, v15, v0
	v_mul_lo_u32 v0, v3, s8
	v_mul_lo_u32 v7, v3, s9
	s_cbranch_scc1 .LBB35_1159
; %bb.1158:
	s_load_dwordx4 s[0:3], s[34:35], 0x10
	s_load_dwordx2 s[8:9], s[34:35], 0xcc
	s_waitcnt lgkmcnt(0)
	v_mul_hi_u32 v3, s1, v1
	v_add_u32_e32 v3, v1, v3
	v_lshrrev_b32_e32 v3, s2, v3
	v_mul_lo_u32 v3, v3, s0
	v_sub_u32_e32 v3, v1, v3
	v_mad_u64_u32 v[0:1], s[0:1], v3, s8, v[0:1]
	v_mad_u64_u32 v[7:8], s[0:1], v3, s9, v[7:8]
.LBB35_1159:
	s_load_dwordx4 s[8:11], s[34:35], 0x148
	s_load_dword s18, s[4:5], 0x160
	s_waitcnt lgkmcnt(0)
	v_mov_b32_e32 v1, s11
	s_bfe_u32 s16, s18, 0x80010
	v_add_co_u32_e32 v12, vcc, s10, v13
	s_cmp_lt_i32 s16, 11
	v_addc_co_u32_e32 v13, vcc, 0, v1, vcc
	s_cbranch_scc1 .LBB35_1166
; %bb.1160:
	s_and_b32 s17, 0xffff, s16
	s_cmp_gt_i32 s17, 25
	s_mov_b64 s[2:3], 0
	s_cbranch_scc0 .LBB35_1168
; %bb.1161:
	s_cmp_gt_i32 s17, 28
	s_cbranch_scc0 .LBB35_1169
; %bb.1162:
	s_cmp_gt_i32 s17, 43
	;; [unrolled: 3-line block ×3, first 2 shown]
	s_cbranch_scc0 .LBB35_1171
; %bb.1164:
	s_cmp_eq_u32 s17, 46
	s_mov_b64 s[12:13], 0
	s_cbranch_scc0 .LBB35_1174
; %bb.1165:
	global_load_dword v1, v[12:13], off
	s_mov_b64 s[0:1], 0
	s_mov_b64 s[4:5], -1
	s_branch .LBB35_1175
.LBB35_1166:
	s_mov_b64 s[4:5], 0
                                        ; implicit-def: $vgpr1
	s_mov_b64 s[12:13], s[6:7]
	s_cbranch_execnz .LBB35_1238
.LBB35_1167:
	s_andn2_b64 vcc, exec, s[4:5]
	s_cbranch_vccz .LBB35_1283
	s_branch .LBB35_2120
.LBB35_1168:
	s_mov_b64 s[4:5], 0
	s_mov_b64 s[0:1], 0
                                        ; implicit-def: $vgpr1
	s_cbranch_execnz .LBB35_1203
	s_branch .LBB35_1234
.LBB35_1169:
	s_mov_b64 s[12:13], -1
	s_mov_b64 s[4:5], 0
	s_mov_b64 s[0:1], 0
                                        ; implicit-def: $vgpr1
	s_branch .LBB35_1184
.LBB35_1170:
	s_mov_b64 s[4:5], 0
	s_mov_b64 s[0:1], 0
                                        ; implicit-def: $vgpr1
	s_cbranch_execnz .LBB35_1180
	s_branch .LBB35_1183
.LBB35_1171:
	s_mov_b64 s[12:13], -1
	s_mov_b64 s[4:5], 0
	s_mov_b64 s[0:1], 0
                                        ; implicit-def: $vgpr1
	s_branch .LBB35_1175
.LBB35_1172:
	s_andn2_saveexec_b64 s[12:13], s[12:13]
	s_cbranch_execz .LBB35_1015
.LBB35_1173:
	s_mov_b32 s14, 0x46000000
	v_add_f32_e64 v4, |v5|, s14
	v_and_b32_e32 v4, 0xff, v4
	v_cmp_ne_u32_e32 vcc, 0, v4
	s_andn2_b64 s[6:7], s[6:7], exec
	s_and_b64 s[14:15], vcc, exec
	s_or_b64 s[6:7], s[6:7], s[14:15]
	s_or_b64 exec, exec, s[12:13]
	v_mov_b32_e32 v6, 0
	s_and_saveexec_b64 s[12:13], s[6:7]
	s_cbranch_execnz .LBB35_1016
	s_branch .LBB35_1017
.LBB35_1174:
	s_mov_b64 s[0:1], -1
                                        ; implicit-def: $vgpr1
	s_mov_b64 s[4:5], 0
.LBB35_1175:
	s_and_b64 vcc, exec, s[12:13]
	s_cbranch_vccz .LBB35_1178
; %bb.1176:
	s_cmp_eq_u32 s17, 44
	s_cbranch_scc0 .LBB35_1179
; %bb.1177:
	global_load_ubyte v1, v[12:13], off
	s_movk_i32 s4, 0xff
	s_waitcnt vmcnt(1)
	v_mov_b32_e32 v3, 0x7f800001
	v_mov_b32_e32 v5, 0x400000
	;; [unrolled: 1-line block ×3, first 2 shown]
	s_mov_b64 s[0:1], 0
	s_waitcnt vmcnt(0)
	v_lshlrev_b32_e32 v10, 23, v1
	v_cmp_ne_u32_e32 vcc, s4, v1
	v_cndmask_b32_e32 v3, v3, v10, vcc
	v_cmp_ne_u32_e32 vcc, 0, v1
	v_cndmask_b32_e32 v1, v5, v3, vcc
	v_add_u32_e32 v3, 0x7fff, v1
	v_cmp_o_f32_e32 vcc, v1, v1
	v_cndmask_b32_sdwa v1, v8, v3, vcc dst_sel:DWORD dst_unused:UNUSED_PAD src0_sel:DWORD src1_sel:WORD_1
	s_mov_b64 s[4:5], -1
.LBB35_1178:
	s_branch .LBB35_1183
.LBB35_1179:
	s_mov_b64 s[0:1], -1
                                        ; implicit-def: $vgpr1
	s_branch .LBB35_1183
.LBB35_1180:
	s_cmp_eq_u32 s17, 29
	s_cbranch_scc0 .LBB35_1182
; %bb.1181:
	global_load_dwordx2 v[14:15], v[12:13], off
	s_movk_i32 s4, 0x7fff
	s_mov_b64 s[0:1], 0
	s_mov_b64 s[12:13], 0
	s_waitcnt vmcnt(0)
	v_ffbh_u32_e32 v1, v15
	v_min_u32_e32 v1, 32, v1
	v_lshlrev_b64 v[14:15], v1, v[14:15]
	v_sub_u32_e32 v1, 32, v1
	v_min_u32_e32 v3, 1, v14
	v_or_b32_e32 v3, v15, v3
	v_cvt_f32_u32_e32 v3, v3
	v_ldexp_f32 v1, v3, v1
	v_bfe_u32 v3, v1, 16, 1
	v_add3_u32 v1, v1, v3, s4
	v_lshrrev_b32_e32 v1, 16, v1
	s_mov_b64 s[4:5], -1
	s_branch .LBB35_1184
.LBB35_1182:
	s_mov_b64 s[0:1], -1
                                        ; implicit-def: $vgpr1
.LBB35_1183:
	s_mov_b64 s[12:13], 0
.LBB35_1184:
	s_and_b64 vcc, exec, s[12:13]
	s_cbranch_vccz .LBB35_1202
; %bb.1185:
	s_cmp_lt_i32 s17, 27
	s_cbranch_scc1 .LBB35_1188
; %bb.1186:
	s_cmp_gt_i32 s17, 27
	s_cbranch_scc0 .LBB35_1189
; %bb.1187:
	global_load_dword v1, v[12:13], off
	s_movk_i32 s4, 0x7fff
	s_waitcnt vmcnt(0)
	v_cvt_f32_u32_e32 v1, v1
	v_bfe_u32 v3, v1, 16, 1
	v_add3_u32 v1, v1, v3, s4
	v_lshrrev_b32_e32 v1, 16, v1
	s_mov_b64 s[4:5], 0
	s_branch .LBB35_1190
.LBB35_1188:
	s_mov_b64 s[4:5], -1
                                        ; implicit-def: $vgpr1
	s_branch .LBB35_1193
.LBB35_1189:
	s_mov_b64 s[4:5], -1
                                        ; implicit-def: $vgpr1
.LBB35_1190:
	s_andn2_b64 vcc, exec, s[4:5]
	s_cbranch_vccnz .LBB35_1192
; %bb.1191:
	global_load_ushort v1, v[12:13], off
	s_movk_i32 s4, 0x7fff
	s_waitcnt vmcnt(0)
	v_cvt_f32_u32_e32 v1, v1
	v_bfe_u32 v3, v1, 16, 1
	v_add3_u32 v1, v1, v3, s4
	v_lshrrev_b32_e32 v1, 16, v1
.LBB35_1192:
	s_mov_b64 s[4:5], 0
.LBB35_1193:
	s_andn2_b64 vcc, exec, s[4:5]
	s_cbranch_vccnz .LBB35_1201
; %bb.1194:
	global_load_ubyte v1, v[12:13], off
	s_movk_i32 s4, 0x7f
	s_waitcnt vmcnt(0)
	v_cmp_lt_i16_e32 vcc, s4, v1
	s_mov_b64 s[4:5], 0
	s_and_saveexec_b64 s[12:13], vcc
	s_xor_b64 s[12:13], exec, s[12:13]
	s_cbranch_execz .LBB35_1214
; %bb.1195:
	s_movk_i32 s4, 0x80
	v_cmp_eq_u16_e32 vcc, s4, v1
	s_mov_b64 s[4:5], -1
	s_and_saveexec_b64 s[14:15], vcc
; %bb.1196:
	s_xor_b64 s[4:5], exec, -1
; %bb.1197:
	s_or_b64 exec, exec, s[14:15]
	s_and_b64 s[4:5], s[4:5], exec
	s_or_saveexec_b64 s[12:13], s[12:13]
	v_mov_b32_e32 v3, 0x7f800001
	s_xor_b64 exec, exec, s[12:13]
	s_cbranch_execnz .LBB35_1215
.LBB35_1198:
	s_or_b64 exec, exec, s[12:13]
	s_and_saveexec_b64 s[12:13], s[4:5]
	s_cbranch_execz .LBB35_1200
.LBB35_1199:
	v_lshlrev_b32_e32 v3, 24, v1
	v_and_b32_e32 v1, 0xffff, v1
	v_and_b32_e32 v5, 7, v1
	v_ffbh_u32_e32 v10, v5
	v_min_u32_e32 v10, 32, v10
	v_subrev_u32_e32 v14, 28, v10
	v_bfe_u32 v8, v1, 3, 4
	v_lshlrev_b32_e32 v1, v14, v1
	v_sub_u32_e32 v10, 29, v10
	v_and_b32_e32 v1, 7, v1
	v_cmp_eq_u32_e32 vcc, 0, v8
	v_cndmask_b32_e32 v8, v8, v10, vcc
	v_cndmask_b32_e32 v1, v5, v1, vcc
	v_mov_b32_e32 v5, 0x3b800000
	v_lshlrev_b32_e32 v1, 20, v1
	v_and_b32_e32 v3, 0x80000000, v3
	v_lshl_add_u32 v5, v8, 23, v5
	v_or3_b32 v3, v3, v5, v1
.LBB35_1200:
	s_or_b64 exec, exec, s[12:13]
	v_bfe_u32 v1, v3, 16, 1
	s_movk_i32 s4, 0x7fff
	v_add3_u32 v1, v3, v1, s4
	v_cmp_o_f32_e32 vcc, v3, v3
	v_mov_b32_e32 v3, 0x7fc0
	v_cndmask_b32_sdwa v1, v3, v1, vcc dst_sel:DWORD dst_unused:UNUSED_PAD src0_sel:DWORD src1_sel:WORD_1
.LBB35_1201:
	s_mov_b64 s[4:5], -1
.LBB35_1202:
	s_branch .LBB35_1234
.LBB35_1203:
	s_cmp_gt_i32 s17, 22
	s_cbranch_scc0 .LBB35_1213
; %bb.1204:
	s_cmp_lt_i32 s17, 24
	s_cbranch_scc1 .LBB35_1216
; %bb.1205:
	s_cmp_gt_i32 s17, 24
	s_cbranch_scc0 .LBB35_1217
; %bb.1206:
	global_load_ubyte v1, v[12:13], off
	s_movk_i32 s2, 0x7f
	s_waitcnt vmcnt(0)
	v_cmp_lt_i16_e32 vcc, s2, v1
	s_mov_b64 s[2:3], 0
	s_and_saveexec_b64 s[4:5], vcc
	s_xor_b64 s[4:5], exec, s[4:5]
	s_cbranch_execz .LBB35_1228
; %bb.1207:
	s_movk_i32 s2, 0x80
	v_cmp_eq_u16_e32 vcc, s2, v1
	s_mov_b64 s[2:3], -1
	s_and_saveexec_b64 s[12:13], vcc
; %bb.1208:
	s_xor_b64 s[2:3], exec, -1
; %bb.1209:
	s_or_b64 exec, exec, s[12:13]
	s_and_b64 s[2:3], s[2:3], exec
	s_or_saveexec_b64 s[4:5], s[4:5]
	v_mov_b32_e32 v3, 0x7f800001
	s_xor_b64 exec, exec, s[4:5]
	s_cbranch_execnz .LBB35_1229
.LBB35_1210:
	s_or_b64 exec, exec, s[4:5]
	s_and_saveexec_b64 s[4:5], s[2:3]
	s_cbranch_execz .LBB35_1212
.LBB35_1211:
	v_lshlrev_b32_e32 v3, 24, v1
	v_and_b32_e32 v1, 0xffff, v1
	v_and_b32_e32 v5, 3, v1
	v_ffbh_u32_e32 v10, v5
	v_min_u32_e32 v10, 32, v10
	v_subrev_u32_e32 v14, 29, v10
	v_bfe_u32 v8, v1, 2, 5
	v_lshlrev_b32_e32 v1, v14, v1
	v_sub_u32_e32 v10, 30, v10
	v_and_b32_e32 v1, 3, v1
	v_cmp_eq_u32_e32 vcc, 0, v8
	v_cndmask_b32_e32 v8, v8, v10, vcc
	v_cndmask_b32_e32 v1, v5, v1, vcc
	v_mov_b32_e32 v5, 0x37800000
	v_lshlrev_b32_e32 v1, 21, v1
	v_and_b32_e32 v3, 0x80000000, v3
	v_lshl_add_u32 v5, v8, 23, v5
	v_or3_b32 v3, v3, v5, v1
.LBB35_1212:
	s_or_b64 exec, exec, s[4:5]
	v_bfe_u32 v1, v3, 16, 1
	s_movk_i32 s2, 0x7fff
	v_add3_u32 v1, v3, v1, s2
	v_cmp_o_f32_e32 vcc, v3, v3
	v_mov_b32_e32 v3, 0x7fc0
	v_cndmask_b32_sdwa v1, v3, v1, vcc dst_sel:DWORD dst_unused:UNUSED_PAD src0_sel:DWORD src1_sel:WORD_1
	s_mov_b64 s[2:3], 0
	s_branch .LBB35_1218
.LBB35_1213:
                                        ; implicit-def: $vgpr1
	s_mov_b64 s[2:3], 0
	s_branch .LBB35_1224
.LBB35_1214:
	s_or_saveexec_b64 s[12:13], s[12:13]
	v_mov_b32_e32 v3, 0x7f800001
	s_xor_b64 exec, exec, s[12:13]
	s_cbranch_execz .LBB35_1198
.LBB35_1215:
	v_cmp_ne_u16_e32 vcc, 0, v1
	s_andn2_b64 s[4:5], s[4:5], exec
	s_and_b64 s[14:15], vcc, exec
	v_mov_b32_e32 v3, 0
	s_or_b64 s[4:5], s[4:5], s[14:15]
	s_or_b64 exec, exec, s[12:13]
	s_and_saveexec_b64 s[12:13], s[4:5]
	s_cbranch_execnz .LBB35_1199
	s_branch .LBB35_1200
.LBB35_1216:
	s_mov_b64 s[2:3], -1
                                        ; implicit-def: $vgpr1
	s_branch .LBB35_1221
.LBB35_1217:
	s_mov_b64 s[2:3], -1
                                        ; implicit-def: $vgpr1
.LBB35_1218:
	s_and_b64 vcc, exec, s[2:3]
	s_cbranch_vccz .LBB35_1220
; %bb.1219:
	global_load_ubyte v1, v[12:13], off
	s_mov_b32 s2, 0x7f800000
	s_brev_b32 s3, 1
	s_movk_i32 s4, 0x7fff
	s_waitcnt vmcnt(0)
	v_lshlrev_b32_e32 v1, 24, v1
	v_and_b32_e32 v3, 0x7f000000, v1
	v_ffbh_u32_e32 v5, v3
	v_min_u32_e32 v5, 32, v5
	v_sub_u32_e64 v5, v5, 4 clamp
	v_lshlrev_b32_e32 v10, v5, v3
	v_lshlrev_b32_e32 v5, 23, v5
	v_lshrrev_b32_e32 v10, 4, v10
	v_add_u32_e32 v8, 0x1000000, v3
	v_sub_u32_e32 v5, v10, v5
	v_ashrrev_i32_e32 v8, 8, v8
	v_add_u32_e32 v5, 0x3c000000, v5
	v_and_or_b32 v5, v8, s2, v5
	v_cmp_ne_u32_e32 vcc, 0, v3
	v_cndmask_b32_e32 v3, 0, v5, vcc
	v_and_or_b32 v1, v1, s3, v3
	v_bfe_u32 v3, v3, 16, 1
	v_add3_u32 v3, v1, v3, s4
	v_cmp_o_f32_e32 vcc, v1, v1
	v_mov_b32_e32 v1, 0x7fc0
	v_cndmask_b32_sdwa v1, v1, v3, vcc dst_sel:DWORD dst_unused:UNUSED_PAD src0_sel:DWORD src1_sel:WORD_1
.LBB35_1220:
	s_mov_b64 s[2:3], 0
.LBB35_1221:
	s_andn2_b64 vcc, exec, s[2:3]
	s_cbranch_vccnz .LBB35_1223
; %bb.1222:
	global_load_ubyte v1, v[12:13], off
	s_movk_i32 s2, 0x7f00
	s_brev_b32 s3, 16
	s_brev_b32 s4, 1
	s_movk_i32 s5, 0x7fff
	s_waitcnt vmcnt(0)
	v_lshlrev_b16_e32 v3, 8, v1
	v_lshlrev_b32_e32 v1, 25, v1
	v_lshrrev_b32_e32 v5, 4, v1
	v_and_or_b32 v8, v3, s2, 0.5
	v_or_b32_e32 v5, 0x70000000, v5
	v_add_f32_e32 v8, -0.5, v8
	v_mul_f32_e32 v5, 0x7800000, v5
	v_cmp_gt_u32_e32 vcc, s3, v1
	v_bfe_i32 v3, v3, 0, 16
	v_cndmask_b32_e32 v1, v5, v8, vcc
	v_and_or_b32 v3, v3, s4, v1
	v_bfe_u32 v1, v1, 16, 1
	v_add3_u32 v1, v3, v1, s5
	v_cmp_o_f32_e32 vcc, v3, v3
	v_mov_b32_e32 v3, 0x7fc0
	v_cndmask_b32_sdwa v1, v3, v1, vcc dst_sel:DWORD dst_unused:UNUSED_PAD src0_sel:DWORD src1_sel:WORD_1
.LBB35_1223:
	s_mov_b64 s[4:5], -1
	s_mov_b64 s[2:3], 0
	s_cbranch_execnz .LBB35_1234
.LBB35_1224:
	s_cmp_gt_i32 s17, 14
	s_cbranch_scc0 .LBB35_1227
; %bb.1225:
	s_cmp_eq_u32 s17, 15
	s_cbranch_scc0 .LBB35_1230
; %bb.1226:
	global_load_ushort v1, v[12:13], off
	s_mov_b64 s[0:1], 0
	s_mov_b64 s[4:5], -1
	s_branch .LBB35_1231
.LBB35_1227:
	s_mov_b64 s[12:13], -1
                                        ; implicit-def: $vgpr1
	s_branch .LBB35_1232
.LBB35_1228:
	s_or_saveexec_b64 s[4:5], s[4:5]
	v_mov_b32_e32 v3, 0x7f800001
	s_xor_b64 exec, exec, s[4:5]
	s_cbranch_execz .LBB35_1210
.LBB35_1229:
	v_cmp_ne_u16_e32 vcc, 0, v1
	s_andn2_b64 s[2:3], s[2:3], exec
	s_and_b64 s[12:13], vcc, exec
	v_mov_b32_e32 v3, 0
	s_or_b64 s[2:3], s[2:3], s[12:13]
	s_or_b64 exec, exec, s[4:5]
	s_and_saveexec_b64 s[4:5], s[2:3]
	s_cbranch_execnz .LBB35_1211
	s_branch .LBB35_1212
.LBB35_1230:
	s_mov_b64 s[0:1], -1
                                        ; implicit-def: $vgpr1
.LBB35_1231:
	s_mov_b64 s[12:13], 0
.LBB35_1232:
	s_and_b64 vcc, exec, s[12:13]
	s_cbranch_vccz .LBB35_1234
; %bb.1233:
	s_cmp_lg_u32 s17, 11
	s_mov_b64 s[2:3], -1
	s_cselect_b64 s[0:1], -1, 0
.LBB35_1234:
	s_and_b64 vcc, exec, s[0:1]
	s_mov_b64 s[12:13], s[6:7]
	s_cbranch_vccnz .LBB35_1299
; %bb.1235:
	s_andn2_b64 vcc, exec, s[2:3]
	s_cbranch_vccnz .LBB35_1237
.LBB35_1236:
	global_load_ubyte v1, v[12:13], off
	s_mov_b64 s[4:5], -1
	s_waitcnt vmcnt(0)
	v_cmp_ne_u16_e32 vcc, 0, v1
	v_cndmask_b32_e64 v1, 0, 1.0, vcc
	v_lshrrev_b32_e32 v1, 16, v1
.LBB35_1237:
	s_branch .LBB35_1167
.LBB35_1238:
	s_and_b32 s2, 0xffff, s16
	s_cmp_lt_i32 s2, 5
	s_cbranch_scc1 .LBB35_1243
; %bb.1239:
	s_cmp_lt_i32 s2, 8
	s_cbranch_scc1 .LBB35_1244
; %bb.1240:
	;; [unrolled: 3-line block ×3, first 2 shown]
	s_cmp_gt_i32 s2, 9
	s_cbranch_scc0 .LBB35_1246
; %bb.1242:
	global_load_dwordx2 v[14:15], v[12:13], off
	s_movk_i32 s0, 0x7fff
	s_waitcnt vmcnt(1)
	v_mov_b32_e32 v3, 0x7fc0
	s_waitcnt vmcnt(0)
	v_cvt_f32_f64_e32 v1, v[14:15]
	v_bfe_u32 v5, v1, 16, 1
	v_cmp_o_f32_e32 vcc, v1, v1
	v_add3_u32 v1, v1, v5, s0
	v_cndmask_b32_sdwa v1, v3, v1, vcc dst_sel:DWORD dst_unused:UNUSED_PAD src0_sel:DWORD src1_sel:WORD_1
	s_mov_b64 s[0:1], 0
	s_branch .LBB35_1247
.LBB35_1243:
                                        ; implicit-def: $vgpr1
	s_branch .LBB35_1264
.LBB35_1244:
                                        ; implicit-def: $vgpr1
	s_branch .LBB35_1253
.LBB35_1245:
	s_mov_b64 s[0:1], -1
                                        ; implicit-def: $vgpr1
	s_branch .LBB35_1250
.LBB35_1246:
	s_mov_b64 s[0:1], -1
                                        ; implicit-def: $vgpr1
.LBB35_1247:
	s_andn2_b64 vcc, exec, s[0:1]
	s_cbranch_vccnz .LBB35_1249
; %bb.1248:
	global_load_dword v1, v[12:13], off
	s_movk_i32 s0, 0x7fff
	s_waitcnt vmcnt(1)
	v_mov_b32_e32 v3, 0x7fc0
	s_waitcnt vmcnt(0)
	v_bfe_u32 v5, v1, 16, 1
	v_cmp_o_f32_e32 vcc, v1, v1
	v_add3_u32 v1, v1, v5, s0
	v_cndmask_b32_sdwa v1, v3, v1, vcc dst_sel:DWORD dst_unused:UNUSED_PAD src0_sel:DWORD src1_sel:WORD_1
.LBB35_1249:
	s_mov_b64 s[0:1], 0
.LBB35_1250:
	s_andn2_b64 vcc, exec, s[0:1]
	s_cbranch_vccnz .LBB35_1252
; %bb.1251:
	global_load_dword v1, v[12:13], off
	s_movk_i32 s0, 0x7fff
	v_mov_b32_e32 v5, 0x7fc0
	s_waitcnt vmcnt(0)
	v_cvt_f32_f16_e32 v3, v1
	v_cmp_o_f16_e32 vcc, v1, v1
	v_bfe_u32 v1, v3, 16, 1
	v_add3_u32 v1, v3, v1, s0
	v_cndmask_b32_sdwa v1, v5, v1, vcc dst_sel:DWORD dst_unused:UNUSED_PAD src0_sel:DWORD src1_sel:WORD_1
.LBB35_1252:
	s_cbranch_execnz .LBB35_1263
.LBB35_1253:
	s_cmp_lt_i32 s2, 6
	s_cbranch_scc1 .LBB35_1256
; %bb.1254:
	s_cmp_gt_i32 s2, 6
	s_cbranch_scc0 .LBB35_1257
; %bb.1255:
	global_load_dwordx2 v[14:15], v[12:13], off
	s_movk_i32 s0, 0x7fff
	s_waitcnt vmcnt(1)
	v_mov_b32_e32 v3, 0x7fc0
	s_waitcnt vmcnt(0)
	v_cvt_f32_f64_e32 v1, v[14:15]
	v_bfe_u32 v5, v1, 16, 1
	v_cmp_o_f32_e32 vcc, v1, v1
	v_add3_u32 v1, v1, v5, s0
	v_cndmask_b32_sdwa v1, v3, v1, vcc dst_sel:DWORD dst_unused:UNUSED_PAD src0_sel:DWORD src1_sel:WORD_1
	s_mov_b64 s[0:1], 0
	s_branch .LBB35_1258
.LBB35_1256:
	s_mov_b64 s[0:1], -1
                                        ; implicit-def: $vgpr1
	s_branch .LBB35_1261
.LBB35_1257:
	s_mov_b64 s[0:1], -1
                                        ; implicit-def: $vgpr1
.LBB35_1258:
	s_andn2_b64 vcc, exec, s[0:1]
	s_cbranch_vccnz .LBB35_1260
; %bb.1259:
	global_load_dword v1, v[12:13], off
	s_movk_i32 s0, 0x7fff
	s_waitcnt vmcnt(1)
	v_mov_b32_e32 v3, 0x7fc0
	s_waitcnt vmcnt(0)
	v_bfe_u32 v5, v1, 16, 1
	v_cmp_o_f32_e32 vcc, v1, v1
	v_add3_u32 v1, v1, v5, s0
	v_cndmask_b32_sdwa v1, v3, v1, vcc dst_sel:DWORD dst_unused:UNUSED_PAD src0_sel:DWORD src1_sel:WORD_1
.LBB35_1260:
	s_mov_b64 s[0:1], 0
.LBB35_1261:
	s_andn2_b64 vcc, exec, s[0:1]
	s_cbranch_vccnz .LBB35_1263
; %bb.1262:
	global_load_ushort v1, v[12:13], off
	s_movk_i32 s0, 0x7fff
	v_mov_b32_e32 v5, 0x7fc0
	s_waitcnt vmcnt(0)
	v_cvt_f32_f16_e32 v3, v1
	v_cmp_o_f16_e32 vcc, v1, v1
	v_bfe_u32 v1, v3, 16, 1
	v_add3_u32 v1, v3, v1, s0
	v_cndmask_b32_sdwa v1, v5, v1, vcc dst_sel:DWORD dst_unused:UNUSED_PAD src0_sel:DWORD src1_sel:WORD_1
.LBB35_1263:
	s_cbranch_execnz .LBB35_1282
.LBB35_1264:
	s_cmp_lt_i32 s2, 2
	s_cbranch_scc1 .LBB35_1268
; %bb.1265:
	s_cmp_lt_i32 s2, 3
	s_cbranch_scc1 .LBB35_1269
; %bb.1266:
	s_cmp_gt_i32 s2, 3
	s_cbranch_scc0 .LBB35_1270
; %bb.1267:
	global_load_dwordx2 v[14:15], v[12:13], off
	s_movk_i32 s0, 0x7fff
	s_waitcnt vmcnt(0)
	v_xor_b32_e32 v3, v14, v15
	v_ffbh_i32_e32 v1, v15
	v_ashrrev_i32_e32 v3, 31, v3
	v_add_u32_e32 v1, -1, v1
	v_add_u32_e32 v3, 32, v3
	v_min_u32_e32 v1, v1, v3
	v_lshlrev_b64 v[14:15], v1, v[14:15]
	v_sub_u32_e32 v1, 32, v1
	v_min_u32_e32 v3, 1, v14
	v_or_b32_e32 v3, v15, v3
	v_cvt_f32_i32_e32 v3, v3
	v_ldexp_f32 v1, v3, v1
	v_bfe_u32 v3, v1, 16, 1
	v_add3_u32 v1, v1, v3, s0
	v_lshrrev_b32_e32 v1, 16, v1
	s_mov_b64 s[0:1], 0
	s_branch .LBB35_1271
.LBB35_1268:
                                        ; implicit-def: $vgpr1
	s_branch .LBB35_1277
.LBB35_1269:
	s_mov_b64 s[0:1], -1
                                        ; implicit-def: $vgpr1
	s_branch .LBB35_1274
.LBB35_1270:
	s_mov_b64 s[0:1], -1
                                        ; implicit-def: $vgpr1
.LBB35_1271:
	s_andn2_b64 vcc, exec, s[0:1]
	s_cbranch_vccnz .LBB35_1273
; %bb.1272:
	global_load_dword v1, v[12:13], off
	s_movk_i32 s0, 0x7fff
	s_waitcnt vmcnt(0)
	v_cvt_f32_i32_e32 v1, v1
	v_bfe_u32 v3, v1, 16, 1
	v_add3_u32 v1, v1, v3, s0
	v_lshrrev_b32_e32 v1, 16, v1
.LBB35_1273:
	s_mov_b64 s[0:1], 0
.LBB35_1274:
	s_andn2_b64 vcc, exec, s[0:1]
	s_cbranch_vccnz .LBB35_1276
; %bb.1275:
	global_load_sshort v1, v[12:13], off
	s_movk_i32 s0, 0x7fff
	s_waitcnt vmcnt(0)
	v_cvt_f32_i32_e32 v1, v1
	v_bfe_u32 v3, v1, 16, 1
	v_add3_u32 v1, v1, v3, s0
	v_lshrrev_b32_e32 v1, 16, v1
.LBB35_1276:
	s_cbranch_execnz .LBB35_1282
.LBB35_1277:
	s_cmp_gt_i32 s2, 0
	s_cbranch_scc0 .LBB35_1279
; %bb.1278:
	global_load_sbyte v1, v[12:13], off
	s_movk_i32 s0, 0x7fff
	s_waitcnt vmcnt(0)
	v_cvt_f32_i32_e32 v1, v1
	v_bfe_u32 v3, v1, 16, 1
	v_add3_u32 v1, v1, v3, s0
	v_lshrrev_b32_e32 v1, 16, v1
	s_mov_b64 s[0:1], 0
	s_branch .LBB35_1280
.LBB35_1279:
	s_mov_b64 s[0:1], -1
                                        ; implicit-def: $vgpr1
.LBB35_1280:
	s_andn2_b64 vcc, exec, s[0:1]
	s_cbranch_vccnz .LBB35_1282
; %bb.1281:
	global_load_ubyte v1, v[12:13], off
	s_movk_i32 s0, 0x7fff
	s_waitcnt vmcnt(0)
	v_cvt_f32_ubyte0_e32 v1, v1
	v_bfe_u32 v3, v1, 16, 1
	v_add3_u32 v1, v1, v3, s0
	v_lshrrev_b32_e32 v1, 16, v1
.LBB35_1282:
.LBB35_1283:
	s_waitcnt vmcnt(0)
	v_lshlrev_b32_e32 v1, 16, v1
	s_brev_b32 s0, 18
	v_and_b32_e32 v3, 0x7fffffff, v1
	v_cmp_nlt_f32_e64 s[0:1], |v1|, s0
                                        ; implicit-def: $vgpr5
                                        ; implicit-def: $vgpr12
	s_and_saveexec_b64 s[2:3], s[0:1]
	s_xor_b64 s[14:15], exec, s[2:3]
	s_cbranch_execz .LBB35_1285
; %bb.1284:
	v_and_b32_e32 v5, 0x7fffff, v3
	v_or_b32_e32 v5, 0x800000, v5
	s_mov_b32 s0, 0xfe5163ab
	v_mad_u64_u32 v[12:13], s[0:1], v5, s0, 0
	v_mov_b32_e32 v14, 0
	s_mov_b32 s0, 0x3c439041
	v_mad_u64_u32 v[15:16], s[0:1], v5, s0, v[13:14]
	s_mov_b32 s0, 0xdb629599
	v_lshrrev_b32_e32 v8, 23, v3
	v_mov_b32_e32 v13, v16
	v_mad_u64_u32 v[16:17], s[0:1], v5, s0, v[13:14]
	s_mov_b32 s0, 0xf534ddc0
	v_add_u32_e32 v8, 0xffffff88, v8
	v_mov_b32_e32 v13, v17
	v_mad_u64_u32 v[17:18], s[0:1], v5, s0, v[13:14]
	s_mov_b32 s0, 0xfc2757d1
	v_not_b32_e32 v10, 63
	v_mov_b32_e32 v13, v18
	v_mad_u64_u32 v[18:19], s[0:1], v5, s0, v[13:14]
	v_cmp_lt_u32_e32 vcc, 63, v8
	s_mov_b32 s0, 0x4e441529
	v_mov_b32_e32 v13, v19
	v_cndmask_b32_e32 v10, 0, v10, vcc
	v_mad_u64_u32 v[19:20], s[0:1], v5, s0, v[13:14]
	v_add_u32_e32 v8, v10, v8
	v_not_b32_e32 v10, 31
	v_cmp_lt_u32_e64 s[0:1], 31, v8
	v_cndmask_b32_e64 v13, 0, v10, s[0:1]
	v_add_u32_e32 v8, v13, v8
	v_mov_b32_e32 v13, v20
	s_mov_b32 s2, 0xa2f9836e
	v_mad_u64_u32 v[13:14], s[2:3], v5, s2, v[13:14]
	v_cmp_lt_u32_e64 s[2:3], 31, v8
	v_cndmask_b32_e64 v5, 0, v10, s[2:3]
	v_add_u32_e32 v5, v5, v8
	v_cndmask_b32_e32 v8, v19, v17, vcc
	v_cndmask_b32_e32 v10, v13, v18, vcc
	;; [unrolled: 1-line block ×3, first 2 shown]
	v_cndmask_b32_e64 v13, v10, v8, s[0:1]
	v_cndmask_b32_e64 v10, v14, v10, s[0:1]
	v_cndmask_b32_e32 v14, v18, v16, vcc
	v_cndmask_b32_e64 v8, v8, v14, s[0:1]
	v_cndmask_b32_e64 v10, v10, v13, s[2:3]
	;; [unrolled: 1-line block ×3, first 2 shown]
	v_sub_u32_e32 v18, 32, v5
	v_alignbit_b32 v19, v10, v13, v18
	v_cmp_eq_u32_e64 s[4:5], 0, v5
	v_cndmask_b32_e64 v5, v19, v10, s[4:5]
	v_cndmask_b32_e32 v10, v17, v15, vcc
	v_cndmask_b32_e64 v14, v14, v10, s[0:1]
	v_cndmask_b32_e64 v8, v8, v14, s[2:3]
	v_cndmask_b32_e32 v12, v16, v12, vcc
	v_alignbit_b32 v15, v13, v8, v18
	v_cndmask_b32_e64 v10, v10, v12, s[0:1]
	v_cndmask_b32_e64 v13, v15, v13, s[4:5]
	v_bfe_u32 v19, v5, 29, 1
	v_cndmask_b32_e64 v10, v14, v10, s[2:3]
	v_alignbit_b32 v15, v5, v13, 30
	v_sub_u32_e32 v20, 0, v19
	v_alignbit_b32 v12, v8, v10, v18
	v_xor_b32_e32 v15, v15, v20
	v_cndmask_b32_e64 v8, v12, v8, s[4:5]
	v_alignbit_b32 v12, v13, v8, 30
	v_ffbh_u32_e32 v13, v15
	v_min_u32_e32 v13, 32, v13
	v_alignbit_b32 v8, v8, v10, 30
	v_xor_b32_e32 v12, v12, v20
	v_sub_u32_e32 v14, 31, v13
	v_xor_b32_e32 v8, v8, v20
	v_alignbit_b32 v15, v15, v12, v14
	v_alignbit_b32 v8, v12, v8, v14
	;; [unrolled: 1-line block ×3, first 2 shown]
	v_ffbh_u32_e32 v12, v10
	v_min_u32_e32 v12, 32, v12
	v_lshrrev_b32_e32 v17, 29, v5
	v_not_b32_e32 v14, v12
	v_alignbit_b32 v8, v10, v8, v14
	v_lshlrev_b32_e32 v10, 31, v17
	v_or_b32_e32 v14, 0x33000000, v10
	v_add_lshl_u32 v12, v12, v13, 23
	v_lshrrev_b32_e32 v8, 9, v8
	v_sub_u32_e32 v12, v14, v12
	v_or_b32_e32 v10, 0.5, v10
	v_lshlrev_b32_e32 v13, 23, v13
	v_or_b32_e32 v8, v12, v8
	v_lshrrev_b32_e32 v12, 9, v15
	v_sub_u32_e32 v10, v10, v13
	v_or_b32_e32 v10, v12, v10
	s_mov_b32 s0, 0x3fc90fda
	v_mul_f32_e32 v12, 0x3fc90fda, v10
	v_fma_f32 v13, v10, s0, -v12
	v_fmac_f32_e32 v13, 0x33a22168, v10
	v_fmac_f32_e32 v13, 0x3fc90fda, v8
	v_lshrrev_b32_e32 v5, 30, v5
	v_add_f32_e32 v12, v12, v13
	v_add_u32_e32 v5, v19, v5
.LBB35_1285:
	s_andn2_saveexec_b64 s[0:1], s[14:15]
	s_cbranch_execz .LBB35_1287
; %bb.1286:
	s_mov_b32 s2, 0x3f22f983
	v_mul_f32_e64 v5, |v1|, s2
	v_rndne_f32_e32 v8, v5
	s_mov_b32 s2, 0xbfc90fda
	v_cvt_i32_f32_e32 v5, v8
	v_fma_f32 v12, v8, s2, |v1|
	v_fmac_f32_e32 v12, 0xb3a22168, v8
	v_fmac_f32_e32 v12, 0xa7c234c4, v8
.LBB35_1287:
	s_or_b64 exec, exec, s[0:1]
	s_lshr_b32 s0, s18, 16
	v_mov_b32_e32 v8, s11
	s_and_b32 s19, s0, 0xff
	v_add_co_u32_e32 v10, vcc, s10, v11
	s_cmp_lt_i32 s19, 11
	v_addc_co_u32_e32 v11, vcc, 0, v8, vcc
	s_cbranch_scc1 .LBB35_1294
; %bb.1288:
	s_and_b32 s20, 0xffff, s19
	s_cmp_gt_i32 s20, 25
	s_mov_b64 s[2:3], 0
	s_cbranch_scc0 .LBB35_1296
; %bb.1289:
	s_cmp_gt_i32 s20, 28
	s_cbranch_scc0 .LBB35_1297
; %bb.1290:
	s_cmp_gt_i32 s20, 43
	;; [unrolled: 3-line block ×3, first 2 shown]
	s_cbranch_scc0 .LBB35_1300
; %bb.1292:
	s_cmp_eq_u32 s20, 46
	s_mov_b64 s[14:15], 0
	s_cbranch_scc0 .LBB35_1303
; %bb.1293:
	global_load_dword v8, v[10:11], off
	s_mov_b64 s[0:1], 0
	s_mov_b64 s[4:5], -1
	s_branch .LBB35_1304
.LBB35_1294:
	s_mov_b64 s[4:5], 0
                                        ; implicit-def: $vgpr8
	s_cbranch_execnz .LBB35_1369
.LBB35_1295:
	s_andn2_b64 vcc, exec, s[4:5]
	s_cbranch_vccnz .LBB35_2120
	s_branch .LBB35_1416
.LBB35_1296:
	s_mov_b64 s[4:5], 0
	s_mov_b64 s[0:1], 0
                                        ; implicit-def: $vgpr8
	s_cbranch_execnz .LBB35_1333
	s_branch .LBB35_1365
.LBB35_1297:
	s_mov_b64 s[14:15], -1
	s_mov_b64 s[4:5], 0
	s_mov_b64 s[0:1], 0
                                        ; implicit-def: $vgpr8
	s_branch .LBB35_1314
.LBB35_1298:
	s_mov_b64 s[14:15], -1
	s_mov_b64 s[4:5], 0
	s_mov_b64 s[0:1], 0
                                        ; implicit-def: $vgpr8
	s_branch .LBB35_1309
.LBB35_1299:
	s_or_b64 s[12:13], s[6:7], exec
	s_trap 2
	s_cbranch_execz .LBB35_1236
	s_branch .LBB35_1237
.LBB35_1300:
	s_mov_b64 s[14:15], -1
	s_mov_b64 s[4:5], 0
	s_mov_b64 s[0:1], 0
                                        ; implicit-def: $vgpr8
	s_branch .LBB35_1304
.LBB35_1301:
	s_andn2_saveexec_b64 s[14:15], s[14:15]
	s_cbranch_execz .LBB35_1027
.LBB35_1302:
	s_mov_b32 s18, 0x42800000
	v_add_f32_e64 v4, |v5|, s18
	v_and_b32_e32 v4, 0xff, v4
	v_cmp_ne_u32_e32 vcc, 0, v4
	s_andn2_b64 s[12:13], s[12:13], exec
	s_and_b64 s[18:19], vcc, exec
	s_or_b64 s[12:13], s[12:13], s[18:19]
	s_or_b64 exec, exec, s[14:15]
	v_mov_b32_e32 v6, 0
	s_and_saveexec_b64 s[14:15], s[12:13]
	s_cbranch_execnz .LBB35_1028
	s_branch .LBB35_1029
.LBB35_1303:
	s_mov_b64 s[0:1], -1
                                        ; implicit-def: $vgpr8
	s_mov_b64 s[4:5], 0
.LBB35_1304:
	s_and_b64 vcc, exec, s[14:15]
	s_cbranch_vccz .LBB35_1308
; %bb.1305:
	s_cmp_eq_u32 s20, 44
	s_cbranch_scc0 .LBB35_1307
; %bb.1306:
	global_load_ubyte v8, v[10:11], off
	s_movk_i32 s4, 0xff
	v_mov_b32_e32 v13, 0x7f800001
	v_mov_b32_e32 v14, 0x400000
	;; [unrolled: 1-line block ×3, first 2 shown]
	s_mov_b64 s[0:1], 0
	s_waitcnt vmcnt(0)
	v_lshlrev_b32_e32 v16, 23, v8
	v_cmp_ne_u32_e32 vcc, s4, v8
	v_cndmask_b32_e32 v13, v13, v16, vcc
	v_cmp_ne_u32_e32 vcc, 0, v8
	v_cndmask_b32_e32 v8, v14, v13, vcc
	v_add_u32_e32 v13, 0x7fff, v8
	v_cmp_o_f32_e32 vcc, v8, v8
	v_cndmask_b32_sdwa v8, v15, v13, vcc dst_sel:DWORD dst_unused:UNUSED_PAD src0_sel:DWORD src1_sel:WORD_1
	s_mov_b64 s[4:5], -1
	s_branch .LBB35_1308
.LBB35_1307:
	s_mov_b64 s[0:1], -1
                                        ; implicit-def: $vgpr8
.LBB35_1308:
	s_mov_b64 s[14:15], 0
.LBB35_1309:
	s_and_b64 vcc, exec, s[14:15]
	s_cbranch_vccz .LBB35_1313
; %bb.1310:
	s_cmp_eq_u32 s20, 29
	s_cbranch_scc0 .LBB35_1312
; %bb.1311:
	global_load_dwordx2 v[13:14], v[10:11], off
	s_movk_i32 s4, 0x7fff
	s_mov_b64 s[0:1], 0
	s_mov_b64 s[14:15], 0
	s_waitcnt vmcnt(0)
	v_ffbh_u32_e32 v8, v14
	v_min_u32_e32 v8, 32, v8
	v_lshlrev_b64 v[13:14], v8, v[13:14]
	v_sub_u32_e32 v8, 32, v8
	v_min_u32_e32 v13, 1, v13
	v_or_b32_e32 v13, v14, v13
	v_cvt_f32_u32_e32 v13, v13
	v_ldexp_f32 v8, v13, v8
	v_bfe_u32 v13, v8, 16, 1
	v_add3_u32 v8, v8, v13, s4
	v_lshrrev_b32_e32 v8, 16, v8
	s_mov_b64 s[4:5], -1
	s_branch .LBB35_1314
.LBB35_1312:
	s_mov_b64 s[0:1], -1
                                        ; implicit-def: $vgpr8
.LBB35_1313:
	s_mov_b64 s[14:15], 0
.LBB35_1314:
	s_and_b64 vcc, exec, s[14:15]
	s_cbranch_vccz .LBB35_1332
; %bb.1315:
	s_cmp_lt_i32 s20, 27
	s_cbranch_scc1 .LBB35_1318
; %bb.1316:
	s_cmp_gt_i32 s20, 27
	s_cbranch_scc0 .LBB35_1319
; %bb.1317:
	global_load_dword v8, v[10:11], off
	s_movk_i32 s4, 0x7fff
	s_waitcnt vmcnt(0)
	v_cvt_f32_u32_e32 v8, v8
	v_bfe_u32 v13, v8, 16, 1
	v_add3_u32 v8, v8, v13, s4
	v_lshrrev_b32_e32 v8, 16, v8
	s_mov_b64 s[4:5], 0
	s_branch .LBB35_1320
.LBB35_1318:
	s_mov_b64 s[4:5], -1
                                        ; implicit-def: $vgpr8
	s_branch .LBB35_1323
.LBB35_1319:
	s_mov_b64 s[4:5], -1
                                        ; implicit-def: $vgpr8
.LBB35_1320:
	s_andn2_b64 vcc, exec, s[4:5]
	s_cbranch_vccnz .LBB35_1322
; %bb.1321:
	global_load_ushort v8, v[10:11], off
	s_movk_i32 s4, 0x7fff
	s_waitcnt vmcnt(0)
	v_cvt_f32_u32_e32 v8, v8
	v_bfe_u32 v13, v8, 16, 1
	v_add3_u32 v8, v8, v13, s4
	v_lshrrev_b32_e32 v8, 16, v8
.LBB35_1322:
	s_mov_b64 s[4:5], 0
.LBB35_1323:
	s_andn2_b64 vcc, exec, s[4:5]
	s_cbranch_vccnz .LBB35_1331
; %bb.1324:
	global_load_ubyte v8, v[10:11], off
	s_movk_i32 s4, 0x7f
	s_waitcnt vmcnt(0)
	v_cmp_lt_i16_e32 vcc, s4, v8
	s_mov_b64 s[4:5], 0
	s_and_saveexec_b64 s[14:15], vcc
	s_xor_b64 s[14:15], exec, s[14:15]
	s_cbranch_execz .LBB35_1344
; %bb.1325:
	s_movk_i32 s4, 0x80
	v_cmp_eq_u16_e32 vcc, s4, v8
	s_mov_b64 s[4:5], -1
	s_and_saveexec_b64 s[16:17], vcc
; %bb.1326:
	s_xor_b64 s[4:5], exec, -1
; %bb.1327:
	s_or_b64 exec, exec, s[16:17]
	s_and_b64 s[4:5], s[4:5], exec
	s_or_saveexec_b64 s[14:15], s[14:15]
	v_mov_b32_e32 v13, 0x7f800001
	s_xor_b64 exec, exec, s[14:15]
	s_cbranch_execnz .LBB35_1345
.LBB35_1328:
	s_or_b64 exec, exec, s[14:15]
	s_and_saveexec_b64 s[14:15], s[4:5]
	s_cbranch_execz .LBB35_1330
.LBB35_1329:
	v_lshlrev_b32_e32 v13, 24, v8
	v_and_b32_e32 v8, 0xffff, v8
	v_and_b32_e32 v14, 7, v8
	v_ffbh_u32_e32 v16, v14
	v_min_u32_e32 v16, 32, v16
	v_subrev_u32_e32 v17, 28, v16
	v_bfe_u32 v15, v8, 3, 4
	v_lshlrev_b32_e32 v8, v17, v8
	v_sub_u32_e32 v16, 29, v16
	v_and_b32_e32 v8, 7, v8
	v_cmp_eq_u32_e32 vcc, 0, v15
	v_cndmask_b32_e32 v15, v15, v16, vcc
	v_cndmask_b32_e32 v8, v14, v8, vcc
	v_mov_b32_e32 v14, 0x3b800000
	v_lshlrev_b32_e32 v8, 20, v8
	v_and_b32_e32 v13, 0x80000000, v13
	v_lshl_add_u32 v14, v15, 23, v14
	v_or3_b32 v13, v13, v14, v8
.LBB35_1330:
	s_or_b64 exec, exec, s[14:15]
	v_bfe_u32 v8, v13, 16, 1
	s_movk_i32 s4, 0x7fff
	v_add3_u32 v8, v13, v8, s4
	v_cmp_o_f32_e32 vcc, v13, v13
	v_mov_b32_e32 v13, 0x7fc0
	v_cndmask_b32_sdwa v8, v13, v8, vcc dst_sel:DWORD dst_unused:UNUSED_PAD src0_sel:DWORD src1_sel:WORD_1
.LBB35_1331:
	s_mov_b64 s[4:5], -1
.LBB35_1332:
	s_branch .LBB35_1365
.LBB35_1333:
	s_cmp_gt_i32 s20, 22
	s_cbranch_scc0 .LBB35_1343
; %bb.1334:
	s_cmp_lt_i32 s20, 24
	s_cbranch_scc1 .LBB35_1346
; %bb.1335:
	s_cmp_gt_i32 s20, 24
	s_cbranch_scc0 .LBB35_1347
; %bb.1336:
	global_load_ubyte v8, v[10:11], off
	s_movk_i32 s2, 0x7f
	s_waitcnt vmcnt(0)
	v_cmp_lt_i16_e32 vcc, s2, v8
	s_mov_b64 s[2:3], 0
	s_and_saveexec_b64 s[4:5], vcc
	s_xor_b64 s[4:5], exec, s[4:5]
	s_cbranch_execz .LBB35_1359
; %bb.1337:
	s_movk_i32 s2, 0x80
	v_cmp_eq_u16_e32 vcc, s2, v8
	s_mov_b64 s[2:3], -1
	s_and_saveexec_b64 s[14:15], vcc
; %bb.1338:
	s_xor_b64 s[2:3], exec, -1
; %bb.1339:
	s_or_b64 exec, exec, s[14:15]
	s_and_b64 s[2:3], s[2:3], exec
	s_or_saveexec_b64 s[4:5], s[4:5]
	v_mov_b32_e32 v13, 0x7f800001
	s_xor_b64 exec, exec, s[4:5]
	s_cbranch_execnz .LBB35_1360
.LBB35_1340:
	s_or_b64 exec, exec, s[4:5]
	s_and_saveexec_b64 s[4:5], s[2:3]
	s_cbranch_execz .LBB35_1342
.LBB35_1341:
	v_lshlrev_b32_e32 v13, 24, v8
	v_and_b32_e32 v8, 0xffff, v8
	v_and_b32_e32 v14, 3, v8
	v_ffbh_u32_e32 v16, v14
	v_min_u32_e32 v16, 32, v16
	v_subrev_u32_e32 v17, 29, v16
	v_bfe_u32 v15, v8, 2, 5
	v_lshlrev_b32_e32 v8, v17, v8
	v_sub_u32_e32 v16, 30, v16
	v_and_b32_e32 v8, 3, v8
	v_cmp_eq_u32_e32 vcc, 0, v15
	v_cndmask_b32_e32 v15, v15, v16, vcc
	v_cndmask_b32_e32 v8, v14, v8, vcc
	v_mov_b32_e32 v14, 0x37800000
	v_lshlrev_b32_e32 v8, 21, v8
	v_and_b32_e32 v13, 0x80000000, v13
	v_lshl_add_u32 v14, v15, 23, v14
	v_or3_b32 v13, v13, v14, v8
.LBB35_1342:
	s_or_b64 exec, exec, s[4:5]
	v_bfe_u32 v8, v13, 16, 1
	s_movk_i32 s2, 0x7fff
	v_add3_u32 v8, v13, v8, s2
	v_cmp_o_f32_e32 vcc, v13, v13
	v_mov_b32_e32 v13, 0x7fc0
	v_cndmask_b32_sdwa v8, v13, v8, vcc dst_sel:DWORD dst_unused:UNUSED_PAD src0_sel:DWORD src1_sel:WORD_1
	s_mov_b64 s[2:3], 0
	s_branch .LBB35_1348
.LBB35_1343:
	s_mov_b64 s[2:3], -1
                                        ; implicit-def: $vgpr8
	s_branch .LBB35_1354
.LBB35_1344:
	s_or_saveexec_b64 s[14:15], s[14:15]
	v_mov_b32_e32 v13, 0x7f800001
	s_xor_b64 exec, exec, s[14:15]
	s_cbranch_execz .LBB35_1328
.LBB35_1345:
	v_cmp_ne_u16_e32 vcc, 0, v8
	s_andn2_b64 s[4:5], s[4:5], exec
	s_and_b64 s[16:17], vcc, exec
	v_mov_b32_e32 v13, 0
	s_or_b64 s[4:5], s[4:5], s[16:17]
	s_or_b64 exec, exec, s[14:15]
	s_and_saveexec_b64 s[14:15], s[4:5]
	s_cbranch_execnz .LBB35_1329
	s_branch .LBB35_1330
.LBB35_1346:
	s_mov_b64 s[2:3], -1
                                        ; implicit-def: $vgpr8
	s_branch .LBB35_1351
.LBB35_1347:
	s_mov_b64 s[2:3], -1
                                        ; implicit-def: $vgpr8
.LBB35_1348:
	s_and_b64 vcc, exec, s[2:3]
	s_cbranch_vccz .LBB35_1350
; %bb.1349:
	global_load_ubyte v8, v[10:11], off
	s_mov_b32 s2, 0x7f800000
	s_brev_b32 s3, 1
	s_movk_i32 s4, 0x7fff
	s_waitcnt vmcnt(0)
	v_lshlrev_b32_e32 v8, 24, v8
	v_and_b32_e32 v13, 0x7f000000, v8
	v_ffbh_u32_e32 v14, v13
	v_min_u32_e32 v14, 32, v14
	v_sub_u32_e64 v14, v14, 4 clamp
	v_lshlrev_b32_e32 v16, v14, v13
	v_lshlrev_b32_e32 v14, 23, v14
	v_lshrrev_b32_e32 v16, 4, v16
	v_add_u32_e32 v15, 0x1000000, v13
	v_sub_u32_e32 v14, v16, v14
	v_ashrrev_i32_e32 v15, 8, v15
	v_add_u32_e32 v14, 0x3c000000, v14
	v_and_or_b32 v14, v15, s2, v14
	v_cmp_ne_u32_e32 vcc, 0, v13
	v_cndmask_b32_e32 v13, 0, v14, vcc
	v_and_or_b32 v8, v8, s3, v13
	v_bfe_u32 v13, v13, 16, 1
	v_add3_u32 v13, v8, v13, s4
	v_cmp_o_f32_e32 vcc, v8, v8
	v_mov_b32_e32 v8, 0x7fc0
	v_cndmask_b32_sdwa v8, v8, v13, vcc dst_sel:DWORD dst_unused:UNUSED_PAD src0_sel:DWORD src1_sel:WORD_1
.LBB35_1350:
	s_mov_b64 s[2:3], 0
.LBB35_1351:
	s_andn2_b64 vcc, exec, s[2:3]
	s_cbranch_vccnz .LBB35_1353
; %bb.1352:
	global_load_ubyte v8, v[10:11], off
	s_movk_i32 s2, 0x7f00
	s_brev_b32 s3, 16
	s_brev_b32 s4, 1
	s_movk_i32 s5, 0x7fff
	s_waitcnt vmcnt(0)
	v_lshlrev_b16_e32 v13, 8, v8
	v_lshlrev_b32_e32 v8, 25, v8
	v_lshrrev_b32_e32 v14, 4, v8
	v_and_or_b32 v15, v13, s2, 0.5
	v_or_b32_e32 v14, 0x70000000, v14
	v_add_f32_e32 v15, -0.5, v15
	v_mul_f32_e32 v14, 0x7800000, v14
	v_cmp_gt_u32_e32 vcc, s3, v8
	v_bfe_i32 v13, v13, 0, 16
	v_cndmask_b32_e32 v8, v14, v15, vcc
	v_and_or_b32 v13, v13, s4, v8
	v_bfe_u32 v8, v8, 16, 1
	v_add3_u32 v8, v13, v8, s5
	v_cmp_o_f32_e32 vcc, v13, v13
	v_mov_b32_e32 v13, 0x7fc0
	v_cndmask_b32_sdwa v8, v13, v8, vcc dst_sel:DWORD dst_unused:UNUSED_PAD src0_sel:DWORD src1_sel:WORD_1
.LBB35_1353:
	s_mov_b64 s[2:3], 0
	s_mov_b64 s[4:5], -1
.LBB35_1354:
	s_andn2_b64 vcc, exec, s[2:3]
	s_mov_b64 s[2:3], 0
	s_cbranch_vccnz .LBB35_1365
; %bb.1355:
	s_cmp_gt_i32 s20, 14
	s_cbranch_scc0 .LBB35_1358
; %bb.1356:
	s_cmp_eq_u32 s20, 15
	s_cbranch_scc0 .LBB35_1361
; %bb.1357:
	global_load_ushort v8, v[10:11], off
	s_mov_b64 s[0:1], 0
	s_mov_b64 s[4:5], -1
	s_branch .LBB35_1362
.LBB35_1358:
	s_mov_b64 s[14:15], -1
                                        ; implicit-def: $vgpr8
	s_branch .LBB35_1363
.LBB35_1359:
	s_or_saveexec_b64 s[4:5], s[4:5]
	v_mov_b32_e32 v13, 0x7f800001
	s_xor_b64 exec, exec, s[4:5]
	s_cbranch_execz .LBB35_1340
.LBB35_1360:
	v_cmp_ne_u16_e32 vcc, 0, v8
	s_andn2_b64 s[2:3], s[2:3], exec
	s_and_b64 s[14:15], vcc, exec
	v_mov_b32_e32 v13, 0
	s_or_b64 s[2:3], s[2:3], s[14:15]
	s_or_b64 exec, exec, s[4:5]
	s_and_saveexec_b64 s[4:5], s[2:3]
	s_cbranch_execnz .LBB35_1341
	s_branch .LBB35_1342
.LBB35_1361:
	s_mov_b64 s[0:1], -1
                                        ; implicit-def: $vgpr8
.LBB35_1362:
	s_mov_b64 s[14:15], 0
.LBB35_1363:
	s_and_b64 vcc, exec, s[14:15]
	s_cbranch_vccz .LBB35_1365
; %bb.1364:
	s_cmp_lg_u32 s20, 11
	s_mov_b64 s[2:3], -1
	s_cselect_b64 s[0:1], -1, 0
.LBB35_1365:
	s_and_b64 vcc, exec, s[0:1]
	s_cbranch_vccnz .LBB35_1432
; %bb.1366:
	s_andn2_b64 vcc, exec, s[2:3]
	s_cbranch_vccnz .LBB35_1368
.LBB35_1367:
	global_load_ubyte v8, v[10:11], off
	s_mov_b64 s[4:5], -1
	s_waitcnt vmcnt(0)
	v_cmp_ne_u16_e32 vcc, 0, v8
	v_cndmask_b32_e64 v8, 0, 1.0, vcc
	v_lshrrev_b32_e32 v8, 16, v8
.LBB35_1368:
	s_branch .LBB35_1295
.LBB35_1369:
	s_and_b32 s2, 0xffff, s19
	s_cmp_lt_i32 s2, 5
	s_cbranch_scc1 .LBB35_1374
; %bb.1370:
	s_cmp_lt_i32 s2, 8
	s_cbranch_scc1 .LBB35_1375
; %bb.1371:
	;; [unrolled: 3-line block ×3, first 2 shown]
	s_cmp_gt_i32 s2, 9
	s_cbranch_scc0 .LBB35_1377
; %bb.1373:
	global_load_dwordx2 v[13:14], v[10:11], off
	s_movk_i32 s0, 0x7fff
	s_waitcnt vmcnt(0)
	v_cvt_f32_f64_e32 v8, v[13:14]
	v_mov_b32_e32 v13, 0x7fc0
	v_bfe_u32 v14, v8, 16, 1
	v_cmp_o_f32_e32 vcc, v8, v8
	v_add3_u32 v8, v8, v14, s0
	v_cndmask_b32_sdwa v8, v13, v8, vcc dst_sel:DWORD dst_unused:UNUSED_PAD src0_sel:DWORD src1_sel:WORD_1
	s_mov_b64 s[0:1], 0
	s_branch .LBB35_1378
.LBB35_1374:
                                        ; implicit-def: $vgpr8
	s_branch .LBB35_1396
.LBB35_1375:
	s_mov_b64 s[0:1], -1
                                        ; implicit-def: $vgpr8
	s_branch .LBB35_1384
.LBB35_1376:
	s_mov_b64 s[0:1], -1
                                        ; implicit-def: $vgpr8
	s_branch .LBB35_1381
.LBB35_1377:
	s_mov_b64 s[0:1], -1
                                        ; implicit-def: $vgpr8
.LBB35_1378:
	s_andn2_b64 vcc, exec, s[0:1]
	s_cbranch_vccnz .LBB35_1380
; %bb.1379:
	global_load_dword v8, v[10:11], off
	s_movk_i32 s0, 0x7fff
	v_mov_b32_e32 v13, 0x7fc0
	s_waitcnt vmcnt(0)
	v_bfe_u32 v14, v8, 16, 1
	v_cmp_o_f32_e32 vcc, v8, v8
	v_add3_u32 v8, v8, v14, s0
	v_cndmask_b32_sdwa v8, v13, v8, vcc dst_sel:DWORD dst_unused:UNUSED_PAD src0_sel:DWORD src1_sel:WORD_1
.LBB35_1380:
	s_mov_b64 s[0:1], 0
.LBB35_1381:
	s_andn2_b64 vcc, exec, s[0:1]
	s_cbranch_vccnz .LBB35_1383
; %bb.1382:
	global_load_dword v8, v[10:11], off
	s_movk_i32 s0, 0x7fff
	v_mov_b32_e32 v14, 0x7fc0
	s_waitcnt vmcnt(0)
	v_cvt_f32_f16_e32 v13, v8
	v_cmp_o_f16_e32 vcc, v8, v8
	v_bfe_u32 v8, v13, 16, 1
	v_add3_u32 v8, v13, v8, s0
	v_cndmask_b32_sdwa v8, v14, v8, vcc dst_sel:DWORD dst_unused:UNUSED_PAD src0_sel:DWORD src1_sel:WORD_1
.LBB35_1383:
	s_mov_b64 s[0:1], 0
.LBB35_1384:
	s_andn2_b64 vcc, exec, s[0:1]
	s_cbranch_vccnz .LBB35_1395
; %bb.1385:
	s_cmp_lt_i32 s2, 6
	s_cbranch_scc1 .LBB35_1388
; %bb.1386:
	s_cmp_gt_i32 s2, 6
	s_cbranch_scc0 .LBB35_1389
; %bb.1387:
	global_load_dwordx2 v[13:14], v[10:11], off
	s_movk_i32 s0, 0x7fff
	s_waitcnt vmcnt(0)
	v_cvt_f32_f64_e32 v8, v[13:14]
	v_mov_b32_e32 v13, 0x7fc0
	v_bfe_u32 v14, v8, 16, 1
	v_cmp_o_f32_e32 vcc, v8, v8
	v_add3_u32 v8, v8, v14, s0
	v_cndmask_b32_sdwa v8, v13, v8, vcc dst_sel:DWORD dst_unused:UNUSED_PAD src0_sel:DWORD src1_sel:WORD_1
	s_mov_b64 s[0:1], 0
	s_branch .LBB35_1390
.LBB35_1388:
	s_mov_b64 s[0:1], -1
                                        ; implicit-def: $vgpr8
	s_branch .LBB35_1393
.LBB35_1389:
	s_mov_b64 s[0:1], -1
                                        ; implicit-def: $vgpr8
.LBB35_1390:
	s_andn2_b64 vcc, exec, s[0:1]
	s_cbranch_vccnz .LBB35_1392
; %bb.1391:
	global_load_dword v8, v[10:11], off
	s_movk_i32 s0, 0x7fff
	v_mov_b32_e32 v13, 0x7fc0
	s_waitcnt vmcnt(0)
	v_bfe_u32 v14, v8, 16, 1
	v_cmp_o_f32_e32 vcc, v8, v8
	v_add3_u32 v8, v8, v14, s0
	v_cndmask_b32_sdwa v8, v13, v8, vcc dst_sel:DWORD dst_unused:UNUSED_PAD src0_sel:DWORD src1_sel:WORD_1
.LBB35_1392:
	s_mov_b64 s[0:1], 0
.LBB35_1393:
	s_andn2_b64 vcc, exec, s[0:1]
	s_cbranch_vccnz .LBB35_1395
; %bb.1394:
	global_load_ushort v8, v[10:11], off
	s_movk_i32 s0, 0x7fff
	v_mov_b32_e32 v14, 0x7fc0
	s_waitcnt vmcnt(0)
	v_cvt_f32_f16_e32 v13, v8
	v_cmp_o_f16_e32 vcc, v8, v8
	v_bfe_u32 v8, v13, 16, 1
	v_add3_u32 v8, v13, v8, s0
	v_cndmask_b32_sdwa v8, v14, v8, vcc dst_sel:DWORD dst_unused:UNUSED_PAD src0_sel:DWORD src1_sel:WORD_1
.LBB35_1395:
	s_cbranch_execnz .LBB35_1415
.LBB35_1396:
	s_cmp_lt_i32 s2, 2
	s_cbranch_scc1 .LBB35_1400
; %bb.1397:
	s_cmp_lt_i32 s2, 3
	s_cbranch_scc1 .LBB35_1401
; %bb.1398:
	s_cmp_gt_i32 s2, 3
	s_cbranch_scc0 .LBB35_1402
; %bb.1399:
	global_load_dwordx2 v[13:14], v[10:11], off
	s_movk_i32 s0, 0x7fff
	s_waitcnt vmcnt(0)
	v_xor_b32_e32 v15, v13, v14
	v_ffbh_i32_e32 v8, v14
	v_ashrrev_i32_e32 v15, 31, v15
	v_add_u32_e32 v8, -1, v8
	v_add_u32_e32 v15, 32, v15
	v_min_u32_e32 v8, v8, v15
	v_lshlrev_b64 v[13:14], v8, v[13:14]
	v_sub_u32_e32 v8, 32, v8
	v_min_u32_e32 v13, 1, v13
	v_or_b32_e32 v13, v14, v13
	v_cvt_f32_i32_e32 v13, v13
	v_ldexp_f32 v8, v13, v8
	v_bfe_u32 v13, v8, 16, 1
	v_add3_u32 v8, v8, v13, s0
	v_lshrrev_b32_e32 v8, 16, v8
	s_mov_b64 s[0:1], 0
	s_branch .LBB35_1403
.LBB35_1400:
	s_mov_b64 s[0:1], -1
                                        ; implicit-def: $vgpr8
	s_branch .LBB35_1409
.LBB35_1401:
	s_mov_b64 s[0:1], -1
                                        ; implicit-def: $vgpr8
	s_branch .LBB35_1406
.LBB35_1402:
	s_mov_b64 s[0:1], -1
                                        ; implicit-def: $vgpr8
.LBB35_1403:
	s_andn2_b64 vcc, exec, s[0:1]
	s_cbranch_vccnz .LBB35_1405
; %bb.1404:
	global_load_dword v8, v[10:11], off
	s_movk_i32 s0, 0x7fff
	s_waitcnt vmcnt(0)
	v_cvt_f32_i32_e32 v8, v8
	v_bfe_u32 v13, v8, 16, 1
	v_add3_u32 v8, v8, v13, s0
	v_lshrrev_b32_e32 v8, 16, v8
.LBB35_1405:
	s_mov_b64 s[0:1], 0
.LBB35_1406:
	s_andn2_b64 vcc, exec, s[0:1]
	s_cbranch_vccnz .LBB35_1408
; %bb.1407:
	global_load_sshort v8, v[10:11], off
	s_movk_i32 s0, 0x7fff
	s_waitcnt vmcnt(0)
	v_cvt_f32_i32_e32 v8, v8
	v_bfe_u32 v13, v8, 16, 1
	v_add3_u32 v8, v8, v13, s0
	v_lshrrev_b32_e32 v8, 16, v8
.LBB35_1408:
	s_mov_b64 s[0:1], 0
.LBB35_1409:
	s_andn2_b64 vcc, exec, s[0:1]
	s_cbranch_vccnz .LBB35_1415
; %bb.1410:
	s_cmp_gt_i32 s2, 0
	s_cbranch_scc0 .LBB35_1412
; %bb.1411:
	global_load_sbyte v8, v[10:11], off
	s_movk_i32 s0, 0x7fff
	s_waitcnt vmcnt(0)
	v_cvt_f32_i32_e32 v8, v8
	v_bfe_u32 v13, v8, 16, 1
	v_add3_u32 v8, v8, v13, s0
	v_lshrrev_b32_e32 v8, 16, v8
	s_mov_b64 s[0:1], 0
	s_branch .LBB35_1413
.LBB35_1412:
	s_mov_b64 s[0:1], -1
                                        ; implicit-def: $vgpr8
.LBB35_1413:
	s_andn2_b64 vcc, exec, s[0:1]
	s_cbranch_vccnz .LBB35_1415
; %bb.1414:
	global_load_ubyte v8, v[10:11], off
	s_movk_i32 s0, 0x7fff
	s_waitcnt vmcnt(0)
	v_cvt_f32_ubyte0_e32 v8, v8
	v_bfe_u32 v10, v8, 16, 1
	v_add3_u32 v8, v8, v10, s0
	v_lshrrev_b32_e32 v8, 16, v8
.LBB35_1415:
.LBB35_1416:
	s_waitcnt vmcnt(0)
	v_lshlrev_b32_e32 v10, 16, v8
	s_brev_b32 s0, 18
	v_and_b32_e32 v11, 0x7fffffff, v10
	v_cmp_nlt_f32_e64 s[0:1], |v10|, s0
                                        ; implicit-def: $vgpr13
                                        ; implicit-def: $vgpr14
	s_and_saveexec_b64 s[2:3], s[0:1]
	s_xor_b64 s[14:15], exec, s[2:3]
	s_cbranch_execz .LBB35_1418
; %bb.1417:
	v_and_b32_e32 v8, 0x7fffff, v11
	v_or_b32_e32 v8, 0x800000, v8
	s_mov_b32 s0, 0xfe5163ab
	v_mad_u64_u32 v[13:14], s[0:1], v8, s0, 0
	v_mov_b32_e32 v15, 0
	s_mov_b32 s0, 0x3c439041
	v_mad_u64_u32 v[16:17], s[0:1], v8, s0, v[14:15]
	s_mov_b32 s0, 0xdb629599
	v_not_b32_e32 v21, 63
	v_mov_b32_e32 v14, v17
	v_mad_u64_u32 v[17:18], s[0:1], v8, s0, v[14:15]
	s_mov_b32 s0, 0xf534ddc0
	v_not_b32_e32 v23, 31
	v_mov_b32_e32 v14, v18
	v_mad_u64_u32 v[18:19], s[0:1], v8, s0, v[14:15]
	v_lshrrev_b32_e32 v14, 23, v11
	v_add_u32_e32 v22, 0xffffff88, v14
	v_mov_b32_e32 v14, v19
	s_mov_b32 s0, 0xfc2757d1
	v_mad_u64_u32 v[19:20], s[0:1], v8, s0, v[14:15]
	v_cmp_lt_u32_e32 vcc, 63, v22
	v_cndmask_b32_e32 v14, 0, v21, vcc
	v_add_u32_e32 v22, v14, v22
	v_mov_b32_e32 v14, v20
	s_mov_b32 s0, 0x4e441529
	v_mad_u64_u32 v[20:21], s[0:1], v8, s0, v[14:15]
	v_cmp_lt_u32_e64 s[0:1], 31, v22
	v_cndmask_b32_e64 v14, 0, v23, s[0:1]
	v_add_u32_e32 v22, v14, v22
	v_mov_b32_e32 v14, v21
	s_mov_b32 s2, 0xa2f9836e
	v_mad_u64_u32 v[14:15], s[2:3], v8, s2, v[14:15]
	v_cmp_lt_u32_e64 s[2:3], 31, v22
	v_cndmask_b32_e64 v8, 0, v23, s[2:3]
	v_cndmask_b32_e32 v21, v20, v18, vcc
	v_cndmask_b32_e32 v14, v14, v19, vcc
	;; [unrolled: 1-line block ×3, first 2 shown]
	v_add_u32_e32 v8, v8, v22
	v_cndmask_b32_e64 v22, v14, v21, s[0:1]
	v_cndmask_b32_e64 v14, v15, v14, s[0:1]
	v_cndmask_b32_e32 v15, v19, v17, vcc
	v_cndmask_b32_e64 v19, v21, v15, s[0:1]
	v_cndmask_b32_e64 v14, v14, v22, s[2:3]
	;; [unrolled: 1-line block ×3, first 2 shown]
	v_sub_u32_e32 v21, 32, v8
	v_alignbit_b32 v22, v14, v20, v21
	v_cmp_eq_u32_e64 s[4:5], 0, v8
	v_cndmask_b32_e64 v8, v22, v14, s[4:5]
	v_cndmask_b32_e32 v14, v18, v16, vcc
	v_cndmask_b32_e64 v15, v15, v14, s[0:1]
	v_cndmask_b32_e64 v16, v19, v15, s[2:3]
	v_alignbit_b32 v18, v20, v16, v21
	v_cndmask_b32_e32 v13, v17, v13, vcc
	v_cndmask_b32_e64 v18, v18, v20, s[4:5]
	v_bfe_u32 v22, v8, 29, 1
	v_cndmask_b32_e64 v13, v14, v13, s[0:1]
	v_alignbit_b32 v19, v8, v18, 30
	v_sub_u32_e32 v23, 0, v22
	v_cndmask_b32_e64 v13, v15, v13, s[2:3]
	v_xor_b32_e32 v19, v19, v23
	v_alignbit_b32 v14, v16, v13, v21
	v_cndmask_b32_e64 v14, v14, v16, s[4:5]
	v_ffbh_u32_e32 v16, v19
	v_alignbit_b32 v15, v18, v14, 30
	v_min_u32_e32 v16, 32, v16
	v_alignbit_b32 v13, v14, v13, 30
	v_xor_b32_e32 v15, v15, v23
	v_sub_u32_e32 v17, 31, v16
	v_xor_b32_e32 v13, v13, v23
	v_alignbit_b32 v18, v19, v15, v17
	v_alignbit_b32 v13, v15, v13, v17
	;; [unrolled: 1-line block ×3, first 2 shown]
	v_ffbh_u32_e32 v15, v14
	v_min_u32_e32 v15, 32, v15
	v_lshrrev_b32_e32 v20, 29, v8
	v_not_b32_e32 v17, v15
	v_alignbit_b32 v13, v14, v13, v17
	v_lshlrev_b32_e32 v14, 31, v20
	v_or_b32_e32 v17, 0x33000000, v14
	v_add_lshl_u32 v15, v15, v16, 23
	v_lshrrev_b32_e32 v13, 9, v13
	v_sub_u32_e32 v15, v17, v15
	v_or_b32_e32 v14, 0.5, v14
	v_lshlrev_b32_e32 v16, 23, v16
	v_or_b32_e32 v13, v15, v13
	v_lshrrev_b32_e32 v15, 9, v18
	v_sub_u32_e32 v14, v14, v16
	v_or_b32_e32 v14, v15, v14
	s_mov_b32 s0, 0x3fc90fda
	v_mul_f32_e32 v15, 0x3fc90fda, v14
	v_fma_f32 v16, v14, s0, -v15
	v_fmac_f32_e32 v16, 0x33a22168, v14
	v_fmac_f32_e32 v16, 0x3fc90fda, v13
	v_lshrrev_b32_e32 v8, 30, v8
	v_add_f32_e32 v14, v15, v16
	v_add_u32_e32 v13, v22, v8
.LBB35_1418:
	s_andn2_saveexec_b64 s[0:1], s[14:15]
	s_cbranch_execz .LBB35_1420
; %bb.1419:
	s_mov_b32 s2, 0x3f22f983
	v_mul_f32_e64 v8, |v10|, s2
	v_rndne_f32_e32 v8, v8
	s_mov_b32 s2, 0xbfc90fda
	v_cvt_i32_f32_e32 v13, v8
	v_fma_f32 v14, v8, s2, |v10|
	v_fmac_f32_e32 v14, 0xb3a22168, v8
	v_fmac_f32_e32 v14, 0xa7c234c4, v8
.LBB35_1420:
	s_or_b64 exec, exec, s[0:1]
	v_mov_b32_e32 v15, s11
	v_add_co_u32_e32 v8, vcc, s10, v9
	s_cmp_lt_i32 s19, 11
	v_addc_co_u32_e32 v9, vcc, 0, v15, vcc
	s_cbranch_scc1 .LBB35_1427
; %bb.1421:
	s_and_b32 s20, 0xffff, s19
	s_cmp_gt_i32 s20, 25
	s_mov_b64 s[2:3], 0
	s_cbranch_scc0 .LBB35_1429
; %bb.1422:
	s_cmp_gt_i32 s20, 28
	s_cbranch_scc0 .LBB35_1430
; %bb.1423:
	s_cmp_gt_i32 s20, 43
	;; [unrolled: 3-line block ×3, first 2 shown]
	s_cbranch_scc0 .LBB35_1433
; %bb.1425:
	s_cmp_eq_u32 s20, 46
	s_mov_b64 s[14:15], 0
	s_cbranch_scc0 .LBB35_1434
; %bb.1426:
	global_load_dword v15, v[8:9], off
	s_mov_b64 s[0:1], 0
	s_mov_b64 s[4:5], -1
	s_branch .LBB35_1435
.LBB35_1427:
	s_mov_b64 s[4:5], 0
                                        ; implicit-def: $vgpr15
	s_cbranch_execnz .LBB35_1501
.LBB35_1428:
	s_andn2_b64 vcc, exec, s[4:5]
	s_cbranch_vccnz .LBB35_2120
	s_branch .LBB35_1549
.LBB35_1429:
	s_mov_b64 s[14:15], -1
	s_mov_b64 s[4:5], 0
	s_mov_b64 s[0:1], 0
                                        ; implicit-def: $vgpr15
	s_branch .LBB35_1464
.LBB35_1430:
	s_mov_b64 s[14:15], -1
	s_mov_b64 s[4:5], 0
	s_mov_b64 s[0:1], 0
                                        ; implicit-def: $vgpr15
	s_branch .LBB35_1445
.LBB35_1431:
	s_mov_b64 s[14:15], -1
	s_mov_b64 s[4:5], 0
	s_mov_b64 s[0:1], 0
                                        ; implicit-def: $vgpr15
	s_branch .LBB35_1440
.LBB35_1432:
	s_trap 2
	s_or_b64 s[12:13], s[12:13], exec
	s_cbranch_execz .LBB35_1367
	s_branch .LBB35_1368
.LBB35_1433:
	s_mov_b64 s[14:15], -1
	s_mov_b64 s[4:5], 0
	s_mov_b64 s[0:1], 0
                                        ; implicit-def: $vgpr15
	s_branch .LBB35_1435
.LBB35_1434:
	s_mov_b64 s[0:1], -1
                                        ; implicit-def: $vgpr15
	s_mov_b64 s[4:5], 0
.LBB35_1435:
	s_and_b64 vcc, exec, s[14:15]
	s_cbranch_vccz .LBB35_1439
; %bb.1436:
	s_cmp_eq_u32 s20, 44
	s_cbranch_scc0 .LBB35_1438
; %bb.1437:
	global_load_ubyte v15, v[8:9], off
	s_movk_i32 s4, 0xff
	v_mov_b32_e32 v16, 0x7f800001
	v_mov_b32_e32 v17, 0x400000
	v_mov_b32_e32 v18, 0x7fc0
	s_mov_b64 s[0:1], 0
	s_waitcnt vmcnt(0)
	v_lshlrev_b32_e32 v19, 23, v15
	v_cmp_ne_u32_e32 vcc, s4, v15
	v_cndmask_b32_e32 v16, v16, v19, vcc
	v_cmp_ne_u32_e32 vcc, 0, v15
	v_cndmask_b32_e32 v15, v17, v16, vcc
	v_add_u32_e32 v16, 0x7fff, v15
	v_cmp_o_f32_e32 vcc, v15, v15
	v_cndmask_b32_sdwa v15, v18, v16, vcc dst_sel:DWORD dst_unused:UNUSED_PAD src0_sel:DWORD src1_sel:WORD_1
	s_mov_b64 s[4:5], -1
	s_branch .LBB35_1439
.LBB35_1438:
	s_mov_b64 s[0:1], -1
                                        ; implicit-def: $vgpr15
.LBB35_1439:
	s_mov_b64 s[14:15], 0
.LBB35_1440:
	s_and_b64 vcc, exec, s[14:15]
	s_cbranch_vccz .LBB35_1444
; %bb.1441:
	s_cmp_eq_u32 s20, 29
	s_cbranch_scc0 .LBB35_1443
; %bb.1442:
	global_load_dwordx2 v[15:16], v[8:9], off
	s_movk_i32 s4, 0x7fff
	s_mov_b64 s[0:1], 0
	s_mov_b64 s[14:15], 0
	s_waitcnt vmcnt(0)
	v_ffbh_u32_e32 v17, v16
	v_min_u32_e32 v17, 32, v17
	v_lshlrev_b64 v[15:16], v17, v[15:16]
	v_min_u32_e32 v15, 1, v15
	v_or_b32_e32 v15, v16, v15
	v_cvt_f32_u32_e32 v15, v15
	v_sub_u32_e32 v16, 32, v17
	v_ldexp_f32 v15, v15, v16
	v_bfe_u32 v16, v15, 16, 1
	v_add3_u32 v15, v15, v16, s4
	v_lshrrev_b32_e32 v15, 16, v15
	s_mov_b64 s[4:5], -1
	s_branch .LBB35_1445
.LBB35_1443:
	s_mov_b64 s[0:1], -1
                                        ; implicit-def: $vgpr15
.LBB35_1444:
	s_mov_b64 s[14:15], 0
.LBB35_1445:
	s_and_b64 vcc, exec, s[14:15]
	s_cbranch_vccz .LBB35_1463
; %bb.1446:
	s_cmp_lt_i32 s20, 27
	s_cbranch_scc1 .LBB35_1449
; %bb.1447:
	s_cmp_gt_i32 s20, 27
	s_cbranch_scc0 .LBB35_1450
; %bb.1448:
	global_load_dword v15, v[8:9], off
	s_movk_i32 s4, 0x7fff
	s_waitcnt vmcnt(0)
	v_cvt_f32_u32_e32 v15, v15
	v_bfe_u32 v16, v15, 16, 1
	v_add3_u32 v15, v15, v16, s4
	v_lshrrev_b32_e32 v15, 16, v15
	s_mov_b64 s[4:5], 0
	s_branch .LBB35_1451
.LBB35_1449:
	s_mov_b64 s[4:5], -1
                                        ; implicit-def: $vgpr15
	s_branch .LBB35_1454
.LBB35_1450:
	s_mov_b64 s[4:5], -1
                                        ; implicit-def: $vgpr15
.LBB35_1451:
	s_andn2_b64 vcc, exec, s[4:5]
	s_cbranch_vccnz .LBB35_1453
; %bb.1452:
	global_load_ushort v15, v[8:9], off
	s_movk_i32 s4, 0x7fff
	s_waitcnt vmcnt(0)
	v_cvt_f32_u32_e32 v15, v15
	v_bfe_u32 v16, v15, 16, 1
	v_add3_u32 v15, v15, v16, s4
	v_lshrrev_b32_e32 v15, 16, v15
.LBB35_1453:
	s_mov_b64 s[4:5], 0
.LBB35_1454:
	s_andn2_b64 vcc, exec, s[4:5]
	s_cbranch_vccnz .LBB35_1462
; %bb.1455:
	global_load_ubyte v15, v[8:9], off
	s_movk_i32 s4, 0x7f
	s_waitcnt vmcnt(0)
	v_cmp_lt_i16_e32 vcc, s4, v15
	s_mov_b64 s[4:5], 0
	s_and_saveexec_b64 s[14:15], vcc
	s_xor_b64 s[14:15], exec, s[14:15]
	s_cbranch_execz .LBB35_1476
; %bb.1456:
	s_movk_i32 s4, 0x80
	v_cmp_eq_u16_e32 vcc, s4, v15
	s_mov_b64 s[4:5], -1
	s_and_saveexec_b64 s[16:17], vcc
; %bb.1457:
	s_xor_b64 s[4:5], exec, -1
; %bb.1458:
	s_or_b64 exec, exec, s[16:17]
	s_and_b64 s[4:5], s[4:5], exec
	s_or_saveexec_b64 s[14:15], s[14:15]
	v_mov_b32_e32 v16, 0x7f800001
	s_xor_b64 exec, exec, s[14:15]
	s_cbranch_execnz .LBB35_1477
.LBB35_1459:
	s_or_b64 exec, exec, s[14:15]
	s_and_saveexec_b64 s[14:15], s[4:5]
	s_cbranch_execz .LBB35_1461
.LBB35_1460:
	v_lshlrev_b32_e32 v16, 24, v15
	v_and_b32_e32 v15, 0xffff, v15
	v_and_b32_e32 v17, 7, v15
	v_ffbh_u32_e32 v19, v17
	v_min_u32_e32 v19, 32, v19
	v_subrev_u32_e32 v20, 28, v19
	v_bfe_u32 v18, v15, 3, 4
	v_lshlrev_b32_e32 v15, v20, v15
	v_sub_u32_e32 v19, 29, v19
	v_and_b32_e32 v15, 7, v15
	v_cmp_eq_u32_e32 vcc, 0, v18
	v_cndmask_b32_e32 v18, v18, v19, vcc
	v_cndmask_b32_e32 v15, v17, v15, vcc
	v_mov_b32_e32 v17, 0x3b800000
	v_lshlrev_b32_e32 v15, 20, v15
	v_and_b32_e32 v16, 0x80000000, v16
	v_lshl_add_u32 v17, v18, 23, v17
	v_or3_b32 v16, v16, v17, v15
.LBB35_1461:
	s_or_b64 exec, exec, s[14:15]
	v_bfe_u32 v15, v16, 16, 1
	s_movk_i32 s4, 0x7fff
	v_add3_u32 v15, v16, v15, s4
	v_cmp_o_f32_e32 vcc, v16, v16
	v_mov_b32_e32 v16, 0x7fc0
	v_cndmask_b32_sdwa v15, v16, v15, vcc dst_sel:DWORD dst_unused:UNUSED_PAD src0_sel:DWORD src1_sel:WORD_1
.LBB35_1462:
	s_mov_b64 s[4:5], -1
.LBB35_1463:
	s_mov_b64 s[14:15], 0
.LBB35_1464:
	s_and_b64 vcc, exec, s[14:15]
	s_cbranch_vccz .LBB35_1497
; %bb.1465:
	s_cmp_gt_i32 s20, 22
	s_cbranch_scc0 .LBB35_1475
; %bb.1466:
	s_cmp_lt_i32 s20, 24
	s_cbranch_scc1 .LBB35_1478
; %bb.1467:
	s_cmp_gt_i32 s20, 24
	s_cbranch_scc0 .LBB35_1479
; %bb.1468:
	global_load_ubyte v15, v[8:9], off
	s_movk_i32 s2, 0x7f
	s_waitcnt vmcnt(0)
	v_cmp_lt_i16_e32 vcc, s2, v15
	s_mov_b64 s[2:3], 0
	s_and_saveexec_b64 s[4:5], vcc
	s_xor_b64 s[4:5], exec, s[4:5]
	s_cbranch_execz .LBB35_1491
; %bb.1469:
	s_movk_i32 s2, 0x80
	v_cmp_eq_u16_e32 vcc, s2, v15
	s_mov_b64 s[2:3], -1
	s_and_saveexec_b64 s[14:15], vcc
; %bb.1470:
	s_xor_b64 s[2:3], exec, -1
; %bb.1471:
	s_or_b64 exec, exec, s[14:15]
	s_and_b64 s[2:3], s[2:3], exec
	s_or_saveexec_b64 s[4:5], s[4:5]
	v_mov_b32_e32 v16, 0x7f800001
	s_xor_b64 exec, exec, s[4:5]
	s_cbranch_execnz .LBB35_1492
.LBB35_1472:
	s_or_b64 exec, exec, s[4:5]
	s_and_saveexec_b64 s[4:5], s[2:3]
	s_cbranch_execz .LBB35_1474
.LBB35_1473:
	v_lshlrev_b32_e32 v16, 24, v15
	v_and_b32_e32 v15, 0xffff, v15
	v_and_b32_e32 v17, 3, v15
	v_ffbh_u32_e32 v19, v17
	v_min_u32_e32 v19, 32, v19
	v_subrev_u32_e32 v20, 29, v19
	v_bfe_u32 v18, v15, 2, 5
	v_lshlrev_b32_e32 v15, v20, v15
	v_sub_u32_e32 v19, 30, v19
	v_and_b32_e32 v15, 3, v15
	v_cmp_eq_u32_e32 vcc, 0, v18
	v_cndmask_b32_e32 v18, v18, v19, vcc
	v_cndmask_b32_e32 v15, v17, v15, vcc
	v_mov_b32_e32 v17, 0x37800000
	v_lshlrev_b32_e32 v15, 21, v15
	v_and_b32_e32 v16, 0x80000000, v16
	v_lshl_add_u32 v17, v18, 23, v17
	v_or3_b32 v16, v16, v17, v15
.LBB35_1474:
	s_or_b64 exec, exec, s[4:5]
	v_bfe_u32 v15, v16, 16, 1
	s_movk_i32 s2, 0x7fff
	v_add3_u32 v15, v16, v15, s2
	v_cmp_o_f32_e32 vcc, v16, v16
	v_mov_b32_e32 v16, 0x7fc0
	v_cndmask_b32_sdwa v15, v16, v15, vcc dst_sel:DWORD dst_unused:UNUSED_PAD src0_sel:DWORD src1_sel:WORD_1
	s_mov_b64 s[2:3], 0
	s_branch .LBB35_1480
.LBB35_1475:
	s_mov_b64 s[2:3], -1
                                        ; implicit-def: $vgpr15
	s_branch .LBB35_1486
.LBB35_1476:
	s_or_saveexec_b64 s[14:15], s[14:15]
	v_mov_b32_e32 v16, 0x7f800001
	s_xor_b64 exec, exec, s[14:15]
	s_cbranch_execz .LBB35_1459
.LBB35_1477:
	v_cmp_ne_u16_e32 vcc, 0, v15
	s_andn2_b64 s[4:5], s[4:5], exec
	s_and_b64 s[16:17], vcc, exec
	v_mov_b32_e32 v16, 0
	s_or_b64 s[4:5], s[4:5], s[16:17]
	s_or_b64 exec, exec, s[14:15]
	s_and_saveexec_b64 s[14:15], s[4:5]
	s_cbranch_execnz .LBB35_1460
	s_branch .LBB35_1461
.LBB35_1478:
	s_mov_b64 s[2:3], -1
                                        ; implicit-def: $vgpr15
	s_branch .LBB35_1483
.LBB35_1479:
	s_mov_b64 s[2:3], -1
                                        ; implicit-def: $vgpr15
.LBB35_1480:
	s_and_b64 vcc, exec, s[2:3]
	s_cbranch_vccz .LBB35_1482
; %bb.1481:
	global_load_ubyte v15, v[8:9], off
	s_mov_b32 s2, 0x7f800000
	s_brev_b32 s3, 1
	s_movk_i32 s4, 0x7fff
	s_waitcnt vmcnt(0)
	v_lshlrev_b32_e32 v15, 24, v15
	v_and_b32_e32 v16, 0x7f000000, v15
	v_ffbh_u32_e32 v17, v16
	v_min_u32_e32 v17, 32, v17
	v_sub_u32_e64 v17, v17, 4 clamp
	v_lshlrev_b32_e32 v19, v17, v16
	v_lshlrev_b32_e32 v17, 23, v17
	v_lshrrev_b32_e32 v19, 4, v19
	v_add_u32_e32 v18, 0x1000000, v16
	v_sub_u32_e32 v17, v19, v17
	v_ashrrev_i32_e32 v18, 8, v18
	v_add_u32_e32 v17, 0x3c000000, v17
	v_and_or_b32 v17, v18, s2, v17
	v_cmp_ne_u32_e32 vcc, 0, v16
	v_cndmask_b32_e32 v16, 0, v17, vcc
	v_and_or_b32 v15, v15, s3, v16
	v_bfe_u32 v16, v16, 16, 1
	v_add3_u32 v16, v15, v16, s4
	v_cmp_o_f32_e32 vcc, v15, v15
	v_mov_b32_e32 v15, 0x7fc0
	v_cndmask_b32_sdwa v15, v15, v16, vcc dst_sel:DWORD dst_unused:UNUSED_PAD src0_sel:DWORD src1_sel:WORD_1
.LBB35_1482:
	s_mov_b64 s[2:3], 0
.LBB35_1483:
	s_andn2_b64 vcc, exec, s[2:3]
	s_cbranch_vccnz .LBB35_1485
; %bb.1484:
	global_load_ubyte v15, v[8:9], off
	s_movk_i32 s2, 0x7f00
	s_brev_b32 s3, 16
	s_brev_b32 s4, 1
	s_movk_i32 s5, 0x7fff
	s_waitcnt vmcnt(0)
	v_lshlrev_b16_e32 v16, 8, v15
	v_lshlrev_b32_e32 v15, 25, v15
	v_lshrrev_b32_e32 v17, 4, v15
	v_and_or_b32 v18, v16, s2, 0.5
	v_or_b32_e32 v17, 0x70000000, v17
	v_add_f32_e32 v18, -0.5, v18
	v_mul_f32_e32 v17, 0x7800000, v17
	v_cmp_gt_u32_e32 vcc, s3, v15
	v_bfe_i32 v16, v16, 0, 16
	v_cndmask_b32_e32 v15, v17, v18, vcc
	v_and_or_b32 v16, v16, s4, v15
	v_bfe_u32 v15, v15, 16, 1
	v_add3_u32 v15, v16, v15, s5
	v_cmp_o_f32_e32 vcc, v16, v16
	v_mov_b32_e32 v16, 0x7fc0
	v_cndmask_b32_sdwa v15, v16, v15, vcc dst_sel:DWORD dst_unused:UNUSED_PAD src0_sel:DWORD src1_sel:WORD_1
.LBB35_1485:
	s_mov_b64 s[2:3], 0
	s_mov_b64 s[4:5], -1
.LBB35_1486:
	s_andn2_b64 vcc, exec, s[2:3]
	s_mov_b64 s[2:3], 0
	s_cbranch_vccnz .LBB35_1497
; %bb.1487:
	s_cmp_gt_i32 s20, 14
	s_cbranch_scc0 .LBB35_1490
; %bb.1488:
	s_cmp_eq_u32 s20, 15
	s_cbranch_scc0 .LBB35_1493
; %bb.1489:
	global_load_ushort v15, v[8:9], off
	s_mov_b64 s[0:1], 0
	s_mov_b64 s[4:5], -1
	s_branch .LBB35_1494
.LBB35_1490:
	s_mov_b64 s[14:15], -1
                                        ; implicit-def: $vgpr15
	s_branch .LBB35_1495
.LBB35_1491:
	s_or_saveexec_b64 s[4:5], s[4:5]
	v_mov_b32_e32 v16, 0x7f800001
	s_xor_b64 exec, exec, s[4:5]
	s_cbranch_execz .LBB35_1472
.LBB35_1492:
	v_cmp_ne_u16_e32 vcc, 0, v15
	s_andn2_b64 s[2:3], s[2:3], exec
	s_and_b64 s[14:15], vcc, exec
	v_mov_b32_e32 v16, 0
	s_or_b64 s[2:3], s[2:3], s[14:15]
	s_or_b64 exec, exec, s[4:5]
	s_and_saveexec_b64 s[4:5], s[2:3]
	s_cbranch_execnz .LBB35_1473
	s_branch .LBB35_1474
.LBB35_1493:
	s_mov_b64 s[0:1], -1
                                        ; implicit-def: $vgpr15
.LBB35_1494:
	s_mov_b64 s[14:15], 0
.LBB35_1495:
	s_and_b64 vcc, exec, s[14:15]
	s_cbranch_vccz .LBB35_1497
; %bb.1496:
	s_cmp_lg_u32 s20, 11
	s_mov_b64 s[2:3], -1
	s_cselect_b64 s[0:1], -1, 0
.LBB35_1497:
	s_and_b64 vcc, exec, s[0:1]
	s_cbranch_vccnz .LBB35_1564
; %bb.1498:
	s_andn2_b64 vcc, exec, s[2:3]
	s_cbranch_vccnz .LBB35_1500
.LBB35_1499:
	global_load_ubyte v15, v[8:9], off
	s_mov_b64 s[4:5], -1
	s_waitcnt vmcnt(0)
	v_cmp_ne_u16_e32 vcc, 0, v15
	v_cndmask_b32_e64 v15, 0, 1.0, vcc
	v_lshrrev_b32_e32 v15, 16, v15
.LBB35_1500:
	s_branch .LBB35_1428
.LBB35_1501:
	s_and_b32 s2, 0xffff, s19
	s_cmp_lt_i32 s2, 5
	s_cbranch_scc1 .LBB35_1506
; %bb.1502:
	s_cmp_lt_i32 s2, 8
	s_cbranch_scc1 .LBB35_1507
; %bb.1503:
	s_cmp_lt_i32 s2, 9
	s_cbranch_scc1 .LBB35_1508
; %bb.1504:
	s_cmp_gt_i32 s2, 9
	s_cbranch_scc0 .LBB35_1509
; %bb.1505:
	global_load_dwordx2 v[15:16], v[8:9], off
	s_movk_i32 s0, 0x7fff
	s_waitcnt vmcnt(0)
	v_cvt_f32_f64_e32 v15, v[15:16]
	v_mov_b32_e32 v16, 0x7fc0
	v_bfe_u32 v17, v15, 16, 1
	v_cmp_o_f32_e32 vcc, v15, v15
	v_add3_u32 v15, v15, v17, s0
	v_cndmask_b32_sdwa v15, v16, v15, vcc dst_sel:DWORD dst_unused:UNUSED_PAD src0_sel:DWORD src1_sel:WORD_1
	s_mov_b64 s[0:1], 0
	s_branch .LBB35_1510
.LBB35_1506:
	s_mov_b64 s[0:1], -1
                                        ; implicit-def: $vgpr15
	s_branch .LBB35_1528
.LBB35_1507:
	s_mov_b64 s[0:1], -1
                                        ; implicit-def: $vgpr15
	s_branch .LBB35_1516
.LBB35_1508:
	s_mov_b64 s[0:1], -1
                                        ; implicit-def: $vgpr15
	s_branch .LBB35_1513
.LBB35_1509:
	s_mov_b64 s[0:1], -1
                                        ; implicit-def: $vgpr15
.LBB35_1510:
	s_andn2_b64 vcc, exec, s[0:1]
	s_cbranch_vccnz .LBB35_1512
; %bb.1511:
	global_load_dword v15, v[8:9], off
	s_movk_i32 s0, 0x7fff
	v_mov_b32_e32 v16, 0x7fc0
	s_waitcnt vmcnt(0)
	v_bfe_u32 v17, v15, 16, 1
	v_cmp_o_f32_e32 vcc, v15, v15
	v_add3_u32 v15, v15, v17, s0
	v_cndmask_b32_sdwa v15, v16, v15, vcc dst_sel:DWORD dst_unused:UNUSED_PAD src0_sel:DWORD src1_sel:WORD_1
.LBB35_1512:
	s_mov_b64 s[0:1], 0
.LBB35_1513:
	s_andn2_b64 vcc, exec, s[0:1]
	s_cbranch_vccnz .LBB35_1515
; %bb.1514:
	global_load_dword v15, v[8:9], off
	s_movk_i32 s0, 0x7fff
	v_mov_b32_e32 v17, 0x7fc0
	s_waitcnt vmcnt(0)
	v_cvt_f32_f16_e32 v16, v15
	v_cmp_o_f16_e32 vcc, v15, v15
	v_bfe_u32 v15, v16, 16, 1
	v_add3_u32 v15, v16, v15, s0
	v_cndmask_b32_sdwa v15, v17, v15, vcc dst_sel:DWORD dst_unused:UNUSED_PAD src0_sel:DWORD src1_sel:WORD_1
.LBB35_1515:
	s_mov_b64 s[0:1], 0
.LBB35_1516:
	s_andn2_b64 vcc, exec, s[0:1]
	s_cbranch_vccnz .LBB35_1527
; %bb.1517:
	s_cmp_lt_i32 s2, 6
	s_cbranch_scc1 .LBB35_1520
; %bb.1518:
	s_cmp_gt_i32 s2, 6
	s_cbranch_scc0 .LBB35_1521
; %bb.1519:
	global_load_dwordx2 v[15:16], v[8:9], off
	s_movk_i32 s0, 0x7fff
	s_waitcnt vmcnt(0)
	v_cvt_f32_f64_e32 v15, v[15:16]
	v_mov_b32_e32 v16, 0x7fc0
	v_bfe_u32 v17, v15, 16, 1
	v_cmp_o_f32_e32 vcc, v15, v15
	v_add3_u32 v15, v15, v17, s0
	v_cndmask_b32_sdwa v15, v16, v15, vcc dst_sel:DWORD dst_unused:UNUSED_PAD src0_sel:DWORD src1_sel:WORD_1
	s_mov_b64 s[0:1], 0
	s_branch .LBB35_1522
.LBB35_1520:
	s_mov_b64 s[0:1], -1
                                        ; implicit-def: $vgpr15
	s_branch .LBB35_1525
.LBB35_1521:
	s_mov_b64 s[0:1], -1
                                        ; implicit-def: $vgpr15
.LBB35_1522:
	s_andn2_b64 vcc, exec, s[0:1]
	s_cbranch_vccnz .LBB35_1524
; %bb.1523:
	global_load_dword v15, v[8:9], off
	s_movk_i32 s0, 0x7fff
	v_mov_b32_e32 v16, 0x7fc0
	s_waitcnt vmcnt(0)
	v_bfe_u32 v17, v15, 16, 1
	v_cmp_o_f32_e32 vcc, v15, v15
	v_add3_u32 v15, v15, v17, s0
	v_cndmask_b32_sdwa v15, v16, v15, vcc dst_sel:DWORD dst_unused:UNUSED_PAD src0_sel:DWORD src1_sel:WORD_1
.LBB35_1524:
	s_mov_b64 s[0:1], 0
.LBB35_1525:
	s_andn2_b64 vcc, exec, s[0:1]
	s_cbranch_vccnz .LBB35_1527
; %bb.1526:
	global_load_ushort v15, v[8:9], off
	s_movk_i32 s0, 0x7fff
	v_mov_b32_e32 v17, 0x7fc0
	s_waitcnt vmcnt(0)
	v_cvt_f32_f16_e32 v16, v15
	v_cmp_o_f16_e32 vcc, v15, v15
	v_bfe_u32 v15, v16, 16, 1
	v_add3_u32 v15, v16, v15, s0
	v_cndmask_b32_sdwa v15, v17, v15, vcc dst_sel:DWORD dst_unused:UNUSED_PAD src0_sel:DWORD src1_sel:WORD_1
.LBB35_1527:
	s_mov_b64 s[0:1], 0
.LBB35_1528:
	s_andn2_b64 vcc, exec, s[0:1]
	s_cbranch_vccnz .LBB35_1548
; %bb.1529:
	s_cmp_lt_i32 s2, 2
	s_cbranch_scc1 .LBB35_1533
; %bb.1530:
	s_cmp_lt_i32 s2, 3
	s_cbranch_scc1 .LBB35_1534
; %bb.1531:
	s_cmp_gt_i32 s2, 3
	s_cbranch_scc0 .LBB35_1535
; %bb.1532:
	global_load_dwordx2 v[15:16], v[8:9], off
	s_movk_i32 s0, 0x7fff
	s_waitcnt vmcnt(0)
	v_xor_b32_e32 v18, v15, v16
	v_ffbh_i32_e32 v17, v16
	v_ashrrev_i32_e32 v18, 31, v18
	v_add_u32_e32 v17, -1, v17
	v_add_u32_e32 v18, 32, v18
	v_min_u32_e32 v17, v17, v18
	v_lshlrev_b64 v[15:16], v17, v[15:16]
	v_min_u32_e32 v15, 1, v15
	v_or_b32_e32 v15, v16, v15
	v_cvt_f32_i32_e32 v15, v15
	v_sub_u32_e32 v16, 32, v17
	v_ldexp_f32 v15, v15, v16
	v_bfe_u32 v16, v15, 16, 1
	v_add3_u32 v15, v15, v16, s0
	v_lshrrev_b32_e32 v15, 16, v15
	s_mov_b64 s[0:1], 0
	s_branch .LBB35_1536
.LBB35_1533:
	s_mov_b64 s[0:1], -1
                                        ; implicit-def: $vgpr15
	s_branch .LBB35_1542
.LBB35_1534:
	s_mov_b64 s[0:1], -1
                                        ; implicit-def: $vgpr15
	s_branch .LBB35_1539
.LBB35_1535:
	s_mov_b64 s[0:1], -1
                                        ; implicit-def: $vgpr15
.LBB35_1536:
	s_andn2_b64 vcc, exec, s[0:1]
	s_cbranch_vccnz .LBB35_1538
; %bb.1537:
	global_load_dword v15, v[8:9], off
	s_movk_i32 s0, 0x7fff
	s_waitcnt vmcnt(0)
	v_cvt_f32_i32_e32 v15, v15
	v_bfe_u32 v16, v15, 16, 1
	v_add3_u32 v15, v15, v16, s0
	v_lshrrev_b32_e32 v15, 16, v15
.LBB35_1538:
	s_mov_b64 s[0:1], 0
.LBB35_1539:
	s_andn2_b64 vcc, exec, s[0:1]
	s_cbranch_vccnz .LBB35_1541
; %bb.1540:
	global_load_sshort v15, v[8:9], off
	s_movk_i32 s0, 0x7fff
	s_waitcnt vmcnt(0)
	v_cvt_f32_i32_e32 v15, v15
	v_bfe_u32 v16, v15, 16, 1
	v_add3_u32 v15, v15, v16, s0
	v_lshrrev_b32_e32 v15, 16, v15
.LBB35_1541:
	s_mov_b64 s[0:1], 0
.LBB35_1542:
	s_andn2_b64 vcc, exec, s[0:1]
	s_cbranch_vccnz .LBB35_1548
; %bb.1543:
	s_cmp_gt_i32 s2, 0
	s_cbranch_scc0 .LBB35_1545
; %bb.1544:
	global_load_sbyte v15, v[8:9], off
	s_movk_i32 s0, 0x7fff
	s_waitcnt vmcnt(0)
	v_cvt_f32_i32_e32 v15, v15
	v_bfe_u32 v16, v15, 16, 1
	v_add3_u32 v15, v15, v16, s0
	v_lshrrev_b32_e32 v15, 16, v15
	s_mov_b64 s[0:1], 0
	s_branch .LBB35_1546
.LBB35_1545:
	s_mov_b64 s[0:1], -1
                                        ; implicit-def: $vgpr15
.LBB35_1546:
	s_andn2_b64 vcc, exec, s[0:1]
	s_cbranch_vccnz .LBB35_1548
; %bb.1547:
	global_load_ubyte v8, v[8:9], off
	s_movk_i32 s0, 0x7fff
	s_waitcnt vmcnt(0)
	v_cvt_f32_ubyte0_e32 v8, v8
	v_bfe_u32 v9, v8, 16, 1
	v_add3_u32 v8, v8, v9, s0
	v_lshrrev_b32_e32 v15, 16, v8
.LBB35_1548:
.LBB35_1549:
	s_waitcnt vmcnt(0)
	v_lshlrev_b32_e32 v9, 16, v15
	s_brev_b32 s0, 18
	v_and_b32_e32 v15, 0x7fffffff, v9
	v_cmp_nlt_f32_e64 s[0:1], |v9|, s0
                                        ; implicit-def: $vgpr16
                                        ; implicit-def: $vgpr17
	s_and_saveexec_b64 s[2:3], s[0:1]
	s_xor_b64 s[14:15], exec, s[2:3]
	s_cbranch_execz .LBB35_1551
; %bb.1550:
	v_and_b32_e32 v8, 0x7fffff, v15
	v_or_b32_e32 v8, 0x800000, v8
	s_mov_b32 s0, 0xfe5163ab
	v_mad_u64_u32 v[16:17], s[0:1], v8, s0, 0
	v_mov_b32_e32 v18, 0
	s_mov_b32 s0, 0x3c439041
	v_mad_u64_u32 v[19:20], s[0:1], v8, s0, v[17:18]
	s_mov_b32 s0, 0xdb629599
	v_not_b32_e32 v24, 63
	v_mov_b32_e32 v17, v20
	v_mad_u64_u32 v[20:21], s[0:1], v8, s0, v[17:18]
	s_mov_b32 s0, 0xf534ddc0
	v_not_b32_e32 v26, 31
	v_mov_b32_e32 v17, v21
	v_mad_u64_u32 v[21:22], s[0:1], v8, s0, v[17:18]
	v_lshrrev_b32_e32 v17, 23, v15
	v_add_u32_e32 v25, 0xffffff88, v17
	v_mov_b32_e32 v17, v22
	s_mov_b32 s0, 0xfc2757d1
	v_mad_u64_u32 v[22:23], s[0:1], v8, s0, v[17:18]
	v_cmp_lt_u32_e32 vcc, 63, v25
	v_cndmask_b32_e32 v17, 0, v24, vcc
	v_add_u32_e32 v25, v17, v25
	v_mov_b32_e32 v17, v23
	s_mov_b32 s0, 0x4e441529
	v_mad_u64_u32 v[23:24], s[0:1], v8, s0, v[17:18]
	v_cmp_lt_u32_e64 s[0:1], 31, v25
	v_cndmask_b32_e64 v17, 0, v26, s[0:1]
	v_add_u32_e32 v25, v17, v25
	v_mov_b32_e32 v17, v24
	s_mov_b32 s2, 0xa2f9836e
	v_mad_u64_u32 v[17:18], s[2:3], v8, s2, v[17:18]
	v_cmp_lt_u32_e64 s[2:3], 31, v25
	v_cndmask_b32_e64 v8, 0, v26, s[2:3]
	v_cndmask_b32_e32 v24, v23, v21, vcc
	v_cndmask_b32_e32 v17, v17, v22, vcc
	;; [unrolled: 1-line block ×3, first 2 shown]
	v_add_u32_e32 v8, v8, v25
	v_cndmask_b32_e64 v25, v17, v24, s[0:1]
	v_cndmask_b32_e64 v17, v18, v17, s[0:1]
	v_cndmask_b32_e32 v18, v22, v20, vcc
	v_cndmask_b32_e64 v22, v24, v18, s[0:1]
	v_cndmask_b32_e64 v17, v17, v25, s[2:3]
	;; [unrolled: 1-line block ×3, first 2 shown]
	v_sub_u32_e32 v24, 32, v8
	v_alignbit_b32 v25, v17, v23, v24
	v_cmp_eq_u32_e64 s[4:5], 0, v8
	v_cndmask_b32_e64 v8, v25, v17, s[4:5]
	v_cndmask_b32_e32 v17, v21, v19, vcc
	v_cndmask_b32_e64 v18, v18, v17, s[0:1]
	v_cndmask_b32_e64 v19, v22, v18, s[2:3]
	v_alignbit_b32 v21, v23, v19, v24
	v_cndmask_b32_e32 v16, v20, v16, vcc
	v_cndmask_b32_e64 v21, v21, v23, s[4:5]
	v_bfe_u32 v25, v8, 29, 1
	v_cndmask_b32_e64 v16, v17, v16, s[0:1]
	v_alignbit_b32 v22, v8, v21, 30
	v_sub_u32_e32 v26, 0, v25
	v_cndmask_b32_e64 v16, v18, v16, s[2:3]
	v_xor_b32_e32 v22, v22, v26
	v_alignbit_b32 v17, v19, v16, v24
	v_cndmask_b32_e64 v17, v17, v19, s[4:5]
	v_ffbh_u32_e32 v19, v22
	v_alignbit_b32 v18, v21, v17, 30
	v_min_u32_e32 v19, 32, v19
	v_alignbit_b32 v16, v17, v16, 30
	v_xor_b32_e32 v18, v18, v26
	v_sub_u32_e32 v20, 31, v19
	v_xor_b32_e32 v16, v16, v26
	v_alignbit_b32 v21, v22, v18, v20
	v_alignbit_b32 v16, v18, v16, v20
	;; [unrolled: 1-line block ×3, first 2 shown]
	v_ffbh_u32_e32 v18, v17
	v_min_u32_e32 v18, 32, v18
	v_lshrrev_b32_e32 v23, 29, v8
	v_not_b32_e32 v20, v18
	v_alignbit_b32 v16, v17, v16, v20
	v_lshlrev_b32_e32 v17, 31, v23
	v_or_b32_e32 v20, 0x33000000, v17
	v_add_lshl_u32 v18, v18, v19, 23
	v_lshrrev_b32_e32 v16, 9, v16
	v_sub_u32_e32 v18, v20, v18
	v_or_b32_e32 v17, 0.5, v17
	v_lshlrev_b32_e32 v19, 23, v19
	v_or_b32_e32 v16, v18, v16
	v_lshrrev_b32_e32 v18, 9, v21
	v_sub_u32_e32 v17, v17, v19
	v_or_b32_e32 v17, v18, v17
	s_mov_b32 s0, 0x3fc90fda
	v_mul_f32_e32 v18, 0x3fc90fda, v17
	v_fma_f32 v19, v17, s0, -v18
	v_fmac_f32_e32 v19, 0x33a22168, v17
	v_fmac_f32_e32 v19, 0x3fc90fda, v16
	v_lshrrev_b32_e32 v8, 30, v8
	v_add_f32_e32 v17, v18, v19
	v_add_u32_e32 v16, v25, v8
.LBB35_1551:
	s_andn2_saveexec_b64 s[0:1], s[14:15]
	s_cbranch_execz .LBB35_1553
; %bb.1552:
	s_mov_b32 s2, 0x3f22f983
	v_mul_f32_e64 v8, |v9|, s2
	v_rndne_f32_e32 v8, v8
	s_mov_b32 s2, 0xbfc90fda
	v_cvt_i32_f32_e32 v16, v8
	v_fma_f32 v17, v8, s2, |v9|
	v_fmac_f32_e32 v17, 0xb3a22168, v8
	v_fmac_f32_e32 v17, 0xa7c234c4, v8
.LBB35_1553:
	s_or_b64 exec, exec, s[0:1]
	v_mov_b32_e32 v8, s11
	v_add_co_u32_e32 v7, vcc, s10, v7
	s_cmp_lt_i32 s19, 11
	v_addc_co_u32_e32 v8, vcc, 0, v8, vcc
	s_cbranch_scc1 .LBB35_1560
; %bb.1554:
	s_and_b32 s16, 0xffff, s19
	s_cmp_gt_i32 s16, 25
	s_mov_b64 s[2:3], 0
	s_cbranch_scc0 .LBB35_1561
; %bb.1555:
	s_cmp_gt_i32 s16, 28
	s_cbranch_scc0 .LBB35_1562
; %bb.1556:
	s_cmp_gt_i32 s16, 43
	;; [unrolled: 3-line block ×3, first 2 shown]
	s_cbranch_scc0 .LBB35_1565
; %bb.1558:
	s_cmp_eq_u32 s16, 46
	s_mov_b64 s[10:11], 0
	s_cbranch_scc0 .LBB35_1566
; %bb.1559:
	global_load_dword v18, v[7:8], off
	s_mov_b64 s[0:1], 0
	s_mov_b64 s[4:5], -1
	s_branch .LBB35_1567
.LBB35_1560:
	s_mov_b64 s[0:1], -1
	s_mov_b64 s[4:5], 0
                                        ; implicit-def: $vgpr18
	s_branch .LBB35_1633
.LBB35_1561:
	s_mov_b64 s[10:11], -1
	s_mov_b64 s[4:5], 0
	s_mov_b64 s[0:1], 0
                                        ; implicit-def: $vgpr18
	s_branch .LBB35_1596
.LBB35_1562:
	s_mov_b64 s[10:11], -1
	s_mov_b64 s[4:5], 0
	s_mov_b64 s[0:1], 0
                                        ; implicit-def: $vgpr18
	s_branch .LBB35_1577
.LBB35_1563:
	s_mov_b64 s[10:11], -1
	s_mov_b64 s[4:5], 0
	s_mov_b64 s[0:1], 0
                                        ; implicit-def: $vgpr18
	s_branch .LBB35_1572
.LBB35_1564:
	s_trap 2
	s_or_b64 s[12:13], s[12:13], exec
	s_cbranch_execz .LBB35_1499
	s_branch .LBB35_1500
.LBB35_1565:
	s_mov_b64 s[10:11], -1
	s_mov_b64 s[4:5], 0
	s_mov_b64 s[0:1], 0
                                        ; implicit-def: $vgpr18
	s_branch .LBB35_1567
.LBB35_1566:
	s_mov_b64 s[0:1], -1
                                        ; implicit-def: $vgpr18
	s_mov_b64 s[4:5], 0
.LBB35_1567:
	s_and_b64 vcc, exec, s[10:11]
	s_cbranch_vccz .LBB35_1571
; %bb.1568:
	s_cmp_eq_u32 s16, 44
	s_cbranch_scc0 .LBB35_1570
; %bb.1569:
	global_load_ubyte v18, v[7:8], off
	s_movk_i32 s4, 0xff
	v_mov_b32_e32 v19, 0x7f800001
	v_mov_b32_e32 v20, 0x400000
	;; [unrolled: 1-line block ×3, first 2 shown]
	s_mov_b64 s[0:1], 0
	s_waitcnt vmcnt(0)
	v_lshlrev_b32_e32 v22, 23, v18
	v_cmp_ne_u32_e32 vcc, s4, v18
	v_cndmask_b32_e32 v19, v19, v22, vcc
	v_cmp_ne_u32_e32 vcc, 0, v18
	v_cndmask_b32_e32 v18, v20, v19, vcc
	v_add_u32_e32 v19, 0x7fff, v18
	v_cmp_o_f32_e32 vcc, v18, v18
	v_cndmask_b32_sdwa v18, v21, v19, vcc dst_sel:DWORD dst_unused:UNUSED_PAD src0_sel:DWORD src1_sel:WORD_1
	s_mov_b64 s[4:5], -1
	s_branch .LBB35_1571
.LBB35_1570:
	s_mov_b64 s[0:1], -1
                                        ; implicit-def: $vgpr18
.LBB35_1571:
	s_mov_b64 s[10:11], 0
.LBB35_1572:
	s_and_b64 vcc, exec, s[10:11]
	s_cbranch_vccz .LBB35_1576
; %bb.1573:
	s_cmp_eq_u32 s16, 29
	s_cbranch_scc0 .LBB35_1575
; %bb.1574:
	global_load_dwordx2 v[18:19], v[7:8], off
	s_movk_i32 s4, 0x7fff
	s_mov_b64 s[0:1], 0
	s_mov_b64 s[10:11], 0
	s_waitcnt vmcnt(0)
	v_ffbh_u32_e32 v20, v19
	v_min_u32_e32 v20, 32, v20
	v_lshlrev_b64 v[18:19], v20, v[18:19]
	v_min_u32_e32 v18, 1, v18
	v_or_b32_e32 v18, v19, v18
	v_cvt_f32_u32_e32 v18, v18
	v_sub_u32_e32 v19, 32, v20
	v_ldexp_f32 v18, v18, v19
	v_bfe_u32 v19, v18, 16, 1
	v_add3_u32 v18, v18, v19, s4
	v_lshrrev_b32_e32 v18, 16, v18
	s_mov_b64 s[4:5], -1
	s_branch .LBB35_1577
.LBB35_1575:
	s_mov_b64 s[0:1], -1
                                        ; implicit-def: $vgpr18
.LBB35_1576:
	s_mov_b64 s[10:11], 0
.LBB35_1577:
	s_and_b64 vcc, exec, s[10:11]
	s_cbranch_vccz .LBB35_1595
; %bb.1578:
	s_cmp_lt_i32 s16, 27
	s_cbranch_scc1 .LBB35_1581
; %bb.1579:
	s_cmp_gt_i32 s16, 27
	s_cbranch_scc0 .LBB35_1582
; %bb.1580:
	global_load_dword v18, v[7:8], off
	s_movk_i32 s4, 0x7fff
	s_waitcnt vmcnt(0)
	v_cvt_f32_u32_e32 v18, v18
	v_bfe_u32 v19, v18, 16, 1
	v_add3_u32 v18, v18, v19, s4
	v_lshrrev_b32_e32 v18, 16, v18
	s_mov_b64 s[4:5], 0
	s_branch .LBB35_1583
.LBB35_1581:
	s_mov_b64 s[4:5], -1
                                        ; implicit-def: $vgpr18
	s_branch .LBB35_1586
.LBB35_1582:
	s_mov_b64 s[4:5], -1
                                        ; implicit-def: $vgpr18
.LBB35_1583:
	s_andn2_b64 vcc, exec, s[4:5]
	s_cbranch_vccnz .LBB35_1585
; %bb.1584:
	global_load_ushort v18, v[7:8], off
	s_movk_i32 s4, 0x7fff
	s_waitcnt vmcnt(0)
	v_cvt_f32_u32_e32 v18, v18
	v_bfe_u32 v19, v18, 16, 1
	v_add3_u32 v18, v18, v19, s4
	v_lshrrev_b32_e32 v18, 16, v18
.LBB35_1585:
	s_mov_b64 s[4:5], 0
.LBB35_1586:
	s_andn2_b64 vcc, exec, s[4:5]
	s_cbranch_vccnz .LBB35_1594
; %bb.1587:
	global_load_ubyte v18, v[7:8], off
	s_movk_i32 s4, 0x7f
	s_waitcnt vmcnt(0)
	v_cmp_lt_i16_e32 vcc, s4, v18
	s_mov_b64 s[4:5], 0
	s_and_saveexec_b64 s[10:11], vcc
	s_xor_b64 s[10:11], exec, s[10:11]
	s_cbranch_execz .LBB35_1608
; %bb.1588:
	s_movk_i32 s4, 0x80
	v_cmp_eq_u16_e32 vcc, s4, v18
	s_mov_b64 s[4:5], -1
	s_and_saveexec_b64 s[14:15], vcc
; %bb.1589:
	s_xor_b64 s[4:5], exec, -1
; %bb.1590:
	s_or_b64 exec, exec, s[14:15]
	s_and_b64 s[4:5], s[4:5], exec
	s_or_saveexec_b64 s[10:11], s[10:11]
	v_mov_b32_e32 v19, 0x7f800001
	s_xor_b64 exec, exec, s[10:11]
	s_cbranch_execnz .LBB35_1609
.LBB35_1591:
	s_or_b64 exec, exec, s[10:11]
	s_and_saveexec_b64 s[10:11], s[4:5]
	s_cbranch_execz .LBB35_1593
.LBB35_1592:
	v_lshlrev_b32_e32 v19, 24, v18
	v_and_b32_e32 v18, 0xffff, v18
	v_and_b32_e32 v20, 7, v18
	v_ffbh_u32_e32 v22, v20
	v_min_u32_e32 v22, 32, v22
	v_subrev_u32_e32 v23, 28, v22
	v_bfe_u32 v21, v18, 3, 4
	v_lshlrev_b32_e32 v18, v23, v18
	v_sub_u32_e32 v22, 29, v22
	v_and_b32_e32 v18, 7, v18
	v_cmp_eq_u32_e32 vcc, 0, v21
	v_cndmask_b32_e32 v21, v21, v22, vcc
	v_cndmask_b32_e32 v18, v20, v18, vcc
	v_mov_b32_e32 v20, 0x3b800000
	v_lshlrev_b32_e32 v18, 20, v18
	v_and_b32_e32 v19, 0x80000000, v19
	v_lshl_add_u32 v20, v21, 23, v20
	v_or3_b32 v19, v19, v20, v18
.LBB35_1593:
	s_or_b64 exec, exec, s[10:11]
	v_bfe_u32 v18, v19, 16, 1
	s_movk_i32 s4, 0x7fff
	v_add3_u32 v18, v19, v18, s4
	v_cmp_o_f32_e32 vcc, v19, v19
	v_mov_b32_e32 v19, 0x7fc0
	v_cndmask_b32_sdwa v18, v19, v18, vcc dst_sel:DWORD dst_unused:UNUSED_PAD src0_sel:DWORD src1_sel:WORD_1
.LBB35_1594:
	s_mov_b64 s[4:5], -1
.LBB35_1595:
	s_mov_b64 s[10:11], 0
.LBB35_1596:
	s_and_b64 vcc, exec, s[10:11]
	s_cbranch_vccz .LBB35_1629
; %bb.1597:
	s_cmp_gt_i32 s16, 22
	s_cbranch_scc0 .LBB35_1607
; %bb.1598:
	s_cmp_lt_i32 s16, 24
	s_cbranch_scc1 .LBB35_1610
; %bb.1599:
	s_cmp_gt_i32 s16, 24
	s_cbranch_scc0 .LBB35_1611
; %bb.1600:
	global_load_ubyte v18, v[7:8], off
	s_movk_i32 s2, 0x7f
	s_waitcnt vmcnt(0)
	v_cmp_lt_i16_e32 vcc, s2, v18
	s_mov_b64 s[2:3], 0
	s_and_saveexec_b64 s[4:5], vcc
	s_xor_b64 s[4:5], exec, s[4:5]
	s_cbranch_execz .LBB35_1623
; %bb.1601:
	s_movk_i32 s2, 0x80
	v_cmp_eq_u16_e32 vcc, s2, v18
	s_mov_b64 s[2:3], -1
	s_and_saveexec_b64 s[10:11], vcc
; %bb.1602:
	s_xor_b64 s[2:3], exec, -1
; %bb.1603:
	s_or_b64 exec, exec, s[10:11]
	s_and_b64 s[2:3], s[2:3], exec
	s_or_saveexec_b64 s[4:5], s[4:5]
	v_mov_b32_e32 v19, 0x7f800001
	s_xor_b64 exec, exec, s[4:5]
	s_cbranch_execnz .LBB35_1624
.LBB35_1604:
	s_or_b64 exec, exec, s[4:5]
	s_and_saveexec_b64 s[4:5], s[2:3]
	s_cbranch_execz .LBB35_1606
.LBB35_1605:
	v_lshlrev_b32_e32 v19, 24, v18
	v_and_b32_e32 v18, 0xffff, v18
	v_and_b32_e32 v20, 3, v18
	v_ffbh_u32_e32 v22, v20
	v_min_u32_e32 v22, 32, v22
	v_subrev_u32_e32 v23, 29, v22
	v_bfe_u32 v21, v18, 2, 5
	v_lshlrev_b32_e32 v18, v23, v18
	v_sub_u32_e32 v22, 30, v22
	v_and_b32_e32 v18, 3, v18
	v_cmp_eq_u32_e32 vcc, 0, v21
	v_cndmask_b32_e32 v21, v21, v22, vcc
	v_cndmask_b32_e32 v18, v20, v18, vcc
	v_mov_b32_e32 v20, 0x37800000
	v_lshlrev_b32_e32 v18, 21, v18
	v_and_b32_e32 v19, 0x80000000, v19
	v_lshl_add_u32 v20, v21, 23, v20
	v_or3_b32 v19, v19, v20, v18
.LBB35_1606:
	s_or_b64 exec, exec, s[4:5]
	v_bfe_u32 v18, v19, 16, 1
	s_movk_i32 s2, 0x7fff
	v_add3_u32 v18, v19, v18, s2
	v_cmp_o_f32_e32 vcc, v19, v19
	v_mov_b32_e32 v19, 0x7fc0
	v_cndmask_b32_sdwa v18, v19, v18, vcc dst_sel:DWORD dst_unused:UNUSED_PAD src0_sel:DWORD src1_sel:WORD_1
	s_mov_b64 s[2:3], 0
	s_branch .LBB35_1612
.LBB35_1607:
	s_mov_b64 s[2:3], -1
                                        ; implicit-def: $vgpr18
	s_branch .LBB35_1618
.LBB35_1608:
	s_or_saveexec_b64 s[10:11], s[10:11]
	v_mov_b32_e32 v19, 0x7f800001
	s_xor_b64 exec, exec, s[10:11]
	s_cbranch_execz .LBB35_1591
.LBB35_1609:
	v_cmp_ne_u16_e32 vcc, 0, v18
	s_andn2_b64 s[4:5], s[4:5], exec
	s_and_b64 s[14:15], vcc, exec
	v_mov_b32_e32 v19, 0
	s_or_b64 s[4:5], s[4:5], s[14:15]
	s_or_b64 exec, exec, s[10:11]
	s_and_saveexec_b64 s[10:11], s[4:5]
	s_cbranch_execnz .LBB35_1592
	s_branch .LBB35_1593
.LBB35_1610:
	s_mov_b64 s[2:3], -1
                                        ; implicit-def: $vgpr18
	s_branch .LBB35_1615
.LBB35_1611:
	s_mov_b64 s[2:3], -1
                                        ; implicit-def: $vgpr18
.LBB35_1612:
	s_and_b64 vcc, exec, s[2:3]
	s_cbranch_vccz .LBB35_1614
; %bb.1613:
	global_load_ubyte v18, v[7:8], off
	s_mov_b32 s2, 0x7f800000
	s_brev_b32 s3, 1
	s_movk_i32 s4, 0x7fff
	s_waitcnt vmcnt(0)
	v_lshlrev_b32_e32 v18, 24, v18
	v_and_b32_e32 v19, 0x7f000000, v18
	v_ffbh_u32_e32 v20, v19
	v_min_u32_e32 v20, 32, v20
	v_sub_u32_e64 v20, v20, 4 clamp
	v_lshlrev_b32_e32 v22, v20, v19
	v_lshlrev_b32_e32 v20, 23, v20
	v_lshrrev_b32_e32 v22, 4, v22
	v_add_u32_e32 v21, 0x1000000, v19
	v_sub_u32_e32 v20, v22, v20
	v_ashrrev_i32_e32 v21, 8, v21
	v_add_u32_e32 v20, 0x3c000000, v20
	v_and_or_b32 v20, v21, s2, v20
	v_cmp_ne_u32_e32 vcc, 0, v19
	v_cndmask_b32_e32 v19, 0, v20, vcc
	v_and_or_b32 v18, v18, s3, v19
	v_bfe_u32 v19, v19, 16, 1
	v_add3_u32 v19, v18, v19, s4
	v_cmp_o_f32_e32 vcc, v18, v18
	v_mov_b32_e32 v18, 0x7fc0
	v_cndmask_b32_sdwa v18, v18, v19, vcc dst_sel:DWORD dst_unused:UNUSED_PAD src0_sel:DWORD src1_sel:WORD_1
.LBB35_1614:
	s_mov_b64 s[2:3], 0
.LBB35_1615:
	s_andn2_b64 vcc, exec, s[2:3]
	s_cbranch_vccnz .LBB35_1617
; %bb.1616:
	global_load_ubyte v18, v[7:8], off
	s_movk_i32 s2, 0x7f00
	s_brev_b32 s3, 16
	s_brev_b32 s4, 1
	s_movk_i32 s5, 0x7fff
	s_waitcnt vmcnt(0)
	v_lshlrev_b16_e32 v19, 8, v18
	v_lshlrev_b32_e32 v18, 25, v18
	v_lshrrev_b32_e32 v20, 4, v18
	v_and_or_b32 v21, v19, s2, 0.5
	v_or_b32_e32 v20, 0x70000000, v20
	v_add_f32_e32 v21, -0.5, v21
	v_mul_f32_e32 v20, 0x7800000, v20
	v_cmp_gt_u32_e32 vcc, s3, v18
	v_bfe_i32 v19, v19, 0, 16
	v_cndmask_b32_e32 v18, v20, v21, vcc
	v_and_or_b32 v19, v19, s4, v18
	v_bfe_u32 v18, v18, 16, 1
	v_add3_u32 v18, v19, v18, s5
	v_cmp_o_f32_e32 vcc, v19, v19
	v_mov_b32_e32 v19, 0x7fc0
	v_cndmask_b32_sdwa v18, v19, v18, vcc dst_sel:DWORD dst_unused:UNUSED_PAD src0_sel:DWORD src1_sel:WORD_1
.LBB35_1617:
	s_mov_b64 s[2:3], 0
	s_mov_b64 s[4:5], -1
.LBB35_1618:
	s_andn2_b64 vcc, exec, s[2:3]
	s_mov_b64 s[2:3], 0
	s_cbranch_vccnz .LBB35_1629
; %bb.1619:
	s_cmp_gt_i32 s16, 14
	s_cbranch_scc0 .LBB35_1622
; %bb.1620:
	s_cmp_eq_u32 s16, 15
	s_cbranch_scc0 .LBB35_1625
; %bb.1621:
	global_load_ushort v18, v[7:8], off
	s_mov_b64 s[0:1], 0
	s_mov_b64 s[4:5], -1
	s_branch .LBB35_1626
.LBB35_1622:
	s_mov_b64 s[10:11], -1
                                        ; implicit-def: $vgpr18
	s_branch .LBB35_1627
.LBB35_1623:
	s_or_saveexec_b64 s[4:5], s[4:5]
	v_mov_b32_e32 v19, 0x7f800001
	s_xor_b64 exec, exec, s[4:5]
	s_cbranch_execz .LBB35_1604
.LBB35_1624:
	v_cmp_ne_u16_e32 vcc, 0, v18
	s_andn2_b64 s[2:3], s[2:3], exec
	s_and_b64 s[10:11], vcc, exec
	v_mov_b32_e32 v19, 0
	s_or_b64 s[2:3], s[2:3], s[10:11]
	s_or_b64 exec, exec, s[4:5]
	s_and_saveexec_b64 s[4:5], s[2:3]
	s_cbranch_execnz .LBB35_1605
	s_branch .LBB35_1606
.LBB35_1625:
	s_mov_b64 s[0:1], -1
                                        ; implicit-def: $vgpr18
.LBB35_1626:
	s_mov_b64 s[10:11], 0
.LBB35_1627:
	s_and_b64 vcc, exec, s[10:11]
	s_cbranch_vccz .LBB35_1629
; %bb.1628:
	s_cmp_lg_u32 s16, 11
	s_mov_b64 s[2:3], -1
	s_cselect_b64 s[0:1], -1, 0
.LBB35_1629:
	s_and_b64 vcc, exec, s[0:1]
	s_cbranch_vccnz .LBB35_2166
; %bb.1630:
	s_andn2_b64 vcc, exec, s[2:3]
	s_cbranch_vccnz .LBB35_1632
.LBB35_1631:
	global_load_ubyte v18, v[7:8], off
	s_mov_b64 s[4:5], -1
	s_waitcnt vmcnt(0)
	v_cmp_ne_u16_e32 vcc, 0, v18
	v_cndmask_b32_e64 v18, 0, 1.0, vcc
	v_lshrrev_b32_e32 v18, 16, v18
.LBB35_1632:
	s_mov_b64 s[0:1], 0
.LBB35_1633:
	s_and_b64 vcc, exec, s[0:1]
	s_cbranch_vccz .LBB35_1682
; %bb.1634:
	s_and_b32 s2, 0xffff, s19
	s_cmp_lt_i32 s2, 5
	s_cbranch_scc1 .LBB35_1639
; %bb.1635:
	s_cmp_lt_i32 s2, 8
	s_cbranch_scc1 .LBB35_1640
; %bb.1636:
	;; [unrolled: 3-line block ×3, first 2 shown]
	s_cmp_gt_i32 s2, 9
	s_cbranch_scc0 .LBB35_1642
; %bb.1638:
	global_load_dwordx2 v[18:19], v[7:8], off
	s_movk_i32 s0, 0x7fff
	s_waitcnt vmcnt(0)
	v_cvt_f32_f64_e32 v18, v[18:19]
	v_mov_b32_e32 v19, 0x7fc0
	v_bfe_u32 v20, v18, 16, 1
	v_cmp_o_f32_e32 vcc, v18, v18
	v_add3_u32 v18, v18, v20, s0
	v_cndmask_b32_sdwa v18, v19, v18, vcc dst_sel:DWORD dst_unused:UNUSED_PAD src0_sel:DWORD src1_sel:WORD_1
	s_mov_b64 s[0:1], 0
	s_branch .LBB35_1643
.LBB35_1639:
	s_mov_b64 s[0:1], -1
                                        ; implicit-def: $vgpr18
	s_branch .LBB35_1661
.LBB35_1640:
	s_mov_b64 s[0:1], -1
                                        ; implicit-def: $vgpr18
	s_branch .LBB35_1649
.LBB35_1641:
	s_mov_b64 s[0:1], -1
                                        ; implicit-def: $vgpr18
	s_branch .LBB35_1646
.LBB35_1642:
	s_mov_b64 s[0:1], -1
                                        ; implicit-def: $vgpr18
.LBB35_1643:
	s_andn2_b64 vcc, exec, s[0:1]
	s_cbranch_vccnz .LBB35_1645
; %bb.1644:
	global_load_dword v18, v[7:8], off
	s_movk_i32 s0, 0x7fff
	v_mov_b32_e32 v19, 0x7fc0
	s_waitcnt vmcnt(0)
	v_bfe_u32 v20, v18, 16, 1
	v_cmp_o_f32_e32 vcc, v18, v18
	v_add3_u32 v18, v18, v20, s0
	v_cndmask_b32_sdwa v18, v19, v18, vcc dst_sel:DWORD dst_unused:UNUSED_PAD src0_sel:DWORD src1_sel:WORD_1
.LBB35_1645:
	s_mov_b64 s[0:1], 0
.LBB35_1646:
	s_andn2_b64 vcc, exec, s[0:1]
	s_cbranch_vccnz .LBB35_1648
; %bb.1647:
	global_load_dword v18, v[7:8], off
	s_movk_i32 s0, 0x7fff
	v_mov_b32_e32 v20, 0x7fc0
	s_waitcnt vmcnt(0)
	v_cvt_f32_f16_e32 v19, v18
	v_cmp_o_f16_e32 vcc, v18, v18
	v_bfe_u32 v18, v19, 16, 1
	v_add3_u32 v18, v19, v18, s0
	v_cndmask_b32_sdwa v18, v20, v18, vcc dst_sel:DWORD dst_unused:UNUSED_PAD src0_sel:DWORD src1_sel:WORD_1
.LBB35_1648:
	s_mov_b64 s[0:1], 0
.LBB35_1649:
	s_andn2_b64 vcc, exec, s[0:1]
	s_cbranch_vccnz .LBB35_1660
; %bb.1650:
	s_cmp_lt_i32 s2, 6
	s_cbranch_scc1 .LBB35_1653
; %bb.1651:
	s_cmp_gt_i32 s2, 6
	s_cbranch_scc0 .LBB35_1654
; %bb.1652:
	global_load_dwordx2 v[18:19], v[7:8], off
	s_movk_i32 s0, 0x7fff
	s_waitcnt vmcnt(0)
	v_cvt_f32_f64_e32 v18, v[18:19]
	v_mov_b32_e32 v19, 0x7fc0
	v_bfe_u32 v20, v18, 16, 1
	v_cmp_o_f32_e32 vcc, v18, v18
	v_add3_u32 v18, v18, v20, s0
	v_cndmask_b32_sdwa v18, v19, v18, vcc dst_sel:DWORD dst_unused:UNUSED_PAD src0_sel:DWORD src1_sel:WORD_1
	s_mov_b64 s[0:1], 0
	s_branch .LBB35_1655
.LBB35_1653:
	s_mov_b64 s[0:1], -1
                                        ; implicit-def: $vgpr18
	s_branch .LBB35_1658
.LBB35_1654:
	s_mov_b64 s[0:1], -1
                                        ; implicit-def: $vgpr18
.LBB35_1655:
	s_andn2_b64 vcc, exec, s[0:1]
	s_cbranch_vccnz .LBB35_1657
; %bb.1656:
	global_load_dword v18, v[7:8], off
	s_movk_i32 s0, 0x7fff
	v_mov_b32_e32 v19, 0x7fc0
	s_waitcnt vmcnt(0)
	v_bfe_u32 v20, v18, 16, 1
	v_cmp_o_f32_e32 vcc, v18, v18
	v_add3_u32 v18, v18, v20, s0
	v_cndmask_b32_sdwa v18, v19, v18, vcc dst_sel:DWORD dst_unused:UNUSED_PAD src0_sel:DWORD src1_sel:WORD_1
.LBB35_1657:
	s_mov_b64 s[0:1], 0
.LBB35_1658:
	s_andn2_b64 vcc, exec, s[0:1]
	s_cbranch_vccnz .LBB35_1660
; %bb.1659:
	global_load_ushort v18, v[7:8], off
	s_movk_i32 s0, 0x7fff
	v_mov_b32_e32 v20, 0x7fc0
	s_waitcnt vmcnt(0)
	v_cvt_f32_f16_e32 v19, v18
	v_cmp_o_f16_e32 vcc, v18, v18
	v_bfe_u32 v18, v19, 16, 1
	v_add3_u32 v18, v19, v18, s0
	v_cndmask_b32_sdwa v18, v20, v18, vcc dst_sel:DWORD dst_unused:UNUSED_PAD src0_sel:DWORD src1_sel:WORD_1
.LBB35_1660:
	s_mov_b64 s[0:1], 0
.LBB35_1661:
	s_andn2_b64 vcc, exec, s[0:1]
	s_cbranch_vccnz .LBB35_1681
; %bb.1662:
	s_cmp_lt_i32 s2, 2
	s_cbranch_scc1 .LBB35_1666
; %bb.1663:
	s_cmp_lt_i32 s2, 3
	s_cbranch_scc1 .LBB35_1667
; %bb.1664:
	s_cmp_gt_i32 s2, 3
	s_cbranch_scc0 .LBB35_1668
; %bb.1665:
	global_load_dwordx2 v[18:19], v[7:8], off
	s_movk_i32 s0, 0x7fff
	s_waitcnt vmcnt(0)
	v_xor_b32_e32 v21, v18, v19
	v_ffbh_i32_e32 v20, v19
	v_ashrrev_i32_e32 v21, 31, v21
	v_add_u32_e32 v20, -1, v20
	v_add_u32_e32 v21, 32, v21
	v_min_u32_e32 v20, v20, v21
	v_lshlrev_b64 v[18:19], v20, v[18:19]
	v_min_u32_e32 v18, 1, v18
	v_or_b32_e32 v18, v19, v18
	v_cvt_f32_i32_e32 v18, v18
	v_sub_u32_e32 v19, 32, v20
	v_ldexp_f32 v18, v18, v19
	v_bfe_u32 v19, v18, 16, 1
	v_add3_u32 v18, v18, v19, s0
	v_lshrrev_b32_e32 v18, 16, v18
	s_mov_b64 s[0:1], 0
	s_branch .LBB35_1669
.LBB35_1666:
	s_mov_b64 s[0:1], -1
                                        ; implicit-def: $vgpr18
	s_branch .LBB35_1675
.LBB35_1667:
	s_mov_b64 s[0:1], -1
                                        ; implicit-def: $vgpr18
	s_branch .LBB35_1672
.LBB35_1668:
	s_mov_b64 s[0:1], -1
                                        ; implicit-def: $vgpr18
.LBB35_1669:
	s_andn2_b64 vcc, exec, s[0:1]
	s_cbranch_vccnz .LBB35_1671
; %bb.1670:
	global_load_dword v18, v[7:8], off
	s_movk_i32 s0, 0x7fff
	s_waitcnt vmcnt(0)
	v_cvt_f32_i32_e32 v18, v18
	v_bfe_u32 v19, v18, 16, 1
	v_add3_u32 v18, v18, v19, s0
	v_lshrrev_b32_e32 v18, 16, v18
.LBB35_1671:
	s_mov_b64 s[0:1], 0
.LBB35_1672:
	s_andn2_b64 vcc, exec, s[0:1]
	s_cbranch_vccnz .LBB35_1674
; %bb.1673:
	global_load_sshort v18, v[7:8], off
	s_movk_i32 s0, 0x7fff
	s_waitcnt vmcnt(0)
	v_cvt_f32_i32_e32 v18, v18
	v_bfe_u32 v19, v18, 16, 1
	v_add3_u32 v18, v18, v19, s0
	v_lshrrev_b32_e32 v18, 16, v18
.LBB35_1674:
	s_mov_b64 s[0:1], 0
.LBB35_1675:
	s_andn2_b64 vcc, exec, s[0:1]
	s_cbranch_vccnz .LBB35_1681
; %bb.1676:
	s_cmp_gt_i32 s2, 0
	s_cbranch_scc0 .LBB35_1678
; %bb.1677:
	global_load_sbyte v18, v[7:8], off
	s_movk_i32 s0, 0x7fff
	s_waitcnt vmcnt(0)
	v_cvt_f32_i32_e32 v18, v18
	v_bfe_u32 v19, v18, 16, 1
	v_add3_u32 v18, v18, v19, s0
	v_lshrrev_b32_e32 v18, 16, v18
	s_mov_b64 s[0:1], 0
	s_branch .LBB35_1679
.LBB35_1678:
	s_mov_b64 s[0:1], -1
                                        ; implicit-def: $vgpr18
.LBB35_1679:
	s_andn2_b64 vcc, exec, s[0:1]
	s_cbranch_vccnz .LBB35_1681
; %bb.1680:
	global_load_ubyte v7, v[7:8], off
	s_movk_i32 s0, 0x7fff
	s_waitcnt vmcnt(0)
	v_cvt_f32_ubyte0_e32 v7, v7
	v_bfe_u32 v8, v7, 16, 1
	v_add3_u32 v7, v7, v8, s0
	v_lshrrev_b32_e32 v18, 16, v7
.LBB35_1681:
	s_mov_b64 s[4:5], -1
.LBB35_1682:
	s_andn2_b64 vcc, exec, s[4:5]
	s_cbranch_vccnz .LBB35_2120
; %bb.1683:
	s_waitcnt vmcnt(0)
	v_lshlrev_b32_e32 v7, 16, v18
	s_brev_b32 s0, 18
	v_and_b32_e32 v8, 0x7fffffff, v7
	v_cmp_nlt_f32_e64 s[0:1], |v7|, s0
                                        ; implicit-def: $vgpr18
                                        ; implicit-def: $vgpr19
	s_and_saveexec_b64 s[2:3], s[0:1]
	s_xor_b64 s[10:11], exec, s[2:3]
	s_cbranch_execz .LBB35_1685
; %bb.1684:
	v_and_b32_e32 v18, 0x7fffff, v8
	v_or_b32_e32 v27, 0x800000, v18
	s_mov_b32 s0, 0xfe5163ab
	v_mad_u64_u32 v[18:19], s[0:1], v27, s0, 0
	v_mov_b32_e32 v20, 0
	s_mov_b32 s0, 0x3c439041
	v_mad_u64_u32 v[21:22], s[0:1], v27, s0, v[19:20]
	s_mov_b32 s0, 0xdb629599
	v_not_b32_e32 v26, 63
	v_mov_b32_e32 v19, v22
	v_mad_u64_u32 v[22:23], s[0:1], v27, s0, v[19:20]
	s_mov_b32 s0, 0xf534ddc0
	v_not_b32_e32 v29, 31
	v_mov_b32_e32 v19, v23
	v_mad_u64_u32 v[23:24], s[0:1], v27, s0, v[19:20]
	v_lshrrev_b32_e32 v19, 23, v8
	v_add_u32_e32 v28, 0xffffff88, v19
	v_mov_b32_e32 v19, v24
	s_mov_b32 s0, 0xfc2757d1
	v_mad_u64_u32 v[24:25], s[0:1], v27, s0, v[19:20]
	v_cmp_lt_u32_e32 vcc, 63, v28
	v_cndmask_b32_e32 v19, 0, v26, vcc
	v_add_u32_e32 v28, v19, v28
	v_mov_b32_e32 v19, v25
	s_mov_b32 s0, 0x4e441529
	v_mad_u64_u32 v[25:26], s[0:1], v27, s0, v[19:20]
	v_cmp_lt_u32_e64 s[0:1], 31, v28
	v_cndmask_b32_e64 v19, 0, v29, s[0:1]
	v_add_u32_e32 v28, v19, v28
	v_mov_b32_e32 v19, v26
	s_mov_b32 s2, 0xa2f9836e
	v_mad_u64_u32 v[19:20], s[2:3], v27, s2, v[19:20]
	v_cmp_lt_u32_e64 s[2:3], 31, v28
	v_cndmask_b32_e64 v26, 0, v29, s[2:3]
	v_cndmask_b32_e32 v27, v25, v23, vcc
	v_cndmask_b32_e32 v19, v19, v24, vcc
	;; [unrolled: 1-line block ×3, first 2 shown]
	v_add_u32_e32 v26, v26, v28
	v_cndmask_b32_e64 v28, v19, v27, s[0:1]
	v_cndmask_b32_e64 v19, v20, v19, s[0:1]
	v_cndmask_b32_e32 v20, v24, v22, vcc
	v_cndmask_b32_e64 v24, v27, v20, s[0:1]
	v_cndmask_b32_e64 v19, v19, v28, s[2:3]
	;; [unrolled: 1-line block ×3, first 2 shown]
	v_sub_u32_e32 v27, 32, v26
	v_alignbit_b32 v28, v19, v25, v27
	v_cmp_eq_u32_e64 s[4:5], 0, v26
	v_cndmask_b32_e64 v26, v28, v19, s[4:5]
	v_cndmask_b32_e32 v19, v23, v21, vcc
	v_cndmask_b32_e64 v20, v20, v19, s[0:1]
	v_cndmask_b32_e64 v21, v24, v20, s[2:3]
	v_alignbit_b32 v23, v25, v21, v27
	v_cndmask_b32_e32 v18, v22, v18, vcc
	v_cndmask_b32_e64 v23, v23, v25, s[4:5]
	v_bfe_u32 v28, v26, 29, 1
	v_cndmask_b32_e64 v18, v19, v18, s[0:1]
	v_alignbit_b32 v24, v26, v23, 30
	v_sub_u32_e32 v29, 0, v28
	v_cndmask_b32_e64 v18, v20, v18, s[2:3]
	v_xor_b32_e32 v24, v24, v29
	v_alignbit_b32 v19, v21, v18, v27
	v_cndmask_b32_e64 v19, v19, v21, s[4:5]
	v_ffbh_u32_e32 v21, v24
	v_alignbit_b32 v20, v23, v19, 30
	v_min_u32_e32 v21, 32, v21
	v_alignbit_b32 v18, v19, v18, 30
	v_xor_b32_e32 v20, v20, v29
	v_sub_u32_e32 v22, 31, v21
	v_xor_b32_e32 v18, v18, v29
	v_alignbit_b32 v23, v24, v20, v22
	v_alignbit_b32 v18, v20, v18, v22
	;; [unrolled: 1-line block ×3, first 2 shown]
	v_ffbh_u32_e32 v20, v19
	v_min_u32_e32 v20, 32, v20
	v_lshrrev_b32_e32 v25, 29, v26
	v_not_b32_e32 v22, v20
	v_alignbit_b32 v18, v19, v18, v22
	v_lshlrev_b32_e32 v19, 31, v25
	v_or_b32_e32 v22, 0x33000000, v19
	v_add_lshl_u32 v20, v20, v21, 23
	v_lshrrev_b32_e32 v18, 9, v18
	v_sub_u32_e32 v20, v22, v20
	v_or_b32_e32 v19, 0.5, v19
	v_lshlrev_b32_e32 v21, 23, v21
	v_or_b32_e32 v18, v20, v18
	v_lshrrev_b32_e32 v20, 9, v23
	v_sub_u32_e32 v19, v19, v21
	v_or_b32_e32 v19, v20, v19
	s_mov_b32 s0, 0x3fc90fda
	v_mul_f32_e32 v20, 0x3fc90fda, v19
	v_fma_f32 v21, v19, s0, -v20
	v_fmac_f32_e32 v21, 0x33a22168, v19
	v_fmac_f32_e32 v21, 0x3fc90fda, v18
	v_lshrrev_b32_e32 v18, 30, v26
	v_add_f32_e32 v19, v20, v21
	v_add_u32_e32 v18, v28, v18
.LBB35_1685:
	s_andn2_saveexec_b64 s[0:1], s[10:11]
	s_cbranch_execz .LBB35_1687
; %bb.1686:
	s_mov_b32 s2, 0x3f22f983
	v_mul_f32_e64 v18, |v7|, s2
	v_rndne_f32_e32 v20, v18
	s_mov_b32 s2, 0xbfc90fda
	v_cvt_i32_f32_e32 v18, v20
	v_fma_f32 v19, v20, s2, |v7|
	v_fmac_f32_e32 v19, 0xb3a22168, v20
	v_fmac_f32_e32 v19, 0xa7c234c4, v20
.LBB35_1687:
	s_or_b64 exec, exec, s[0:1]
	v_mul_f32_e32 v20, v12, v12
	v_mov_b32_e32 v21, 0x3c0881c4
	v_fmac_f32_e32 v21, 0xb94c1982, v20
	v_mov_b32_e32 v22, 0xbe2aaa9d
	v_fmac_f32_e32 v22, v20, v21
	v_mul_f32_e32 v21, v20, v22
	v_fmac_f32_e32 v12, v12, v21
	v_mov_b32_e32 v21, 0xbab64f3b
	v_fmac_f32_e32 v21, 0x37d75334, v20
	v_mov_b32_e32 v22, 0x3d2aabf7
	;; [unrolled: 2-line block ×3, first 2 shown]
	v_fmac_f32_e32 v21, v20, v22
	v_fma_f32 v20, v20, v21, 1.0
	v_and_b32_e32 v21, 1, v5
	v_lshlrev_b32_e32 v5, 30, v5
	v_cmp_eq_u32_e32 vcc, 0, v21
	v_and_b32_e32 v5, 0x80000000, v5
	v_cndmask_b32_e32 v12, v20, v12, vcc
	v_xor_b32_e32 v3, v3, v5
	v_xor_b32_e32 v3, v3, v12
	s_movk_i32 s0, 0x1f8
	v_xor_b32_e32 v3, v3, v1
	v_mov_b32_e32 v5, 0x7fc00000
	v_cmp_class_f32_e64 vcc, v1, s0
	v_cndmask_b32_e32 v1, v5, v3, vcc
	v_bfe_u32 v3, v1, 16, 1
	s_movk_i32 s0, 0x7fff
	v_add3_u32 v3, v1, v3, s0
	v_cmp_o_f32_e32 vcc, v1, v1
	v_mov_b32_e32 v1, 0x7fc0
	s_bfe_u32 s16, s18, 0x80008
	v_cndmask_b32_sdwa v1, v1, v3, vcc dst_sel:DWORD dst_unused:UNUSED_PAD src0_sel:DWORD src1_sel:WORD_1
	v_mov_b32_e32 v3, s9
	v_add_co_u32_e32 v5, vcc, s8, v6
	s_cmp_lt_i32 s16, 11
	v_addc_co_u32_e32 v6, vcc, 0, v3, vcc
	s_cbranch_scc1 .LBB35_1765
; %bb.1688:
	s_and_b32 s17, 0xffff, s16
	s_mov_b64 s[10:11], -1
	s_mov_b64 s[2:3], 0
	s_cmp_gt_i32 s17, 25
	s_mov_b64 s[4:5], 0
	s_mov_b64 s[0:1], 0
	s_cbranch_scc0 .LBB35_1721
; %bb.1689:
	s_cmp_gt_i32 s17, 28
	s_cbranch_scc0 .LBB35_1704
; %bb.1690:
	s_cmp_gt_i32 s17, 43
	;; [unrolled: 3-line block ×3, first 2 shown]
	s_cbranch_scc0 .LBB35_1694
; %bb.1692:
	s_mov_b64 s[0:1], -1
	s_mov_b64 s[10:11], 0
	s_cmp_eq_u32 s17, 46
	s_cbranch_scc0 .LBB35_1694
; %bb.1693:
	v_and_b32_e32 v3, 0xffff, v1
	global_store_dword v[5:6], v3, off
	s_mov_b64 s[0:1], 0
	s_mov_b64 s[4:5], -1
.LBB35_1694:
	s_and_b64 vcc, exec, s[10:11]
	s_cbranch_vccz .LBB35_1699
; %bb.1695:
	s_cmp_eq_u32 s17, 44
	s_mov_b64 s[0:1], -1
	s_cbranch_scc0 .LBB35_1699
; %bb.1696:
	v_and_b32_e32 v12, 0xffff, v1
	v_bfe_u32 v3, v12, 7, 8
	s_movk_i32 s0, 0xff
	v_cmp_ne_u32_e32 vcc, s0, v3
	v_mov_b32_e32 v20, 0xff
	s_and_saveexec_b64 s[4:5], vcc
	s_cbranch_execz .LBB35_1698
; %bb.1697:
	v_lshlrev_b32_e32 v21, 16, v12
	s_mov_b32 s0, 0x3f0000
	v_lshrrev_b32_e32 v20, 7, v12
	v_and_b32_e32 v12, 64, v12
	v_and_or_b32 v3, v21, s0, v3
	v_cmp_ne_u32_e32 vcc, 0, v12
	v_cmp_ne_u32_e64 s[0:1], 0, v3
	s_and_b64 s[0:1], vcc, s[0:1]
	v_cndmask_b32_e64 v3, 0, 1, s[0:1]
	v_add_u32_e32 v20, v20, v3
.LBB35_1698:
	s_or_b64 exec, exec, s[4:5]
	s_mov_b64 s[0:1], 0
	s_mov_b64 s[4:5], -1
	global_store_byte v[5:6], v20, off
.LBB35_1699:
	s_mov_b64 s[10:11], 0
.LBB35_1700:
	s_and_b64 vcc, exec, s[10:11]
	s_cbranch_vccz .LBB35_1703
; %bb.1701:
	s_cmp_eq_u32 s17, 29
	s_mov_b64 s[0:1], -1
	s_cbranch_scc0 .LBB35_1703
; %bb.1702:
	v_lshlrev_b32_e32 v3, 16, v1
	v_trunc_f32_e32 v3, v3
	v_mul_f32_e32 v12, 0x2f800000, v3
	v_floor_f32_e32 v12, v12
	v_fmac_f32_e32 v3, 0xcf800000, v12
	v_cvt_u32_f32_e32 v21, v12
	v_cvt_u32_f32_e32 v20, v3
	s_mov_b64 s[0:1], 0
	s_mov_b64 s[4:5], -1
	global_store_dwordx2 v[5:6], v[20:21], off
.LBB35_1703:
	s_mov_b64 s[10:11], 0
.LBB35_1704:
	s_and_b64 vcc, exec, s[10:11]
	s_cbranch_vccz .LBB35_1720
; %bb.1705:
	s_cmp_lt_i32 s17, 27
	s_mov_b64 s[4:5], -1
	s_cbranch_scc1 .LBB35_1711
; %bb.1706:
	s_cmp_gt_i32 s17, 27
	s_cbranch_scc0 .LBB35_1708
; %bb.1707:
	v_lshlrev_b32_e32 v3, 16, v1
	v_cvt_u32_f32_e32 v3, v3
	s_mov_b64 s[4:5], 0
	global_store_dword v[5:6], v3, off
.LBB35_1708:
	s_andn2_b64 vcc, exec, s[4:5]
	s_cbranch_vccnz .LBB35_1710
; %bb.1709:
	v_lshlrev_b32_e32 v3, 16, v1
	v_cvt_u32_f32_e32 v3, v3
	global_store_short v[5:6], v3, off
.LBB35_1710:
	s_mov_b64 s[4:5], 0
.LBB35_1711:
	s_andn2_b64 vcc, exec, s[4:5]
	s_cbranch_vccnz .LBB35_1719
; %bb.1712:
	v_lshlrev_b32_e32 v20, 16, v1
	v_and_b32_e32 v12, 0x7fffffff, v20
	s_mov_b32 s4, 0x43800000
	v_cmp_gt_u32_e32 vcc, s4, v12
	v_mov_b32_e32 v21, 0x80
	s_and_saveexec_b64 s[4:5], vcc
	s_cbranch_execz .LBB35_1718
; %bb.1713:
	s_mov_b32 s10, 0x3bffffff
	v_and_b32_e32 v3, 0xffff, v1
	v_cmp_lt_u32_e32 vcc, s10, v12
	s_mov_b64 s[10:11], 0
                                        ; implicit-def: $vgpr12
	s_and_saveexec_b64 s[14:15], vcc
	s_xor_b64 s[14:15], exec, s[14:15]
	s_cbranch_execz .LBB35_2167
; %bb.1714:
	v_bfe_u32 v12, v3, 4, 1
	s_mov_b32 s19, 0x487ffff
	v_add3_u32 v12, v20, v12, s19
	s_mov_b64 s[10:11], exec
	v_lshrrev_b32_e32 v12, 20, v12
                                        ; implicit-def: $vgpr20
	s_andn2_saveexec_b64 s[14:15], s[14:15]
	s_cbranch_execnz .LBB35_2168
.LBB35_1715:
	s_or_b64 exec, exec, s[14:15]
	v_mov_b32_e32 v21, 0
	s_and_saveexec_b64 s[14:15], s[10:11]
.LBB35_1716:
	v_lshrrev_b32_e32 v3, 8, v3
	s_movk_i32 s10, 0x80
	v_and_or_b32 v21, v3, s10, v12
.LBB35_1717:
	s_or_b64 exec, exec, s[14:15]
.LBB35_1718:
	s_or_b64 exec, exec, s[4:5]
	global_store_byte v[5:6], v21, off
.LBB35_1719:
	s_mov_b64 s[4:5], -1
.LBB35_1720:
	s_mov_b64 s[10:11], 0
.LBB35_1721:
	s_and_b64 vcc, exec, s[10:11]
	s_cbranch_vccz .LBB35_1761
; %bb.1722:
	s_cmp_gt_i32 s17, 22
	s_mov_b64 s[2:3], -1
	s_cbranch_scc0 .LBB35_1754
; %bb.1723:
	s_cmp_lt_i32 s17, 24
	s_cbranch_scc1 .LBB35_1743
; %bb.1724:
	s_cmp_gt_i32 s17, 24
	s_cbranch_scc0 .LBB35_1732
; %bb.1725:
	v_lshlrev_b32_e32 v20, 16, v1
	v_and_b32_e32 v12, 0x7fffffff, v20
	s_mov_b32 s2, 0x47800000
	v_cmp_gt_u32_e32 vcc, s2, v12
	v_mov_b32_e32 v21, 0x80
	s_and_saveexec_b64 s[2:3], vcc
	s_cbranch_execz .LBB35_1731
; %bb.1726:
	s_mov_b32 s4, 0x37ffffff
	v_and_b32_e32 v3, 0xffff, v1
	v_cmp_lt_u32_e32 vcc, s4, v12
	s_mov_b64 s[4:5], 0
                                        ; implicit-def: $vgpr12
	s_and_saveexec_b64 s[10:11], vcc
	s_xor_b64 s[10:11], exec, s[10:11]
	s_cbranch_execz .LBB35_2170
; %bb.1727:
	v_bfe_u32 v12, v3, 5, 1
	s_mov_b32 s14, 0x88fffff
	v_add3_u32 v12, v20, v12, s14
	s_mov_b64 s[4:5], exec
	v_lshrrev_b32_e32 v12, 21, v12
                                        ; implicit-def: $vgpr20
	s_andn2_saveexec_b64 s[10:11], s[10:11]
	s_cbranch_execnz .LBB35_2171
.LBB35_1728:
	s_or_b64 exec, exec, s[10:11]
	v_mov_b32_e32 v21, 0
	s_and_saveexec_b64 s[10:11], s[4:5]
.LBB35_1729:
	v_lshrrev_b32_e32 v3, 8, v3
	s_movk_i32 s4, 0x80
	v_and_or_b32 v21, v3, s4, v12
.LBB35_1730:
	s_or_b64 exec, exec, s[10:11]
.LBB35_1731:
	s_or_b64 exec, exec, s[2:3]
	s_mov_b64 s[2:3], 0
	global_store_byte v[5:6], v21, off
.LBB35_1732:
	s_and_b64 vcc, exec, s[2:3]
	s_cbranch_vccz .LBB35_1742
; %bb.1733:
	v_lshlrev_b32_e32 v20, 16, v1
	v_and_b32_e32 v21, 0x7fffffff, v20
	s_mov_b32 s2, 0x43f00000
	v_and_b32_e32 v3, 0xffff, v1
	v_cmp_gt_u32_e32 vcc, s2, v21
                                        ; implicit-def: $vgpr12
	s_and_saveexec_b64 s[2:3], vcc
	s_xor_b64 s[2:3], exec, s[2:3]
	s_cbranch_execz .LBB35_1739
; %bb.1734:
	s_mov_b32 s4, 0x3c7fffff
	v_cmp_lt_u32_e32 vcc, s4, v21
                                        ; implicit-def: $vgpr12
	s_and_saveexec_b64 s[4:5], vcc
	s_xor_b64 s[4:5], exec, s[4:5]
; %bb.1735:
	v_bfe_u32 v12, v3, 4, 1
	s_mov_b32 s10, 0x407ffff
	v_add3_u32 v12, v20, v12, s10
	v_lshrrev_b32_e32 v20, 20, v12
	v_and_b32_e32 v12, 0xff00000, v12
	s_mov_b32 s10, 0x7f00000
	v_mov_b32_e32 v21, 0x7e
	v_cmp_ne_u32_e32 vcc, s10, v12
	v_cndmask_b32_e32 v12, v21, v20, vcc
                                        ; implicit-def: $vgpr20
; %bb.1736:
	s_andn2_saveexec_b64 s[4:5], s[4:5]
; %bb.1737:
	s_mov_b32 s10, 0x46800000
	v_add_f32_e64 v12, |v20|, s10
; %bb.1738:
	s_or_b64 exec, exec, s[4:5]
                                        ; implicit-def: $vgpr21
.LBB35_1739:
	s_andn2_saveexec_b64 s[2:3], s[2:3]
; %bb.1740:
	s_mov_b32 s4, 0x7f800000
	v_mov_b32_e32 v12, 0x7e
	v_mov_b32_e32 v20, 0x7f
	v_cmp_lt_u32_e32 vcc, s4, v21
	v_cndmask_b32_e32 v12, v12, v20, vcc
; %bb.1741:
	s_or_b64 exec, exec, s[2:3]
	v_lshrrev_b32_e32 v3, 8, v3
	s_movk_i32 s2, 0x80
	v_and_or_b32 v3, v3, s2, v12
	global_store_byte v[5:6], v3, off
.LBB35_1742:
	s_mov_b64 s[2:3], 0
.LBB35_1743:
	s_andn2_b64 vcc, exec, s[2:3]
	s_cbranch_vccnz .LBB35_1753
; %bb.1744:
	v_lshlrev_b32_e32 v20, 16, v1
	v_and_b32_e32 v21, 0x7fffffff, v20
	s_mov_b32 s2, 0x47800000
	v_and_b32_e32 v3, 0xffff, v1
	v_cmp_gt_u32_e32 vcc, s2, v21
                                        ; implicit-def: $vgpr12
	s_and_saveexec_b64 s[2:3], vcc
	s_xor_b64 s[2:3], exec, s[2:3]
	s_cbranch_execz .LBB35_1750
; %bb.1745:
	s_mov_b32 s4, 0x387fffff
	v_cmp_lt_u32_e32 vcc, s4, v21
                                        ; implicit-def: $vgpr12
	s_and_saveexec_b64 s[4:5], vcc
	s_xor_b64 s[4:5], exec, s[4:5]
; %bb.1746:
	v_bfe_u32 v12, v3, 5, 1
	s_mov_b32 s10, 0x80fffff
	v_add3_u32 v12, v20, v12, s10
	v_lshrrev_b32_e32 v12, 21, v12
                                        ; implicit-def: $vgpr20
; %bb.1747:
	s_andn2_saveexec_b64 s[4:5], s[4:5]
; %bb.1748:
	s_mov_b32 s10, 0x43000000
	v_add_f32_e64 v12, |v20|, s10
; %bb.1749:
	s_or_b64 exec, exec, s[4:5]
                                        ; implicit-def: $vgpr21
.LBB35_1750:
	s_andn2_saveexec_b64 s[2:3], s[2:3]
; %bb.1751:
	s_mov_b32 s4, 0x7f800000
	v_mov_b32_e32 v12, 0x7c
	v_mov_b32_e32 v20, 0x7f
	v_cmp_lt_u32_e32 vcc, s4, v21
	v_cndmask_b32_e32 v12, v12, v20, vcc
; %bb.1752:
	s_or_b64 exec, exec, s[2:3]
	v_lshrrev_b32_e32 v3, 8, v3
	s_movk_i32 s2, 0x80
	v_and_or_b32 v3, v3, s2, v12
	global_store_byte v[5:6], v3, off
.LBB35_1753:
	s_mov_b64 s[2:3], 0
	s_mov_b64 s[4:5], -1
.LBB35_1754:
	s_andn2_b64 vcc, exec, s[2:3]
	s_mov_b64 s[2:3], 0
	s_cbranch_vccnz .LBB35_1761
; %bb.1755:
	s_cmp_gt_i32 s17, 14
	s_mov_b64 s[10:11], -1
	s_cbranch_scc0 .LBB35_1759
; %bb.1756:
	s_cmp_eq_u32 s17, 15
	s_mov_b64 s[0:1], -1
	s_cbranch_scc0 .LBB35_1758
; %bb.1757:
	global_store_short v[5:6], v1, off
	s_mov_b64 s[0:1], 0
	s_mov_b64 s[4:5], -1
.LBB35_1758:
	s_mov_b64 s[10:11], 0
.LBB35_1759:
	s_and_b64 vcc, exec, s[10:11]
	s_cbranch_vccz .LBB35_1761
; %bb.1760:
	s_cmp_lg_u32 s17, 11
	s_mov_b64 s[2:3], -1
	s_cselect_b64 s[0:1], -1, 0
.LBB35_1761:
	s_and_b64 vcc, exec, s[0:1]
	s_cbranch_vccnz .LBB35_2169
; %bb.1762:
	s_andn2_b64 vcc, exec, s[2:3]
	s_cbranch_vccnz .LBB35_1764
.LBB35_1763:
	v_and_b32_e32 v3, 0x7fff, v1
	v_cmp_ne_u16_e32 vcc, 0, v3
	v_cndmask_b32_e64 v3, 0, 1, vcc
	s_mov_b64 s[4:5], -1
	global_store_byte v[5:6], v3, off
.LBB35_1764:
	s_mov_b64 s[0:1], 0
	s_branch .LBB35_1766
.LBB35_1765:
	s_mov_b64 s[0:1], -1
	s_mov_b64 s[4:5], 0
.LBB35_1766:
	s_and_b64 vcc, exec, s[0:1]
	s_cbranch_vccz .LBB35_1805
; %bb.1767:
	s_and_b32 s2, 0xffff, s16
	s_cmp_lt_i32 s2, 5
	s_mov_b64 s[0:1], -1
	s_cbranch_scc1 .LBB35_1788
; %bb.1768:
	s_cmp_lt_i32 s2, 8
	s_cbranch_scc1 .LBB35_1778
; %bb.1769:
	s_cmp_lt_i32 s2, 9
	s_cbranch_scc1 .LBB35_1775
; %bb.1770:
	s_cmp_gt_i32 s2, 9
	s_cbranch_scc0 .LBB35_1772
; %bb.1771:
	v_lshlrev_b32_e32 v3, 16, v1
	v_cvt_f64_f32_e32 v[20:21], v3
	v_mov_b32_e32 v22, 0
	v_mov_b32_e32 v23, v22
	s_mov_b64 s[0:1], 0
	global_store_dwordx4 v[5:6], v[20:23], off
.LBB35_1772:
	s_andn2_b64 vcc, exec, s[0:1]
	s_cbranch_vccnz .LBB35_1774
; %bb.1773:
	v_lshlrev_b32_e32 v20, 16, v1
	v_mov_b32_e32 v21, 0
	global_store_dwordx2 v[5:6], v[20:21], off
.LBB35_1774:
	s_mov_b64 s[0:1], 0
.LBB35_1775:
	s_andn2_b64 vcc, exec, s[0:1]
	s_cbranch_vccnz .LBB35_1777
; %bb.1776:
	v_lshlrev_b32_e32 v3, 16, v1
	v_cvt_f16_f32_e32 v3, v3
	global_store_dword v[5:6], v3, off
.LBB35_1777:
	s_mov_b64 s[0:1], 0
.LBB35_1778:
	s_andn2_b64 vcc, exec, s[0:1]
	s_cbranch_vccnz .LBB35_1787
; %bb.1779:
	s_cmp_lt_i32 s2, 6
	s_mov_b64 s[0:1], -1
	s_cbranch_scc1 .LBB35_1785
; %bb.1780:
	s_cmp_gt_i32 s2, 6
	s_cbranch_scc0 .LBB35_1782
; %bb.1781:
	v_lshlrev_b32_e32 v3, 16, v1
	v_cvt_f64_f32_e32 v[20:21], v3
	s_mov_b64 s[0:1], 0
	global_store_dwordx2 v[5:6], v[20:21], off
.LBB35_1782:
	s_andn2_b64 vcc, exec, s[0:1]
	s_cbranch_vccnz .LBB35_1784
; %bb.1783:
	v_lshlrev_b32_e32 v3, 16, v1
	global_store_dword v[5:6], v3, off
.LBB35_1784:
	s_mov_b64 s[0:1], 0
.LBB35_1785:
	s_andn2_b64 vcc, exec, s[0:1]
	s_cbranch_vccnz .LBB35_1787
; %bb.1786:
	v_lshlrev_b32_e32 v3, 16, v1
	v_cvt_f16_f32_e32 v3, v3
	global_store_short v[5:6], v3, off
.LBB35_1787:
	s_mov_b64 s[0:1], 0
.LBB35_1788:
	s_andn2_b64 vcc, exec, s[0:1]
	s_cbranch_vccnz .LBB35_1804
; %bb.1789:
	s_cmp_lt_i32 s2, 2
	s_mov_b64 s[0:1], -1
	s_cbranch_scc1 .LBB35_1799
; %bb.1790:
	s_cmp_lt_i32 s2, 3
	s_cbranch_scc1 .LBB35_1796
; %bb.1791:
	s_cmp_gt_i32 s2, 3
	s_cbranch_scc0 .LBB35_1793
; %bb.1792:
	v_lshlrev_b32_e32 v3, 16, v1
	v_trunc_f32_e32 v3, v3
	s_mov_b32 s0, 0x2f800000
	v_mul_f32_e64 v12, |v3|, s0
	v_floor_f32_e32 v12, v12
	s_mov_b32 s0, 0xcf800000
	v_cvt_u32_f32_e32 v20, v12
	v_fma_f32 v12, v12, s0, |v3|
	v_cvt_u32_f32_e32 v12, v12
	v_ashrrev_i32_e32 v3, 31, v3
	v_xor_b32_e32 v21, v20, v3
	s_mov_b64 s[0:1], 0
	v_xor_b32_e32 v12, v12, v3
	v_sub_co_u32_e32 v20, vcc, v12, v3
	v_subb_co_u32_e32 v21, vcc, v21, v3, vcc
	global_store_dwordx2 v[5:6], v[20:21], off
.LBB35_1793:
	s_andn2_b64 vcc, exec, s[0:1]
	s_cbranch_vccnz .LBB35_1795
; %bb.1794:
	v_lshlrev_b32_e32 v3, 16, v1
	v_cvt_i32_f32_e32 v3, v3
	global_store_dword v[5:6], v3, off
.LBB35_1795:
	s_mov_b64 s[0:1], 0
.LBB35_1796:
	s_andn2_b64 vcc, exec, s[0:1]
	s_cbranch_vccnz .LBB35_1798
; %bb.1797:
	v_lshlrev_b32_e32 v3, 16, v1
	v_cvt_i32_f32_e32 v3, v3
	global_store_short v[5:6], v3, off
.LBB35_1798:
	s_mov_b64 s[0:1], 0
.LBB35_1799:
	s_andn2_b64 vcc, exec, s[0:1]
	s_cbranch_vccnz .LBB35_1804
; %bb.1800:
	s_mov_b64 s[0:1], -1
	s_cmp_gt_i32 s2, 0
	v_lshlrev_b32_e32 v1, 16, v1
	s_cbranch_scc0 .LBB35_1802
; %bb.1801:
	v_cvt_i32_f32_e32 v3, v1
	s_mov_b64 s[0:1], 0
	global_store_byte v[5:6], v3, off
.LBB35_1802:
	s_andn2_b64 vcc, exec, s[0:1]
	s_cbranch_vccnz .LBB35_1804
; %bb.1803:
	v_trunc_f32_e32 v1, v1
	s_mov_b32 s0, 0x2f800000
	v_mul_f32_e64 v3, |v1|, s0
	v_floor_f32_e32 v3, v3
	s_mov_b32 s0, 0xcf800000
	v_fma_f32 v3, v3, s0, |v1|
	v_cvt_u32_f32_e32 v3, v3
	v_ashrrev_i32_e32 v1, 31, v1
	v_xor_b32_e32 v3, v3, v1
	v_sub_u32_e32 v1, v3, v1
	global_store_byte v[5:6], v1, off
.LBB35_1804:
	s_mov_b64 s[4:5], -1
.LBB35_1805:
	s_andn2_b64 vcc, exec, s[4:5]
	s_cbranch_vccnz .LBB35_2120
; %bb.1806:
	v_mul_f32_e32 v1, v14, v14
	v_mov_b32_e32 v3, 0x3c0881c4
	v_fmac_f32_e32 v3, 0xb94c1982, v1
	v_mov_b32_e32 v5, 0xbe2aaa9d
	v_fmac_f32_e32 v5, v1, v3
	v_mul_f32_e32 v3, v1, v5
	v_fmac_f32_e32 v14, v14, v3
	v_mov_b32_e32 v3, 0xbab64f3b
	v_fmac_f32_e32 v3, 0x37d75334, v1
	v_mov_b32_e32 v5, 0x3d2aabf7
	;; [unrolled: 2-line block ×3, first 2 shown]
	v_fmac_f32_e32 v3, v1, v5
	v_fma_f32 v1, v1, v3, 1.0
	v_and_b32_e32 v3, 1, v13
	v_cmp_eq_u32_e32 vcc, 0, v3
	v_lshlrev_b32_e32 v3, 30, v13
	v_and_b32_e32 v3, 0x80000000, v3
	s_lshr_b32 s0, s18, 8
	v_cndmask_b32_e32 v1, v1, v14, vcc
	v_xor_b32_e32 v3, v11, v3
	s_and_b32 s16, s0, 0xff
	v_xor_b32_e32 v1, v3, v1
	s_movk_i32 s0, 0x1f8
	v_xor_b32_e32 v1, v1, v10
	v_mov_b32_e32 v3, 0x7fc00000
	v_cmp_class_f32_e64 vcc, v10, s0
	v_cndmask_b32_e32 v1, v3, v1, vcc
	v_bfe_u32 v3, v1, 16, 1
	s_movk_i32 s0, 0x7fff
	v_add3_u32 v3, v1, v3, s0
	v_cmp_o_f32_e32 vcc, v1, v1
	v_mov_b32_e32 v1, 0x7fc0
	v_cndmask_b32_sdwa v1, v1, v3, vcc dst_sel:DWORD dst_unused:UNUSED_PAD src0_sel:DWORD src1_sel:WORD_1
	v_mov_b32_e32 v5, s9
	v_add_co_u32_e32 v3, vcc, s8, v4
	s_cmp_lt_i32 s16, 11
	v_addc_co_u32_e32 v4, vcc, 0, v5, vcc
	s_cbranch_scc1 .LBB35_1884
; %bb.1807:
	s_and_b32 s17, 0xffff, s16
	s_mov_b64 s[10:11], -1
	s_mov_b64 s[2:3], 0
	s_cmp_gt_i32 s17, 25
	s_mov_b64 s[4:5], 0
	s_mov_b64 s[0:1], 0
	s_cbranch_scc0 .LBB35_1840
; %bb.1808:
	s_cmp_gt_i32 s17, 28
	s_cbranch_scc0 .LBB35_1823
; %bb.1809:
	s_cmp_gt_i32 s17, 43
	s_cbranch_scc0 .LBB35_1819
; %bb.1810:
	s_cmp_gt_i32 s17, 45
	s_cbranch_scc0 .LBB35_1813
; %bb.1811:
	s_mov_b64 s[0:1], -1
	s_mov_b64 s[10:11], 0
	s_cmp_eq_u32 s17, 46
	s_cbranch_scc0 .LBB35_1813
; %bb.1812:
	v_and_b32_e32 v5, 0xffff, v1
	global_store_dword v[3:4], v5, off
	s_mov_b64 s[0:1], 0
	s_mov_b64 s[4:5], -1
.LBB35_1813:
	s_and_b64 vcc, exec, s[10:11]
	s_cbranch_vccz .LBB35_1818
; %bb.1814:
	s_cmp_eq_u32 s17, 44
	s_mov_b64 s[0:1], -1
	s_cbranch_scc0 .LBB35_1818
; %bb.1815:
	v_and_b32_e32 v6, 0xffff, v1
	v_bfe_u32 v5, v6, 7, 8
	s_movk_i32 s0, 0xff
	v_cmp_ne_u32_e32 vcc, s0, v5
	v_mov_b32_e32 v10, 0xff
	s_and_saveexec_b64 s[4:5], vcc
	s_cbranch_execz .LBB35_1817
; %bb.1816:
	v_lshlrev_b32_e32 v11, 16, v6
	s_mov_b32 s0, 0x3f0000
	v_lshrrev_b32_e32 v10, 7, v6
	v_and_b32_e32 v6, 64, v6
	v_and_or_b32 v5, v11, s0, v5
	v_cmp_ne_u32_e32 vcc, 0, v6
	v_cmp_ne_u32_e64 s[0:1], 0, v5
	s_and_b64 s[0:1], vcc, s[0:1]
	v_cndmask_b32_e64 v5, 0, 1, s[0:1]
	v_add_u32_e32 v10, v10, v5
.LBB35_1817:
	s_or_b64 exec, exec, s[4:5]
	s_mov_b64 s[0:1], 0
	s_mov_b64 s[4:5], -1
	global_store_byte v[3:4], v10, off
.LBB35_1818:
	s_mov_b64 s[10:11], 0
.LBB35_1819:
	s_and_b64 vcc, exec, s[10:11]
	s_cbranch_vccz .LBB35_1822
; %bb.1820:
	s_cmp_eq_u32 s17, 29
	s_mov_b64 s[0:1], -1
	s_cbranch_scc0 .LBB35_1822
; %bb.1821:
	v_lshlrev_b32_e32 v5, 16, v1
	v_trunc_f32_e32 v5, v5
	v_mul_f32_e32 v6, 0x2f800000, v5
	v_floor_f32_e32 v10, v6
	v_fmac_f32_e32 v5, 0xcf800000, v10
	v_cvt_u32_f32_e32 v6, v10
	v_cvt_u32_f32_e32 v5, v5
	s_mov_b64 s[0:1], 0
	s_mov_b64 s[4:5], -1
	global_store_dwordx2 v[3:4], v[5:6], off
.LBB35_1822:
	s_mov_b64 s[10:11], 0
.LBB35_1823:
	s_and_b64 vcc, exec, s[10:11]
	s_cbranch_vccz .LBB35_1839
; %bb.1824:
	s_cmp_lt_i32 s17, 27
	s_mov_b64 s[4:5], -1
	s_cbranch_scc1 .LBB35_1830
; %bb.1825:
	s_cmp_gt_i32 s17, 27
	s_cbranch_scc0 .LBB35_1827
; %bb.1826:
	v_lshlrev_b32_e32 v5, 16, v1
	v_cvt_u32_f32_e32 v5, v5
	s_mov_b64 s[4:5], 0
	global_store_dword v[3:4], v5, off
.LBB35_1827:
	s_andn2_b64 vcc, exec, s[4:5]
	s_cbranch_vccnz .LBB35_1829
; %bb.1828:
	v_lshlrev_b32_e32 v5, 16, v1
	v_cvt_u32_f32_e32 v5, v5
	global_store_short v[3:4], v5, off
.LBB35_1829:
	s_mov_b64 s[4:5], 0
.LBB35_1830:
	s_andn2_b64 vcc, exec, s[4:5]
	s_cbranch_vccnz .LBB35_1838
; %bb.1831:
	v_lshlrev_b32_e32 v10, 16, v1
	v_and_b32_e32 v6, 0x7fffffff, v10
	s_mov_b32 s4, 0x43800000
	v_cmp_gt_u32_e32 vcc, s4, v6
	v_mov_b32_e32 v11, 0x80
	s_and_saveexec_b64 s[4:5], vcc
	s_cbranch_execz .LBB35_1837
; %bb.1832:
	s_mov_b32 s10, 0x3bffffff
	v_and_b32_e32 v5, 0xffff, v1
	v_cmp_lt_u32_e32 vcc, s10, v6
	s_mov_b64 s[10:11], 0
                                        ; implicit-def: $vgpr6
	s_and_saveexec_b64 s[14:15], vcc
	s_xor_b64 s[14:15], exec, s[14:15]
	s_cbranch_execz .LBB35_2172
; %bb.1833:
	v_bfe_u32 v6, v5, 4, 1
	s_mov_b32 s18, 0x487ffff
	v_add3_u32 v6, v10, v6, s18
	s_mov_b64 s[10:11], exec
	v_lshrrev_b32_e32 v6, 20, v6
                                        ; implicit-def: $vgpr10
	s_andn2_saveexec_b64 s[14:15], s[14:15]
	s_cbranch_execnz .LBB35_2173
.LBB35_1834:
	s_or_b64 exec, exec, s[14:15]
	v_mov_b32_e32 v11, 0
	s_and_saveexec_b64 s[14:15], s[10:11]
.LBB35_1835:
	v_lshrrev_b32_e32 v5, 8, v5
	s_movk_i32 s10, 0x80
	v_and_or_b32 v11, v5, s10, v6
.LBB35_1836:
	s_or_b64 exec, exec, s[14:15]
.LBB35_1837:
	s_or_b64 exec, exec, s[4:5]
	global_store_byte v[3:4], v11, off
.LBB35_1838:
	s_mov_b64 s[4:5], -1
.LBB35_1839:
	s_mov_b64 s[10:11], 0
.LBB35_1840:
	s_and_b64 vcc, exec, s[10:11]
	s_cbranch_vccz .LBB35_1880
; %bb.1841:
	s_cmp_gt_i32 s17, 22
	s_mov_b64 s[2:3], -1
	s_cbranch_scc0 .LBB35_1873
; %bb.1842:
	s_cmp_lt_i32 s17, 24
	s_cbranch_scc1 .LBB35_1862
; %bb.1843:
	s_cmp_gt_i32 s17, 24
	s_cbranch_scc0 .LBB35_1851
; %bb.1844:
	v_lshlrev_b32_e32 v10, 16, v1
	v_and_b32_e32 v6, 0x7fffffff, v10
	s_mov_b32 s2, 0x47800000
	v_cmp_gt_u32_e32 vcc, s2, v6
	v_mov_b32_e32 v11, 0x80
	s_and_saveexec_b64 s[2:3], vcc
	s_cbranch_execz .LBB35_1850
; %bb.1845:
	s_mov_b32 s4, 0x37ffffff
	v_and_b32_e32 v5, 0xffff, v1
	v_cmp_lt_u32_e32 vcc, s4, v6
	s_mov_b64 s[4:5], 0
                                        ; implicit-def: $vgpr6
	s_and_saveexec_b64 s[10:11], vcc
	s_xor_b64 s[10:11], exec, s[10:11]
	s_cbranch_execz .LBB35_2175
; %bb.1846:
	v_bfe_u32 v6, v5, 5, 1
	s_mov_b32 s14, 0x88fffff
	v_add3_u32 v6, v10, v6, s14
	s_mov_b64 s[4:5], exec
	v_lshrrev_b32_e32 v6, 21, v6
                                        ; implicit-def: $vgpr10
	s_andn2_saveexec_b64 s[10:11], s[10:11]
	s_cbranch_execnz .LBB35_2176
.LBB35_1847:
	s_or_b64 exec, exec, s[10:11]
	v_mov_b32_e32 v11, 0
	s_and_saveexec_b64 s[10:11], s[4:5]
.LBB35_1848:
	v_lshrrev_b32_e32 v5, 8, v5
	s_movk_i32 s4, 0x80
	v_and_or_b32 v11, v5, s4, v6
.LBB35_1849:
	s_or_b64 exec, exec, s[10:11]
.LBB35_1850:
	s_or_b64 exec, exec, s[2:3]
	s_mov_b64 s[2:3], 0
	global_store_byte v[3:4], v11, off
.LBB35_1851:
	s_and_b64 vcc, exec, s[2:3]
	s_cbranch_vccz .LBB35_1861
; %bb.1852:
	v_lshlrev_b32_e32 v10, 16, v1
	v_and_b32_e32 v11, 0x7fffffff, v10
	s_mov_b32 s2, 0x43f00000
	v_and_b32_e32 v5, 0xffff, v1
	v_cmp_gt_u32_e32 vcc, s2, v11
                                        ; implicit-def: $vgpr6
	s_and_saveexec_b64 s[2:3], vcc
	s_xor_b64 s[2:3], exec, s[2:3]
	s_cbranch_execz .LBB35_1858
; %bb.1853:
	s_mov_b32 s4, 0x3c7fffff
	v_cmp_lt_u32_e32 vcc, s4, v11
                                        ; implicit-def: $vgpr6
	s_and_saveexec_b64 s[4:5], vcc
	s_xor_b64 s[4:5], exec, s[4:5]
; %bb.1854:
	v_bfe_u32 v6, v5, 4, 1
	s_mov_b32 s10, 0x407ffff
	v_add3_u32 v6, v10, v6, s10
	v_lshrrev_b32_e32 v10, 20, v6
	v_and_b32_e32 v6, 0xff00000, v6
	s_mov_b32 s10, 0x7f00000
	v_mov_b32_e32 v11, 0x7e
	v_cmp_ne_u32_e32 vcc, s10, v6
	v_cndmask_b32_e32 v6, v11, v10, vcc
                                        ; implicit-def: $vgpr10
; %bb.1855:
	s_andn2_saveexec_b64 s[4:5], s[4:5]
; %bb.1856:
	s_mov_b32 s10, 0x46800000
	v_add_f32_e64 v6, |v10|, s10
; %bb.1857:
	s_or_b64 exec, exec, s[4:5]
                                        ; implicit-def: $vgpr11
.LBB35_1858:
	s_andn2_saveexec_b64 s[2:3], s[2:3]
; %bb.1859:
	s_mov_b32 s4, 0x7f800000
	v_mov_b32_e32 v6, 0x7e
	v_mov_b32_e32 v10, 0x7f
	v_cmp_lt_u32_e32 vcc, s4, v11
	v_cndmask_b32_e32 v6, v6, v10, vcc
; %bb.1860:
	s_or_b64 exec, exec, s[2:3]
	v_lshrrev_b32_e32 v5, 8, v5
	s_movk_i32 s2, 0x80
	v_and_or_b32 v5, v5, s2, v6
	global_store_byte v[3:4], v5, off
.LBB35_1861:
	s_mov_b64 s[2:3], 0
.LBB35_1862:
	s_andn2_b64 vcc, exec, s[2:3]
	s_cbranch_vccnz .LBB35_1872
; %bb.1863:
	v_lshlrev_b32_e32 v10, 16, v1
	v_and_b32_e32 v11, 0x7fffffff, v10
	s_mov_b32 s2, 0x47800000
	v_and_b32_e32 v5, 0xffff, v1
	v_cmp_gt_u32_e32 vcc, s2, v11
                                        ; implicit-def: $vgpr6
	s_and_saveexec_b64 s[2:3], vcc
	s_xor_b64 s[2:3], exec, s[2:3]
	s_cbranch_execz .LBB35_1869
; %bb.1864:
	s_mov_b32 s4, 0x387fffff
	v_cmp_lt_u32_e32 vcc, s4, v11
                                        ; implicit-def: $vgpr6
	s_and_saveexec_b64 s[4:5], vcc
	s_xor_b64 s[4:5], exec, s[4:5]
; %bb.1865:
	v_bfe_u32 v6, v5, 5, 1
	s_mov_b32 s10, 0x80fffff
	v_add3_u32 v6, v10, v6, s10
	v_lshrrev_b32_e32 v6, 21, v6
                                        ; implicit-def: $vgpr10
; %bb.1866:
	s_andn2_saveexec_b64 s[4:5], s[4:5]
; %bb.1867:
	s_mov_b32 s10, 0x43000000
	v_add_f32_e64 v6, |v10|, s10
; %bb.1868:
	s_or_b64 exec, exec, s[4:5]
                                        ; implicit-def: $vgpr11
.LBB35_1869:
	s_andn2_saveexec_b64 s[2:3], s[2:3]
; %bb.1870:
	s_mov_b32 s4, 0x7f800000
	v_mov_b32_e32 v6, 0x7c
	v_mov_b32_e32 v10, 0x7f
	v_cmp_lt_u32_e32 vcc, s4, v11
	v_cndmask_b32_e32 v6, v6, v10, vcc
; %bb.1871:
	s_or_b64 exec, exec, s[2:3]
	v_lshrrev_b32_e32 v5, 8, v5
	s_movk_i32 s2, 0x80
	v_and_or_b32 v5, v5, s2, v6
	global_store_byte v[3:4], v5, off
.LBB35_1872:
	s_mov_b64 s[2:3], 0
	s_mov_b64 s[4:5], -1
.LBB35_1873:
	s_andn2_b64 vcc, exec, s[2:3]
	s_mov_b64 s[2:3], 0
	s_cbranch_vccnz .LBB35_1880
; %bb.1874:
	s_cmp_gt_i32 s17, 14
	s_mov_b64 s[10:11], -1
	s_cbranch_scc0 .LBB35_1878
; %bb.1875:
	s_cmp_eq_u32 s17, 15
	s_mov_b64 s[0:1], -1
	s_cbranch_scc0 .LBB35_1877
; %bb.1876:
	global_store_short v[3:4], v1, off
	s_mov_b64 s[0:1], 0
	s_mov_b64 s[4:5], -1
.LBB35_1877:
	s_mov_b64 s[10:11], 0
.LBB35_1878:
	s_and_b64 vcc, exec, s[10:11]
	s_cbranch_vccz .LBB35_1880
; %bb.1879:
	s_cmp_lg_u32 s17, 11
	s_mov_b64 s[2:3], -1
	s_cselect_b64 s[0:1], -1, 0
.LBB35_1880:
	s_and_b64 vcc, exec, s[0:1]
	s_cbranch_vccnz .LBB35_2174
; %bb.1881:
	s_andn2_b64 vcc, exec, s[2:3]
	s_cbranch_vccnz .LBB35_1883
.LBB35_1882:
	v_and_b32_e32 v5, 0x7fff, v1
	v_cmp_ne_u16_e32 vcc, 0, v5
	v_cndmask_b32_e64 v5, 0, 1, vcc
	s_mov_b64 s[4:5], -1
	global_store_byte v[3:4], v5, off
.LBB35_1883:
	s_mov_b64 s[0:1], 0
	s_branch .LBB35_1885
.LBB35_1884:
	s_mov_b64 s[0:1], -1
	s_mov_b64 s[4:5], 0
.LBB35_1885:
	s_and_b64 vcc, exec, s[0:1]
	s_cbranch_vccz .LBB35_1924
; %bb.1886:
	s_and_b32 s2, 0xffff, s16
	s_cmp_lt_i32 s2, 5
	s_mov_b64 s[0:1], -1
	s_cbranch_scc1 .LBB35_1907
; %bb.1887:
	s_cmp_lt_i32 s2, 8
	s_cbranch_scc1 .LBB35_1897
; %bb.1888:
	s_cmp_lt_i32 s2, 9
	s_cbranch_scc1 .LBB35_1894
; %bb.1889:
	s_cmp_gt_i32 s2, 9
	s_cbranch_scc0 .LBB35_1891
; %bb.1890:
	v_lshlrev_b32_e32 v5, 16, v1
	v_cvt_f64_f32_e32 v[10:11], v5
	v_mov_b32_e32 v12, 0
	v_mov_b32_e32 v13, v12
	s_mov_b64 s[0:1], 0
	global_store_dwordx4 v[3:4], v[10:13], off
.LBB35_1891:
	s_andn2_b64 vcc, exec, s[0:1]
	s_cbranch_vccnz .LBB35_1893
; %bb.1892:
	v_lshlrev_b32_e32 v5, 16, v1
	v_mov_b32_e32 v6, 0
	global_store_dwordx2 v[3:4], v[5:6], off
.LBB35_1893:
	s_mov_b64 s[0:1], 0
.LBB35_1894:
	s_andn2_b64 vcc, exec, s[0:1]
	s_cbranch_vccnz .LBB35_1896
; %bb.1895:
	v_lshlrev_b32_e32 v5, 16, v1
	v_cvt_f16_f32_e32 v5, v5
	global_store_dword v[3:4], v5, off
.LBB35_1896:
	s_mov_b64 s[0:1], 0
.LBB35_1897:
	s_andn2_b64 vcc, exec, s[0:1]
	s_cbranch_vccnz .LBB35_1906
; %bb.1898:
	s_cmp_lt_i32 s2, 6
	s_mov_b64 s[0:1], -1
	s_cbranch_scc1 .LBB35_1904
; %bb.1899:
	s_cmp_gt_i32 s2, 6
	s_cbranch_scc0 .LBB35_1901
; %bb.1900:
	v_lshlrev_b32_e32 v5, 16, v1
	v_cvt_f64_f32_e32 v[5:6], v5
	s_mov_b64 s[0:1], 0
	global_store_dwordx2 v[3:4], v[5:6], off
.LBB35_1901:
	s_andn2_b64 vcc, exec, s[0:1]
	s_cbranch_vccnz .LBB35_1903
; %bb.1902:
	v_lshlrev_b32_e32 v5, 16, v1
	global_store_dword v[3:4], v5, off
.LBB35_1903:
	s_mov_b64 s[0:1], 0
.LBB35_1904:
	s_andn2_b64 vcc, exec, s[0:1]
	s_cbranch_vccnz .LBB35_1906
; %bb.1905:
	v_lshlrev_b32_e32 v5, 16, v1
	v_cvt_f16_f32_e32 v5, v5
	global_store_short v[3:4], v5, off
.LBB35_1906:
	s_mov_b64 s[0:1], 0
.LBB35_1907:
	s_andn2_b64 vcc, exec, s[0:1]
	s_cbranch_vccnz .LBB35_1923
; %bb.1908:
	s_cmp_lt_i32 s2, 2
	s_mov_b64 s[0:1], -1
	s_cbranch_scc1 .LBB35_1918
; %bb.1909:
	s_cmp_lt_i32 s2, 3
	s_cbranch_scc1 .LBB35_1915
; %bb.1910:
	s_cmp_gt_i32 s2, 3
	s_cbranch_scc0 .LBB35_1912
; %bb.1911:
	v_lshlrev_b32_e32 v5, 16, v1
	v_trunc_f32_e32 v5, v5
	s_mov_b32 s0, 0x2f800000
	v_mul_f32_e64 v6, |v5|, s0
	v_floor_f32_e32 v6, v6
	s_mov_b32 s0, 0xcf800000
	v_cvt_u32_f32_e32 v10, v6
	v_fma_f32 v6, v6, s0, |v5|
	v_cvt_u32_f32_e32 v6, v6
	v_ashrrev_i32_e32 v11, 31, v5
	v_xor_b32_e32 v10, v10, v11
	s_mov_b64 s[0:1], 0
	v_xor_b32_e32 v5, v6, v11
	v_sub_co_u32_e32 v5, vcc, v5, v11
	v_subb_co_u32_e32 v6, vcc, v10, v11, vcc
	global_store_dwordx2 v[3:4], v[5:6], off
.LBB35_1912:
	s_andn2_b64 vcc, exec, s[0:1]
	s_cbranch_vccnz .LBB35_1914
; %bb.1913:
	v_lshlrev_b32_e32 v5, 16, v1
	v_cvt_i32_f32_e32 v5, v5
	global_store_dword v[3:4], v5, off
.LBB35_1914:
	s_mov_b64 s[0:1], 0
.LBB35_1915:
	s_andn2_b64 vcc, exec, s[0:1]
	s_cbranch_vccnz .LBB35_1917
; %bb.1916:
	v_lshlrev_b32_e32 v5, 16, v1
	v_cvt_i32_f32_e32 v5, v5
	global_store_short v[3:4], v5, off
.LBB35_1917:
	s_mov_b64 s[0:1], 0
.LBB35_1918:
	s_andn2_b64 vcc, exec, s[0:1]
	s_cbranch_vccnz .LBB35_1923
; %bb.1919:
	s_mov_b64 s[0:1], -1
	s_cmp_gt_i32 s2, 0
	v_lshlrev_b32_e32 v1, 16, v1
	s_cbranch_scc0 .LBB35_1921
; %bb.1920:
	v_cvt_i32_f32_e32 v5, v1
	s_mov_b64 s[0:1], 0
	global_store_byte v[3:4], v5, off
.LBB35_1921:
	s_andn2_b64 vcc, exec, s[0:1]
	s_cbranch_vccnz .LBB35_1923
; %bb.1922:
	v_trunc_f32_e32 v1, v1
	s_mov_b32 s0, 0x2f800000
	v_mul_f32_e64 v5, |v1|, s0
	v_floor_f32_e32 v5, v5
	s_mov_b32 s0, 0xcf800000
	v_fma_f32 v5, v5, s0, |v1|
	v_cvt_u32_f32_e32 v5, v5
	v_ashrrev_i32_e32 v1, 31, v1
	v_xor_b32_e32 v5, v5, v1
	v_sub_u32_e32 v1, v5, v1
	global_store_byte v[3:4], v1, off
.LBB35_1923:
	s_mov_b64 s[4:5], -1
.LBB35_1924:
	s_andn2_b64 vcc, exec, s[4:5]
	s_cbranch_vccnz .LBB35_2120
; %bb.1925:
	v_mul_f32_e32 v1, v17, v17
	v_mov_b32_e32 v3, 0x3c0881c4
	v_fmac_f32_e32 v3, 0xb94c1982, v1
	v_mov_b32_e32 v4, 0xbe2aaa9d
	v_fmac_f32_e32 v4, v1, v3
	v_mul_f32_e32 v3, v1, v4
	v_fmac_f32_e32 v17, v17, v3
	v_mov_b32_e32 v3, 0xbab64f3b
	v_fmac_f32_e32 v3, 0x37d75334, v1
	v_mov_b32_e32 v4, 0x3d2aabf7
	;; [unrolled: 2-line block ×3, first 2 shown]
	v_fmac_f32_e32 v3, v1, v4
	v_fma_f32 v1, v1, v3, 1.0
	v_and_b32_e32 v3, 1, v16
	v_cmp_eq_u32_e32 vcc, 0, v3
	v_lshlrev_b32_e32 v3, 30, v16
	v_and_b32_e32 v3, 0x80000000, v3
	v_cndmask_b32_e32 v1, v1, v17, vcc
	v_xor_b32_e32 v3, v15, v3
	v_xor_b32_e32 v1, v3, v1
	s_movk_i32 s0, 0x1f8
	v_xor_b32_e32 v1, v1, v9
	v_mov_b32_e32 v3, 0x7fc00000
	v_cmp_class_f32_e64 vcc, v9, s0
	v_cndmask_b32_e32 v1, v3, v1, vcc
	v_bfe_u32 v3, v1, 16, 1
	s_movk_i32 s0, 0x7fff
	v_add3_u32 v3, v1, v3, s0
	v_cmp_o_f32_e32 vcc, v1, v1
	v_mov_b32_e32 v1, 0x7fc0
	v_cndmask_b32_sdwa v3, v1, v3, vcc dst_sel:DWORD dst_unused:UNUSED_PAD src0_sel:DWORD src1_sel:WORD_1
	v_mov_b32_e32 v4, s9
	v_add_co_u32_e32 v1, vcc, s8, v2
	s_cmp_lt_i32 s16, 11
	v_addc_co_u32_e32 v2, vcc, 0, v4, vcc
	s_cbranch_scc1 .LBB35_2003
; %bb.1926:
	s_and_b32 s17, 0xffff, s16
	s_mov_b64 s[10:11], -1
	s_mov_b64 s[2:3], 0
	s_cmp_gt_i32 s17, 25
	s_mov_b64 s[4:5], 0
	s_mov_b64 s[0:1], 0
	s_cbranch_scc0 .LBB35_1959
; %bb.1927:
	s_cmp_gt_i32 s17, 28
	s_cbranch_scc0 .LBB35_1942
; %bb.1928:
	s_cmp_gt_i32 s17, 43
	;; [unrolled: 3-line block ×3, first 2 shown]
	s_cbranch_scc0 .LBB35_1932
; %bb.1930:
	s_mov_b64 s[0:1], -1
	s_mov_b64 s[10:11], 0
	s_cmp_eq_u32 s17, 46
	s_cbranch_scc0 .LBB35_1932
; %bb.1931:
	v_and_b32_e32 v4, 0xffff, v3
	global_store_dword v[1:2], v4, off
	s_mov_b64 s[0:1], 0
	s_mov_b64 s[4:5], -1
.LBB35_1932:
	s_and_b64 vcc, exec, s[10:11]
	s_cbranch_vccz .LBB35_1937
; %bb.1933:
	s_cmp_eq_u32 s17, 44
	s_mov_b64 s[0:1], -1
	s_cbranch_scc0 .LBB35_1937
; %bb.1934:
	v_and_b32_e32 v5, 0xffff, v3
	v_bfe_u32 v4, v5, 7, 8
	s_movk_i32 s0, 0xff
	v_cmp_ne_u32_e32 vcc, s0, v4
	v_mov_b32_e32 v6, 0xff
	s_and_saveexec_b64 s[4:5], vcc
	s_cbranch_execz .LBB35_1936
; %bb.1935:
	v_lshlrev_b32_e32 v9, 16, v5
	s_mov_b32 s0, 0x3f0000
	v_lshrrev_b32_e32 v6, 7, v5
	v_and_b32_e32 v5, 64, v5
	v_and_or_b32 v4, v9, s0, v4
	v_cmp_ne_u32_e32 vcc, 0, v5
	v_cmp_ne_u32_e64 s[0:1], 0, v4
	s_and_b64 s[0:1], vcc, s[0:1]
	v_cndmask_b32_e64 v4, 0, 1, s[0:1]
	v_add_u32_e32 v6, v6, v4
.LBB35_1936:
	s_or_b64 exec, exec, s[4:5]
	s_mov_b64 s[0:1], 0
	s_mov_b64 s[4:5], -1
	global_store_byte v[1:2], v6, off
.LBB35_1937:
	s_mov_b64 s[10:11], 0
.LBB35_1938:
	s_and_b64 vcc, exec, s[10:11]
	s_cbranch_vccz .LBB35_1941
; %bb.1939:
	s_cmp_eq_u32 s17, 29
	s_mov_b64 s[0:1], -1
	s_cbranch_scc0 .LBB35_1941
; %bb.1940:
	v_lshlrev_b32_e32 v4, 16, v3
	v_trunc_f32_e32 v4, v4
	v_mul_f32_e32 v5, 0x2f800000, v4
	v_floor_f32_e32 v6, v5
	v_fmac_f32_e32 v4, 0xcf800000, v6
	v_cvt_u32_f32_e32 v5, v6
	v_cvt_u32_f32_e32 v4, v4
	s_mov_b64 s[0:1], 0
	s_mov_b64 s[4:5], -1
	global_store_dwordx2 v[1:2], v[4:5], off
.LBB35_1941:
	s_mov_b64 s[10:11], 0
.LBB35_1942:
	s_and_b64 vcc, exec, s[10:11]
	s_cbranch_vccz .LBB35_1958
; %bb.1943:
	s_cmp_lt_i32 s17, 27
	s_mov_b64 s[4:5], -1
	s_cbranch_scc1 .LBB35_1949
; %bb.1944:
	s_cmp_gt_i32 s17, 27
	s_cbranch_scc0 .LBB35_1946
; %bb.1945:
	v_lshlrev_b32_e32 v4, 16, v3
	v_cvt_u32_f32_e32 v4, v4
	s_mov_b64 s[4:5], 0
	global_store_dword v[1:2], v4, off
.LBB35_1946:
	s_andn2_b64 vcc, exec, s[4:5]
	s_cbranch_vccnz .LBB35_1948
; %bb.1947:
	v_lshlrev_b32_e32 v4, 16, v3
	v_cvt_u32_f32_e32 v4, v4
	global_store_short v[1:2], v4, off
.LBB35_1948:
	s_mov_b64 s[4:5], 0
.LBB35_1949:
	s_andn2_b64 vcc, exec, s[4:5]
	s_cbranch_vccnz .LBB35_1957
; %bb.1950:
	v_lshlrev_b32_e32 v6, 16, v3
	v_and_b32_e32 v5, 0x7fffffff, v6
	s_mov_b32 s4, 0x43800000
	v_cmp_gt_u32_e32 vcc, s4, v5
	v_mov_b32_e32 v9, 0x80
	s_and_saveexec_b64 s[4:5], vcc
	s_cbranch_execz .LBB35_1956
; %bb.1951:
	s_mov_b32 s10, 0x3bffffff
	v_and_b32_e32 v4, 0xffff, v3
	v_cmp_lt_u32_e32 vcc, s10, v5
	s_mov_b64 s[10:11], 0
                                        ; implicit-def: $vgpr5
	s_and_saveexec_b64 s[14:15], vcc
	s_xor_b64 s[14:15], exec, s[14:15]
	s_cbranch_execz .LBB35_2177
; %bb.1952:
	v_bfe_u32 v5, v4, 4, 1
	s_mov_b32 s18, 0x487ffff
	v_add3_u32 v5, v6, v5, s18
	s_mov_b64 s[10:11], exec
	v_lshrrev_b32_e32 v5, 20, v5
                                        ; implicit-def: $vgpr6
	s_andn2_saveexec_b64 s[14:15], s[14:15]
	s_cbranch_execnz .LBB35_2178
.LBB35_1953:
	s_or_b64 exec, exec, s[14:15]
	v_mov_b32_e32 v9, 0
	s_and_saveexec_b64 s[14:15], s[10:11]
.LBB35_1954:
	v_lshrrev_b32_e32 v4, 8, v4
	s_movk_i32 s10, 0x80
	v_and_or_b32 v9, v4, s10, v5
.LBB35_1955:
	s_or_b64 exec, exec, s[14:15]
.LBB35_1956:
	s_or_b64 exec, exec, s[4:5]
	global_store_byte v[1:2], v9, off
.LBB35_1957:
	s_mov_b64 s[4:5], -1
.LBB35_1958:
	s_mov_b64 s[10:11], 0
.LBB35_1959:
	s_and_b64 vcc, exec, s[10:11]
	s_cbranch_vccz .LBB35_1999
; %bb.1960:
	s_cmp_gt_i32 s17, 22
	s_mov_b64 s[2:3], -1
	s_cbranch_scc0 .LBB35_1992
; %bb.1961:
	s_cmp_lt_i32 s17, 24
	s_cbranch_scc1 .LBB35_1981
; %bb.1962:
	s_cmp_gt_i32 s17, 24
	s_cbranch_scc0 .LBB35_1970
; %bb.1963:
	v_lshlrev_b32_e32 v6, 16, v3
	v_and_b32_e32 v5, 0x7fffffff, v6
	s_mov_b32 s2, 0x47800000
	v_cmp_gt_u32_e32 vcc, s2, v5
	v_mov_b32_e32 v9, 0x80
	s_and_saveexec_b64 s[2:3], vcc
	s_cbranch_execz .LBB35_1969
; %bb.1964:
	s_mov_b32 s4, 0x37ffffff
	v_and_b32_e32 v4, 0xffff, v3
	v_cmp_lt_u32_e32 vcc, s4, v5
	s_mov_b64 s[4:5], 0
                                        ; implicit-def: $vgpr5
	s_and_saveexec_b64 s[10:11], vcc
	s_xor_b64 s[10:11], exec, s[10:11]
	s_cbranch_execz .LBB35_2180
; %bb.1965:
	v_bfe_u32 v5, v4, 5, 1
	s_mov_b32 s14, 0x88fffff
	v_add3_u32 v5, v6, v5, s14
	s_mov_b64 s[4:5], exec
	v_lshrrev_b32_e32 v5, 21, v5
                                        ; implicit-def: $vgpr6
	s_andn2_saveexec_b64 s[10:11], s[10:11]
	s_cbranch_execnz .LBB35_2181
.LBB35_1966:
	s_or_b64 exec, exec, s[10:11]
	v_mov_b32_e32 v9, 0
	s_and_saveexec_b64 s[10:11], s[4:5]
.LBB35_1967:
	v_lshrrev_b32_e32 v4, 8, v4
	s_movk_i32 s4, 0x80
	v_and_or_b32 v9, v4, s4, v5
.LBB35_1968:
	s_or_b64 exec, exec, s[10:11]
.LBB35_1969:
	s_or_b64 exec, exec, s[2:3]
	s_mov_b64 s[2:3], 0
	global_store_byte v[1:2], v9, off
.LBB35_1970:
	s_and_b64 vcc, exec, s[2:3]
	s_cbranch_vccz .LBB35_1980
; %bb.1971:
	v_lshlrev_b32_e32 v6, 16, v3
	v_and_b32_e32 v9, 0x7fffffff, v6
	s_mov_b32 s2, 0x43f00000
	v_and_b32_e32 v4, 0xffff, v3
	v_cmp_gt_u32_e32 vcc, s2, v9
                                        ; implicit-def: $vgpr5
	s_and_saveexec_b64 s[2:3], vcc
	s_xor_b64 s[2:3], exec, s[2:3]
	s_cbranch_execz .LBB35_1977
; %bb.1972:
	s_mov_b32 s4, 0x3c7fffff
	v_cmp_lt_u32_e32 vcc, s4, v9
                                        ; implicit-def: $vgpr5
	s_and_saveexec_b64 s[4:5], vcc
	s_xor_b64 s[4:5], exec, s[4:5]
; %bb.1973:
	v_bfe_u32 v5, v4, 4, 1
	s_mov_b32 s10, 0x407ffff
	v_add3_u32 v5, v6, v5, s10
	v_lshrrev_b32_e32 v6, 20, v5
	v_and_b32_e32 v5, 0xff00000, v5
	s_mov_b32 s10, 0x7f00000
	v_mov_b32_e32 v9, 0x7e
	v_cmp_ne_u32_e32 vcc, s10, v5
	v_cndmask_b32_e32 v5, v9, v6, vcc
                                        ; implicit-def: $vgpr6
; %bb.1974:
	s_andn2_saveexec_b64 s[4:5], s[4:5]
; %bb.1975:
	s_mov_b32 s10, 0x46800000
	v_add_f32_e64 v5, |v6|, s10
; %bb.1976:
	s_or_b64 exec, exec, s[4:5]
                                        ; implicit-def: $vgpr9
.LBB35_1977:
	s_andn2_saveexec_b64 s[2:3], s[2:3]
; %bb.1978:
	s_mov_b32 s4, 0x7f800000
	v_mov_b32_e32 v5, 0x7e
	v_mov_b32_e32 v6, 0x7f
	v_cmp_lt_u32_e32 vcc, s4, v9
	v_cndmask_b32_e32 v5, v5, v6, vcc
; %bb.1979:
	s_or_b64 exec, exec, s[2:3]
	v_lshrrev_b32_e32 v4, 8, v4
	s_movk_i32 s2, 0x80
	v_and_or_b32 v4, v4, s2, v5
	global_store_byte v[1:2], v4, off
.LBB35_1980:
	s_mov_b64 s[2:3], 0
.LBB35_1981:
	s_andn2_b64 vcc, exec, s[2:3]
	s_cbranch_vccnz .LBB35_1991
; %bb.1982:
	v_lshlrev_b32_e32 v6, 16, v3
	v_and_b32_e32 v9, 0x7fffffff, v6
	s_mov_b32 s2, 0x47800000
	v_and_b32_e32 v4, 0xffff, v3
	v_cmp_gt_u32_e32 vcc, s2, v9
                                        ; implicit-def: $vgpr5
	s_and_saveexec_b64 s[2:3], vcc
	s_xor_b64 s[2:3], exec, s[2:3]
	s_cbranch_execz .LBB35_1988
; %bb.1983:
	s_mov_b32 s4, 0x387fffff
	v_cmp_lt_u32_e32 vcc, s4, v9
                                        ; implicit-def: $vgpr5
	s_and_saveexec_b64 s[4:5], vcc
	s_xor_b64 s[4:5], exec, s[4:5]
; %bb.1984:
	v_bfe_u32 v5, v4, 5, 1
	s_mov_b32 s10, 0x80fffff
	v_add3_u32 v5, v6, v5, s10
	v_lshrrev_b32_e32 v5, 21, v5
                                        ; implicit-def: $vgpr6
; %bb.1985:
	s_andn2_saveexec_b64 s[4:5], s[4:5]
; %bb.1986:
	s_mov_b32 s10, 0x43000000
	v_add_f32_e64 v5, |v6|, s10
; %bb.1987:
	s_or_b64 exec, exec, s[4:5]
                                        ; implicit-def: $vgpr9
.LBB35_1988:
	s_andn2_saveexec_b64 s[2:3], s[2:3]
; %bb.1989:
	s_mov_b32 s4, 0x7f800000
	v_mov_b32_e32 v5, 0x7c
	v_mov_b32_e32 v6, 0x7f
	v_cmp_lt_u32_e32 vcc, s4, v9
	v_cndmask_b32_e32 v5, v5, v6, vcc
; %bb.1990:
	s_or_b64 exec, exec, s[2:3]
	v_lshrrev_b32_e32 v4, 8, v4
	s_movk_i32 s2, 0x80
	v_and_or_b32 v4, v4, s2, v5
	global_store_byte v[1:2], v4, off
.LBB35_1991:
	s_mov_b64 s[2:3], 0
	s_mov_b64 s[4:5], -1
.LBB35_1992:
	s_andn2_b64 vcc, exec, s[2:3]
	s_mov_b64 s[2:3], 0
	s_cbranch_vccnz .LBB35_1999
; %bb.1993:
	s_cmp_gt_i32 s17, 14
	s_mov_b64 s[10:11], -1
	s_cbranch_scc0 .LBB35_1997
; %bb.1994:
	s_cmp_eq_u32 s17, 15
	s_mov_b64 s[0:1], -1
	s_cbranch_scc0 .LBB35_1996
; %bb.1995:
	global_store_short v[1:2], v3, off
	s_mov_b64 s[0:1], 0
	s_mov_b64 s[4:5], -1
.LBB35_1996:
	s_mov_b64 s[10:11], 0
.LBB35_1997:
	s_and_b64 vcc, exec, s[10:11]
	s_cbranch_vccz .LBB35_1999
; %bb.1998:
	s_cmp_lg_u32 s17, 11
	s_mov_b64 s[2:3], -1
	s_cselect_b64 s[0:1], -1, 0
.LBB35_1999:
	s_and_b64 vcc, exec, s[0:1]
	s_cbranch_vccnz .LBB35_2179
; %bb.2000:
	s_andn2_b64 vcc, exec, s[2:3]
	s_cbranch_vccnz .LBB35_2002
.LBB35_2001:
	v_and_b32_e32 v4, 0x7fff, v3
	v_cmp_ne_u16_e32 vcc, 0, v4
	v_cndmask_b32_e64 v4, 0, 1, vcc
	s_mov_b64 s[4:5], -1
	global_store_byte v[1:2], v4, off
.LBB35_2002:
	s_mov_b64 s[0:1], 0
	s_branch .LBB35_2004
.LBB35_2003:
	s_mov_b64 s[0:1], -1
	s_mov_b64 s[4:5], 0
.LBB35_2004:
	s_and_b64 vcc, exec, s[0:1]
	s_cbranch_vccz .LBB35_2043
; %bb.2005:
	s_and_b32 s2, 0xffff, s16
	s_cmp_lt_i32 s2, 5
	s_mov_b64 s[0:1], -1
	s_cbranch_scc1 .LBB35_2026
; %bb.2006:
	s_cmp_lt_i32 s2, 8
	s_cbranch_scc1 .LBB35_2016
; %bb.2007:
	s_cmp_lt_i32 s2, 9
	s_cbranch_scc1 .LBB35_2013
; %bb.2008:
	s_cmp_gt_i32 s2, 9
	s_cbranch_scc0 .LBB35_2010
; %bb.2009:
	v_lshlrev_b32_e32 v4, 16, v3
	v_cvt_f64_f32_e32 v[9:10], v4
	v_mov_b32_e32 v11, 0
	v_mov_b32_e32 v12, v11
	s_mov_b64 s[0:1], 0
	global_store_dwordx4 v[1:2], v[9:12], off
.LBB35_2010:
	s_andn2_b64 vcc, exec, s[0:1]
	s_cbranch_vccnz .LBB35_2012
; %bb.2011:
	v_lshlrev_b32_e32 v4, 16, v3
	v_mov_b32_e32 v5, 0
	global_store_dwordx2 v[1:2], v[4:5], off
.LBB35_2012:
	s_mov_b64 s[0:1], 0
.LBB35_2013:
	s_andn2_b64 vcc, exec, s[0:1]
	s_cbranch_vccnz .LBB35_2015
; %bb.2014:
	v_lshlrev_b32_e32 v4, 16, v3
	v_cvt_f16_f32_e32 v4, v4
	global_store_dword v[1:2], v4, off
.LBB35_2015:
	s_mov_b64 s[0:1], 0
.LBB35_2016:
	s_andn2_b64 vcc, exec, s[0:1]
	s_cbranch_vccnz .LBB35_2025
; %bb.2017:
	s_cmp_lt_i32 s2, 6
	s_mov_b64 s[0:1], -1
	s_cbranch_scc1 .LBB35_2023
; %bb.2018:
	s_cmp_gt_i32 s2, 6
	s_cbranch_scc0 .LBB35_2020
; %bb.2019:
	v_lshlrev_b32_e32 v4, 16, v3
	v_cvt_f64_f32_e32 v[4:5], v4
	s_mov_b64 s[0:1], 0
	global_store_dwordx2 v[1:2], v[4:5], off
.LBB35_2020:
	s_andn2_b64 vcc, exec, s[0:1]
	s_cbranch_vccnz .LBB35_2022
; %bb.2021:
	v_lshlrev_b32_e32 v4, 16, v3
	global_store_dword v[1:2], v4, off
.LBB35_2022:
	s_mov_b64 s[0:1], 0
.LBB35_2023:
	s_andn2_b64 vcc, exec, s[0:1]
	s_cbranch_vccnz .LBB35_2025
; %bb.2024:
	v_lshlrev_b32_e32 v4, 16, v3
	v_cvt_f16_f32_e32 v4, v4
	global_store_short v[1:2], v4, off
.LBB35_2025:
	s_mov_b64 s[0:1], 0
.LBB35_2026:
	s_andn2_b64 vcc, exec, s[0:1]
	s_cbranch_vccnz .LBB35_2042
; %bb.2027:
	s_cmp_lt_i32 s2, 2
	s_mov_b64 s[0:1], -1
	s_cbranch_scc1 .LBB35_2037
; %bb.2028:
	s_cmp_lt_i32 s2, 3
	s_cbranch_scc1 .LBB35_2034
; %bb.2029:
	s_cmp_gt_i32 s2, 3
	s_cbranch_scc0 .LBB35_2031
; %bb.2030:
	v_lshlrev_b32_e32 v4, 16, v3
	v_trunc_f32_e32 v4, v4
	s_mov_b32 s0, 0x2f800000
	v_mul_f32_e64 v5, |v4|, s0
	v_floor_f32_e32 v5, v5
	s_mov_b32 s0, 0xcf800000
	v_cvt_u32_f32_e32 v6, v5
	v_fma_f32 v5, v5, s0, |v4|
	v_cvt_u32_f32_e32 v5, v5
	v_ashrrev_i32_e32 v9, 31, v4
	v_xor_b32_e32 v6, v6, v9
	s_mov_b64 s[0:1], 0
	v_xor_b32_e32 v4, v5, v9
	v_sub_co_u32_e32 v4, vcc, v4, v9
	v_subb_co_u32_e32 v5, vcc, v6, v9, vcc
	global_store_dwordx2 v[1:2], v[4:5], off
.LBB35_2031:
	s_andn2_b64 vcc, exec, s[0:1]
	s_cbranch_vccnz .LBB35_2033
; %bb.2032:
	v_lshlrev_b32_e32 v4, 16, v3
	v_cvt_i32_f32_e32 v4, v4
	global_store_dword v[1:2], v4, off
.LBB35_2033:
	s_mov_b64 s[0:1], 0
.LBB35_2034:
	s_andn2_b64 vcc, exec, s[0:1]
	s_cbranch_vccnz .LBB35_2036
; %bb.2035:
	v_lshlrev_b32_e32 v4, 16, v3
	v_cvt_i32_f32_e32 v4, v4
	global_store_short v[1:2], v4, off
.LBB35_2036:
	s_mov_b64 s[0:1], 0
.LBB35_2037:
	s_andn2_b64 vcc, exec, s[0:1]
	s_cbranch_vccnz .LBB35_2042
; %bb.2038:
	s_cmp_gt_i32 s2, 0
	s_mov_b64 s[0:1], -1
	s_cbranch_scc0 .LBB35_2040
; %bb.2039:
	v_lshlrev_b32_e32 v4, 16, v3
	v_cvt_i32_f32_e32 v4, v4
	s_mov_b64 s[0:1], 0
	global_store_byte v[1:2], v4, off
.LBB35_2040:
	s_andn2_b64 vcc, exec, s[0:1]
	s_cbranch_vccnz .LBB35_2042
; %bb.2041:
	v_lshlrev_b32_e32 v3, 16, v3
	v_trunc_f32_e32 v3, v3
	s_mov_b32 s0, 0x2f800000
	v_mul_f32_e64 v4, |v3|, s0
	v_floor_f32_e32 v4, v4
	s_mov_b32 s0, 0xcf800000
	v_fma_f32 v4, v4, s0, |v3|
	v_cvt_u32_f32_e32 v4, v4
	v_ashrrev_i32_e32 v3, 31, v3
	v_xor_b32_e32 v4, v4, v3
	v_sub_u32_e32 v3, v4, v3
	global_store_byte v[1:2], v3, off
.LBB35_2042:
	s_mov_b64 s[4:5], -1
.LBB35_2043:
	s_andn2_b64 vcc, exec, s[4:5]
	s_cbranch_vccnz .LBB35_2120
; %bb.2044:
	v_mul_f32_e32 v1, v19, v19
	v_mov_b32_e32 v2, 0x3c0881c4
	v_fmac_f32_e32 v2, 0xb94c1982, v1
	v_mov_b32_e32 v3, 0xbe2aaa9d
	v_fmac_f32_e32 v3, v1, v2
	v_mul_f32_e32 v2, v1, v3
	v_fmac_f32_e32 v19, v19, v2
	v_mov_b32_e32 v2, 0xbab64f3b
	v_fmac_f32_e32 v2, 0x37d75334, v1
	v_mov_b32_e32 v3, 0x3d2aabf7
	;; [unrolled: 2-line block ×3, first 2 shown]
	v_fmac_f32_e32 v2, v1, v3
	v_fma_f32 v1, v1, v2, 1.0
	v_and_b32_e32 v2, 1, v18
	v_cmp_eq_u32_e32 vcc, 0, v2
	v_lshlrev_b32_e32 v2, 30, v18
	v_and_b32_e32 v2, 0x80000000, v2
	v_cndmask_b32_e32 v1, v1, v19, vcc
	v_xor_b32_e32 v2, v8, v2
	v_xor_b32_e32 v1, v2, v1
	s_movk_i32 s0, 0x1f8
	v_xor_b32_e32 v1, v1, v7
	v_mov_b32_e32 v2, 0x7fc00000
	v_cmp_class_f32_e64 vcc, v7, s0
	v_cndmask_b32_e32 v1, v2, v1, vcc
	v_bfe_u32 v2, v1, 16, 1
	s_movk_i32 s0, 0x7fff
	v_add3_u32 v2, v1, v2, s0
	v_cmp_o_f32_e32 vcc, v1, v1
	v_mov_b32_e32 v1, 0x7fc0
	v_cndmask_b32_sdwa v2, v1, v2, vcc dst_sel:DWORD dst_unused:UNUSED_PAD src0_sel:DWORD src1_sel:WORD_1
	v_mov_b32_e32 v1, s9
	v_add_co_u32_e32 v0, vcc, s8, v0
	s_cmp_lt_i32 s16, 11
	v_addc_co_u32_e32 v1, vcc, 0, v1, vcc
	s_cbranch_scc1 .LBB35_2165
; %bb.2045:
	s_and_b32 s14, 0xffff, s16
	s_mov_b64 s[4:5], -1
	s_mov_b64 s[2:3], 0
	s_cmp_gt_i32 s14, 25
	s_mov_b64 s[0:1], 0
	s_cbranch_scc0 .LBB35_2078
; %bb.2046:
	s_cmp_gt_i32 s14, 28
	s_cbranch_scc0 .LBB35_2062
; %bb.2047:
	s_cmp_gt_i32 s14, 43
	;; [unrolled: 3-line block ×3, first 2 shown]
	s_cbranch_scc0 .LBB35_2052
; %bb.2049:
	s_cmp_eq_u32 s14, 46
	s_mov_b64 s[0:1], -1
	s_cbranch_scc0 .LBB35_2051
; %bb.2050:
	v_and_b32_e32 v3, 0xffff, v2
	global_store_dword v[0:1], v3, off
	s_mov_b64 s[0:1], 0
.LBB35_2051:
	s_mov_b64 s[4:5], 0
.LBB35_2052:
	s_and_b64 vcc, exec, s[4:5]
	s_cbranch_vccz .LBB35_2057
; %bb.2053:
	s_cmp_eq_u32 s14, 44
	s_mov_b64 s[0:1], -1
	s_cbranch_scc0 .LBB35_2057
; %bb.2054:
	v_and_b32_e32 v4, 0xffff, v2
	v_bfe_u32 v3, v4, 7, 8
	s_movk_i32 s0, 0xff
	v_cmp_ne_u32_e32 vcc, s0, v3
	v_mov_b32_e32 v5, 0xff
	s_and_saveexec_b64 s[4:5], vcc
	s_cbranch_execz .LBB35_2056
; %bb.2055:
	v_lshlrev_b32_e32 v6, 16, v4
	s_mov_b32 s0, 0x3f0000
	v_lshrrev_b32_e32 v5, 7, v4
	v_and_b32_e32 v4, 64, v4
	v_and_or_b32 v3, v6, s0, v3
	v_cmp_ne_u32_e32 vcc, 0, v4
	v_cmp_ne_u32_e64 s[0:1], 0, v3
	s_and_b64 s[0:1], vcc, s[0:1]
	v_cndmask_b32_e64 v3, 0, 1, s[0:1]
	v_add_u32_e32 v5, v5, v3
.LBB35_2056:
	s_or_b64 exec, exec, s[4:5]
	s_mov_b64 s[0:1], 0
	global_store_byte v[0:1], v5, off
.LBB35_2057:
	s_mov_b64 s[4:5], 0
.LBB35_2058:
	s_and_b64 vcc, exec, s[4:5]
	s_cbranch_vccz .LBB35_2061
; %bb.2059:
	s_cmp_eq_u32 s14, 29
	s_mov_b64 s[0:1], -1
	s_cbranch_scc0 .LBB35_2061
; %bb.2060:
	v_lshlrev_b32_e32 v3, 16, v2
	v_trunc_f32_e32 v3, v3
	v_mul_f32_e32 v4, 0x2f800000, v3
	v_floor_f32_e32 v5, v4
	v_fmac_f32_e32 v3, 0xcf800000, v5
	v_cvt_u32_f32_e32 v4, v5
	v_cvt_u32_f32_e32 v3, v3
	s_mov_b64 s[0:1], 0
	global_store_dwordx2 v[0:1], v[3:4], off
.LBB35_2061:
	s_mov_b64 s[4:5], 0
.LBB35_2062:
	s_and_b64 vcc, exec, s[4:5]
	s_cbranch_vccz .LBB35_2077
; %bb.2063:
	s_cmp_lt_i32 s14, 27
	s_mov_b64 s[4:5], -1
	s_cbranch_scc1 .LBB35_2069
; %bb.2064:
	s_cmp_gt_i32 s14, 27
	s_cbranch_scc0 .LBB35_2066
; %bb.2065:
	v_lshlrev_b32_e32 v3, 16, v2
	v_cvt_u32_f32_e32 v3, v3
	s_mov_b64 s[4:5], 0
	global_store_dword v[0:1], v3, off
.LBB35_2066:
	s_andn2_b64 vcc, exec, s[4:5]
	s_cbranch_vccnz .LBB35_2068
; %bb.2067:
	v_lshlrev_b32_e32 v3, 16, v2
	v_cvt_u32_f32_e32 v3, v3
	global_store_short v[0:1], v3, off
.LBB35_2068:
	s_mov_b64 s[4:5], 0
.LBB35_2069:
	s_andn2_b64 vcc, exec, s[4:5]
	s_cbranch_vccnz .LBB35_2077
; %bb.2070:
	v_lshlrev_b32_e32 v5, 16, v2
	v_and_b32_e32 v4, 0x7fffffff, v5
	s_mov_b32 s4, 0x43800000
	v_cmp_gt_u32_e32 vcc, s4, v4
	v_mov_b32_e32 v6, 0x80
	s_and_saveexec_b64 s[4:5], vcc
	s_cbranch_execz .LBB35_2076
; %bb.2071:
	s_mov_b32 s8, 0x3bffffff
	v_and_b32_e32 v3, 0xffff, v2
	v_cmp_lt_u32_e32 vcc, s8, v4
	s_mov_b64 s[8:9], 0
                                        ; implicit-def: $vgpr4
	s_and_saveexec_b64 s[10:11], vcc
	s_xor_b64 s[10:11], exec, s[10:11]
	s_cbranch_execz .LBB35_2182
; %bb.2072:
	v_bfe_u32 v4, v3, 4, 1
	s_mov_b32 s15, 0x487ffff
	v_add3_u32 v4, v5, v4, s15
	s_mov_b64 s[8:9], exec
	v_lshrrev_b32_e32 v4, 20, v4
                                        ; implicit-def: $vgpr5
	s_andn2_saveexec_b64 s[10:11], s[10:11]
	s_cbranch_execnz .LBB35_2183
.LBB35_2073:
	s_or_b64 exec, exec, s[10:11]
	v_mov_b32_e32 v6, 0
	s_and_saveexec_b64 s[10:11], s[8:9]
.LBB35_2074:
	v_lshrrev_b32_e32 v3, 8, v3
	s_movk_i32 s8, 0x80
	v_and_or_b32 v6, v3, s8, v4
.LBB35_2075:
	s_or_b64 exec, exec, s[10:11]
.LBB35_2076:
	s_or_b64 exec, exec, s[4:5]
	global_store_byte v[0:1], v6, off
.LBB35_2077:
	s_mov_b64 s[4:5], 0
.LBB35_2078:
	s_and_b64 vcc, exec, s[4:5]
	s_cbranch_vccz .LBB35_2118
; %bb.2079:
	s_cmp_gt_i32 s14, 22
	s_mov_b64 s[2:3], -1
	s_cbranch_scc0 .LBB35_2111
; %bb.2080:
	s_cmp_lt_i32 s14, 24
	s_cbranch_scc1 .LBB35_2100
; %bb.2081:
	s_cmp_gt_i32 s14, 24
	s_cbranch_scc0 .LBB35_2089
; %bb.2082:
	v_lshlrev_b32_e32 v5, 16, v2
	v_and_b32_e32 v4, 0x7fffffff, v5
	s_mov_b32 s2, 0x47800000
	v_cmp_gt_u32_e32 vcc, s2, v4
	v_mov_b32_e32 v6, 0x80
	s_and_saveexec_b64 s[2:3], vcc
	s_cbranch_execz .LBB35_2088
; %bb.2083:
	s_mov_b32 s4, 0x37ffffff
	v_and_b32_e32 v3, 0xffff, v2
	v_cmp_lt_u32_e32 vcc, s4, v4
	s_mov_b64 s[4:5], 0
                                        ; implicit-def: $vgpr4
	s_and_saveexec_b64 s[8:9], vcc
	s_xor_b64 s[8:9], exec, s[8:9]
	s_cbranch_execz .LBB35_2185
; %bb.2084:
	v_bfe_u32 v4, v3, 5, 1
	s_mov_b32 s10, 0x88fffff
	v_add3_u32 v4, v5, v4, s10
	s_mov_b64 s[4:5], exec
	v_lshrrev_b32_e32 v4, 21, v4
                                        ; implicit-def: $vgpr5
	s_andn2_saveexec_b64 s[8:9], s[8:9]
	s_cbranch_execnz .LBB35_2186
.LBB35_2085:
	s_or_b64 exec, exec, s[8:9]
	v_mov_b32_e32 v6, 0
	s_and_saveexec_b64 s[8:9], s[4:5]
.LBB35_2086:
	v_lshrrev_b32_e32 v3, 8, v3
	s_movk_i32 s4, 0x80
	v_and_or_b32 v6, v3, s4, v4
.LBB35_2087:
	s_or_b64 exec, exec, s[8:9]
.LBB35_2088:
	s_or_b64 exec, exec, s[2:3]
	s_mov_b64 s[2:3], 0
	global_store_byte v[0:1], v6, off
.LBB35_2089:
	s_and_b64 vcc, exec, s[2:3]
	s_cbranch_vccz .LBB35_2099
; %bb.2090:
	v_lshlrev_b32_e32 v5, 16, v2
	v_and_b32_e32 v6, 0x7fffffff, v5
	s_mov_b32 s2, 0x43f00000
	v_and_b32_e32 v3, 0xffff, v2
	v_cmp_gt_u32_e32 vcc, s2, v6
                                        ; implicit-def: $vgpr4
	s_and_saveexec_b64 s[2:3], vcc
	s_xor_b64 s[2:3], exec, s[2:3]
	s_cbranch_execz .LBB35_2096
; %bb.2091:
	s_mov_b32 s4, 0x3c7fffff
	v_cmp_lt_u32_e32 vcc, s4, v6
                                        ; implicit-def: $vgpr4
	s_and_saveexec_b64 s[4:5], vcc
	s_xor_b64 s[4:5], exec, s[4:5]
; %bb.2092:
	v_bfe_u32 v4, v3, 4, 1
	s_mov_b32 s8, 0x407ffff
	v_add3_u32 v4, v5, v4, s8
	v_lshrrev_b32_e32 v5, 20, v4
	v_and_b32_e32 v4, 0xff00000, v4
	s_mov_b32 s8, 0x7f00000
	v_mov_b32_e32 v6, 0x7e
	v_cmp_ne_u32_e32 vcc, s8, v4
	v_cndmask_b32_e32 v4, v6, v5, vcc
                                        ; implicit-def: $vgpr5
; %bb.2093:
	s_andn2_saveexec_b64 s[4:5], s[4:5]
; %bb.2094:
	s_mov_b32 s8, 0x46800000
	v_add_f32_e64 v4, |v5|, s8
; %bb.2095:
	s_or_b64 exec, exec, s[4:5]
                                        ; implicit-def: $vgpr6
.LBB35_2096:
	s_andn2_saveexec_b64 s[2:3], s[2:3]
; %bb.2097:
	s_mov_b32 s4, 0x7f800000
	v_mov_b32_e32 v4, 0x7e
	v_mov_b32_e32 v5, 0x7f
	v_cmp_lt_u32_e32 vcc, s4, v6
	v_cndmask_b32_e32 v4, v4, v5, vcc
; %bb.2098:
	s_or_b64 exec, exec, s[2:3]
	v_lshrrev_b32_e32 v3, 8, v3
	s_movk_i32 s2, 0x80
	v_and_or_b32 v3, v3, s2, v4
	global_store_byte v[0:1], v3, off
.LBB35_2099:
	s_mov_b64 s[2:3], 0
.LBB35_2100:
	s_andn2_b64 vcc, exec, s[2:3]
	s_cbranch_vccnz .LBB35_2110
; %bb.2101:
	v_lshlrev_b32_e32 v5, 16, v2
	v_and_b32_e32 v6, 0x7fffffff, v5
	s_mov_b32 s2, 0x47800000
	v_and_b32_e32 v3, 0xffff, v2
	v_cmp_gt_u32_e32 vcc, s2, v6
                                        ; implicit-def: $vgpr4
	s_and_saveexec_b64 s[2:3], vcc
	s_xor_b64 s[2:3], exec, s[2:3]
	s_cbranch_execz .LBB35_2107
; %bb.2102:
	s_mov_b32 s4, 0x387fffff
	v_cmp_lt_u32_e32 vcc, s4, v6
                                        ; implicit-def: $vgpr4
	s_and_saveexec_b64 s[4:5], vcc
	s_xor_b64 s[4:5], exec, s[4:5]
; %bb.2103:
	v_bfe_u32 v4, v3, 5, 1
	s_mov_b32 s8, 0x80fffff
	v_add3_u32 v4, v5, v4, s8
	v_lshrrev_b32_e32 v4, 21, v4
                                        ; implicit-def: $vgpr5
; %bb.2104:
	s_andn2_saveexec_b64 s[4:5], s[4:5]
; %bb.2105:
	s_mov_b32 s8, 0x43000000
	v_add_f32_e64 v4, |v5|, s8
; %bb.2106:
	s_or_b64 exec, exec, s[4:5]
                                        ; implicit-def: $vgpr6
.LBB35_2107:
	s_andn2_saveexec_b64 s[2:3], s[2:3]
; %bb.2108:
	s_mov_b32 s4, 0x7f800000
	v_mov_b32_e32 v4, 0x7c
	v_mov_b32_e32 v5, 0x7f
	v_cmp_lt_u32_e32 vcc, s4, v6
	v_cndmask_b32_e32 v4, v4, v5, vcc
; %bb.2109:
	s_or_b64 exec, exec, s[2:3]
	v_lshrrev_b32_e32 v3, 8, v3
	s_movk_i32 s2, 0x80
	v_and_or_b32 v3, v3, s2, v4
	global_store_byte v[0:1], v3, off
.LBB35_2110:
	s_mov_b64 s[2:3], 0
.LBB35_2111:
	s_andn2_b64 vcc, exec, s[2:3]
	s_mov_b64 s[2:3], 0
	s_cbranch_vccnz .LBB35_2118
; %bb.2112:
	s_cmp_gt_i32 s14, 14
	s_mov_b64 s[4:5], -1
	s_cbranch_scc0 .LBB35_2116
; %bb.2113:
	s_cmp_eq_u32 s14, 15
	s_mov_b64 s[0:1], -1
	s_cbranch_scc0 .LBB35_2115
; %bb.2114:
	global_store_short v[0:1], v2, off
	s_mov_b64 s[0:1], 0
.LBB35_2115:
	s_mov_b64 s[4:5], 0
.LBB35_2116:
	s_and_b64 vcc, exec, s[4:5]
	s_cbranch_vccz .LBB35_2118
; %bb.2117:
	s_cmp_lg_u32 s14, 11
	s_mov_b64 s[2:3], -1
	s_cselect_b64 s[0:1], -1, 0
.LBB35_2118:
	s_and_b64 vcc, exec, s[0:1]
	s_cbranch_vccnz .LBB35_2184
.LBB35_2119:
	s_mov_b64 s[0:1], 0
	s_branch .LBB35_2121
.LBB35_2120:
	s_mov_b64 s[0:1], 0
	s_mov_b64 s[2:3], 0
                                        ; implicit-def: $vgpr0_vgpr1
                                        ; implicit-def: $sgpr16
                                        ; implicit-def: $vgpr2
.LBB35_2121:
	s_and_b64 s[40:41], s[2:3], exec
	s_andn2_b64 s[2:3], s[6:7], exec
	s_and_b64 s[4:5], s[12:13], exec
	s_and_b64 s[0:1], s[0:1], exec
	s_or_b64 s[6:7], s[2:3], s[4:5]
.LBB35_2122:
	s_or_b64 exec, exec, s[28:29]
	s_and_saveexec_b64 s[2:3], s[6:7]
	s_cbranch_execz .LBB35_2125
; %bb.2123:
	; divergent unreachable
	s_or_b64 exec, exec, s[2:3]
	s_and_saveexec_b64 s[2:3], s[40:41]
	s_xor_b64 s[2:3], exec, s[2:3]
	s_cbranch_execnz .LBB35_2126
.LBB35_2124:
	s_or_b64 exec, exec, s[2:3]
	s_and_saveexec_b64 s[2:3], s[0:1]
	s_cbranch_execnz .LBB35_2127
	s_branch .LBB35_2164
.LBB35_2125:
	s_or_b64 exec, exec, s[2:3]
	s_and_saveexec_b64 s[2:3], s[40:41]
	s_xor_b64 s[2:3], exec, s[2:3]
	s_cbranch_execz .LBB35_2124
.LBB35_2126:
	s_waitcnt vmcnt(0)
	v_and_b32_e32 v3, 0x7fff, v2
	v_cmp_ne_u16_e32 vcc, 0, v3
	v_cndmask_b32_e64 v3, 0, 1, vcc
	global_store_byte v[0:1], v3, off
	s_or_b64 exec, exec, s[2:3]
	s_and_saveexec_b64 s[2:3], s[0:1]
	s_cbranch_execz .LBB35_2164
.LBB35_2127:
	s_sext_i32_i16 s2, s16
	s_cmp_lt_i32 s2, 5
	s_mov_b64 s[0:1], -1
	s_cbranch_scc1 .LBB35_2148
; %bb.2128:
	s_cmp_lt_i32 s2, 8
	s_cbranch_scc1 .LBB35_2138
; %bb.2129:
	s_cmp_lt_i32 s2, 9
	s_cbranch_scc1 .LBB35_2135
; %bb.2130:
	s_cmp_gt_i32 s2, 9
	s_cbranch_scc0 .LBB35_2132
; %bb.2131:
	s_waitcnt vmcnt(0)
	v_lshlrev_b32_e32 v3, 16, v2
	v_cvt_f64_f32_e32 v[3:4], v3
	v_mov_b32_e32 v5, 0
	v_mov_b32_e32 v6, v5
	s_mov_b64 s[0:1], 0
	global_store_dwordx4 v[0:1], v[3:6], off
.LBB35_2132:
	s_andn2_b64 vcc, exec, s[0:1]
	s_cbranch_vccnz .LBB35_2134
; %bb.2133:
	s_waitcnt vmcnt(0)
	v_lshlrev_b32_e32 v3, 16, v2
	v_mov_b32_e32 v4, 0
	global_store_dwordx2 v[0:1], v[3:4], off
.LBB35_2134:
	s_mov_b64 s[0:1], 0
.LBB35_2135:
	s_andn2_b64 vcc, exec, s[0:1]
	s_cbranch_vccnz .LBB35_2137
; %bb.2136:
	s_waitcnt vmcnt(0)
	v_lshlrev_b32_e32 v3, 16, v2
	v_cvt_f16_f32_e32 v3, v3
	global_store_dword v[0:1], v3, off
.LBB35_2137:
	s_mov_b64 s[0:1], 0
.LBB35_2138:
	s_andn2_b64 vcc, exec, s[0:1]
	s_cbranch_vccnz .LBB35_2147
; %bb.2139:
	s_sext_i32_i16 s2, s16
	s_cmp_lt_i32 s2, 6
	s_mov_b64 s[0:1], -1
	s_cbranch_scc1 .LBB35_2145
; %bb.2140:
	s_cmp_gt_i32 s2, 6
	s_cbranch_scc0 .LBB35_2142
; %bb.2141:
	s_waitcnt vmcnt(0)
	v_lshlrev_b32_e32 v3, 16, v2
	v_cvt_f64_f32_e32 v[3:4], v3
	s_mov_b64 s[0:1], 0
	global_store_dwordx2 v[0:1], v[3:4], off
.LBB35_2142:
	s_andn2_b64 vcc, exec, s[0:1]
	s_cbranch_vccnz .LBB35_2144
; %bb.2143:
	s_waitcnt vmcnt(0)
	v_lshlrev_b32_e32 v3, 16, v2
	global_store_dword v[0:1], v3, off
.LBB35_2144:
	s_mov_b64 s[0:1], 0
.LBB35_2145:
	s_andn2_b64 vcc, exec, s[0:1]
	s_cbranch_vccnz .LBB35_2147
; %bb.2146:
	s_waitcnt vmcnt(0)
	v_lshlrev_b32_e32 v3, 16, v2
	v_cvt_f16_f32_e32 v3, v3
	global_store_short v[0:1], v3, off
.LBB35_2147:
	s_mov_b64 s[0:1], 0
.LBB35_2148:
	s_andn2_b64 vcc, exec, s[0:1]
	s_cbranch_vccnz .LBB35_2164
; %bb.2149:
	s_sext_i32_i16 s2, s16
	s_cmp_lt_i32 s2, 2
	s_mov_b64 s[0:1], -1
	s_cbranch_scc1 .LBB35_2159
; %bb.2150:
	s_cmp_lt_i32 s2, 3
	s_cbranch_scc1 .LBB35_2156
; %bb.2151:
	s_cmp_gt_i32 s2, 3
	s_cbranch_scc0 .LBB35_2153
; %bb.2152:
	s_waitcnt vmcnt(0)
	v_lshlrev_b32_e32 v3, 16, v2
	v_trunc_f32_e32 v3, v3
	s_mov_b32 s0, 0x2f800000
	v_mul_f32_e64 v4, |v3|, s0
	v_floor_f32_e32 v4, v4
	s_mov_b32 s0, 0xcf800000
	v_cvt_u32_f32_e32 v5, v4
	v_fma_f32 v4, v4, s0, |v3|
	v_cvt_u32_f32_e32 v4, v4
	v_ashrrev_i32_e32 v6, 31, v3
	v_xor_b32_e32 v5, v5, v6
	s_mov_b64 s[0:1], 0
	v_xor_b32_e32 v3, v4, v6
	v_sub_co_u32_e32 v3, vcc, v3, v6
	v_subb_co_u32_e32 v4, vcc, v5, v6, vcc
	global_store_dwordx2 v[0:1], v[3:4], off
.LBB35_2153:
	s_andn2_b64 vcc, exec, s[0:1]
	s_cbranch_vccnz .LBB35_2155
; %bb.2154:
	s_waitcnt vmcnt(0)
	v_lshlrev_b32_e32 v3, 16, v2
	v_cvt_i32_f32_e32 v3, v3
	global_store_dword v[0:1], v3, off
.LBB35_2155:
	s_mov_b64 s[0:1], 0
.LBB35_2156:
	s_andn2_b64 vcc, exec, s[0:1]
	s_cbranch_vccnz .LBB35_2158
; %bb.2157:
	s_waitcnt vmcnt(0)
	v_lshlrev_b32_e32 v3, 16, v2
	v_cvt_i32_f32_e32 v3, v3
	global_store_short v[0:1], v3, off
.LBB35_2158:
	s_mov_b64 s[0:1], 0
.LBB35_2159:
	s_andn2_b64 vcc, exec, s[0:1]
	s_cbranch_vccnz .LBB35_2164
; %bb.2160:
	s_sext_i32_i16 s0, s16
	s_cmp_gt_i32 s0, 0
	s_mov_b64 s[0:1], -1
	s_cbranch_scc0 .LBB35_2162
; %bb.2161:
	s_waitcnt vmcnt(0)
	v_lshlrev_b32_e32 v3, 16, v2
	v_cvt_i32_f32_e32 v3, v3
	s_mov_b64 s[0:1], 0
	global_store_byte v[0:1], v3, off
.LBB35_2162:
	s_andn2_b64 vcc, exec, s[0:1]
	s_cbranch_vccnz .LBB35_2164
; %bb.2163:
	v_lshlrev_b32_e32 v2, 16, v2
	v_trunc_f32_e32 v2, v2
	s_mov_b32 s0, 0x2f800000
	s_waitcnt vmcnt(0)
	v_mul_f32_e64 v3, |v2|, s0
	v_floor_f32_e32 v3, v3
	s_mov_b32 s0, 0xcf800000
	v_fma_f32 v3, v3, s0, |v2|
	v_cvt_u32_f32_e32 v3, v3
	v_ashrrev_i32_e32 v2, 31, v2
	v_xor_b32_e32 v3, v3, v2
	v_sub_u32_e32 v2, v3, v2
	global_store_byte v[0:1], v2, off
	s_endpgm
.LBB35_2164:
	s_endpgm
.LBB35_2165:
	s_mov_b64 s[2:3], 0
	s_mov_b64 s[0:1], -1
	s_branch .LBB35_2121
.LBB35_2166:
	s_trap 2
	s_or_b64 s[12:13], s[12:13], exec
	s_cbranch_execz .LBB35_1631
	s_branch .LBB35_1632
.LBB35_2167:
	s_andn2_saveexec_b64 s[14:15], s[14:15]
	s_cbranch_execz .LBB35_1715
.LBB35_2168:
	s_mov_b32 s19, 0x46000000
	v_add_f32_e64 v12, |v20|, s19
	v_and_b32_e32 v12, 0xff, v12
	v_cmp_ne_u32_e32 vcc, 0, v12
	s_andn2_b64 s[10:11], s[10:11], exec
	s_and_b64 s[20:21], vcc, exec
	s_or_b64 s[10:11], s[10:11], s[20:21]
	s_or_b64 exec, exec, s[14:15]
	v_mov_b32_e32 v21, 0
	s_and_saveexec_b64 s[14:15], s[10:11]
	s_cbranch_execnz .LBB35_1716
	s_branch .LBB35_1717
.LBB35_2169:
	s_trap 2
	s_or_b64 s[12:13], s[12:13], exec
	s_cbranch_execz .LBB35_1763
	s_branch .LBB35_1764
.LBB35_2170:
	s_andn2_saveexec_b64 s[10:11], s[10:11]
	s_cbranch_execz .LBB35_1728
.LBB35_2171:
	s_mov_b32 s14, 0x42800000
	v_add_f32_e64 v12, |v20|, s14
	v_and_b32_e32 v12, 0xff, v12
	v_cmp_ne_u32_e32 vcc, 0, v12
	s_andn2_b64 s[4:5], s[4:5], exec
	s_and_b64 s[14:15], vcc, exec
	s_or_b64 s[4:5], s[4:5], s[14:15]
	s_or_b64 exec, exec, s[10:11]
	v_mov_b32_e32 v21, 0
	s_and_saveexec_b64 s[10:11], s[4:5]
	s_cbranch_execnz .LBB35_1729
	s_branch .LBB35_1730
.LBB35_2172:
	s_andn2_saveexec_b64 s[14:15], s[14:15]
	s_cbranch_execz .LBB35_1834
.LBB35_2173:
	s_mov_b32 s18, 0x46000000
	v_add_f32_e64 v6, |v10|, s18
	v_and_b32_e32 v6, 0xff, v6
	v_cmp_ne_u32_e32 vcc, 0, v6
	s_andn2_b64 s[10:11], s[10:11], exec
	s_and_b64 s[18:19], vcc, exec
	s_or_b64 s[10:11], s[10:11], s[18:19]
	s_or_b64 exec, exec, s[14:15]
	v_mov_b32_e32 v11, 0
	s_and_saveexec_b64 s[14:15], s[10:11]
	s_cbranch_execnz .LBB35_1835
	s_branch .LBB35_1836
.LBB35_2174:
	s_trap 2
	s_or_b64 s[12:13], s[12:13], exec
	s_cbranch_execz .LBB35_1882
	s_branch .LBB35_1883
.LBB35_2175:
	s_andn2_saveexec_b64 s[10:11], s[10:11]
	s_cbranch_execz .LBB35_1847
.LBB35_2176:
	s_mov_b32 s14, 0x42800000
	v_add_f32_e64 v6, |v10|, s14
	v_and_b32_e32 v6, 0xff, v6
	v_cmp_ne_u32_e32 vcc, 0, v6
	s_andn2_b64 s[4:5], s[4:5], exec
	s_and_b64 s[14:15], vcc, exec
	s_or_b64 s[4:5], s[4:5], s[14:15]
	s_or_b64 exec, exec, s[10:11]
	v_mov_b32_e32 v11, 0
	s_and_saveexec_b64 s[10:11], s[4:5]
	s_cbranch_execnz .LBB35_1848
	s_branch .LBB35_1849
.LBB35_2177:
	s_andn2_saveexec_b64 s[14:15], s[14:15]
	s_cbranch_execz .LBB35_1953
.LBB35_2178:
	s_mov_b32 s18, 0x46000000
	v_add_f32_e64 v5, |v6|, s18
	v_and_b32_e32 v5, 0xff, v5
	v_cmp_ne_u32_e32 vcc, 0, v5
	s_andn2_b64 s[10:11], s[10:11], exec
	s_and_b64 s[18:19], vcc, exec
	s_or_b64 s[10:11], s[10:11], s[18:19]
	s_or_b64 exec, exec, s[14:15]
	v_mov_b32_e32 v9, 0
	s_and_saveexec_b64 s[14:15], s[10:11]
	s_cbranch_execnz .LBB35_1954
	s_branch .LBB35_1955
.LBB35_2179:
	s_trap 2
	s_or_b64 s[12:13], s[12:13], exec
	s_cbranch_execz .LBB35_2001
	s_branch .LBB35_2002
.LBB35_2180:
	s_andn2_saveexec_b64 s[10:11], s[10:11]
	s_cbranch_execz .LBB35_1966
.LBB35_2181:
	s_mov_b32 s14, 0x42800000
	v_add_f32_e64 v5, |v6|, s14
	v_and_b32_e32 v5, 0xff, v5
	v_cmp_ne_u32_e32 vcc, 0, v5
	s_andn2_b64 s[4:5], s[4:5], exec
	s_and_b64 s[14:15], vcc, exec
	s_or_b64 s[4:5], s[4:5], s[14:15]
	s_or_b64 exec, exec, s[10:11]
	v_mov_b32_e32 v9, 0
	s_and_saveexec_b64 s[10:11], s[4:5]
	s_cbranch_execnz .LBB35_1967
	s_branch .LBB35_1968
.LBB35_2182:
	s_andn2_saveexec_b64 s[10:11], s[10:11]
	s_cbranch_execz .LBB35_2073
.LBB35_2183:
	s_mov_b32 s15, 0x46000000
	v_add_f32_e64 v4, |v5|, s15
	v_and_b32_e32 v4, 0xff, v4
	v_cmp_ne_u32_e32 vcc, 0, v4
	s_andn2_b64 s[8:9], s[8:9], exec
	s_and_b64 s[18:19], vcc, exec
	s_or_b64 s[8:9], s[8:9], s[18:19]
	s_or_b64 exec, exec, s[10:11]
	v_mov_b32_e32 v6, 0
	s_and_saveexec_b64 s[10:11], s[8:9]
	s_cbranch_execnz .LBB35_2074
	s_branch .LBB35_2075
.LBB35_2184:
	s_mov_b64 s[2:3], 0
	s_or_b64 s[12:13], s[12:13], exec
	s_trap 2
	s_branch .LBB35_2119
.LBB35_2185:
	s_andn2_saveexec_b64 s[8:9], s[8:9]
	s_cbranch_execz .LBB35_2085
.LBB35_2186:
	s_mov_b32 s10, 0x42800000
	v_add_f32_e64 v4, |v5|, s10
	v_and_b32_e32 v4, 0xff, v4
	v_cmp_ne_u32_e32 vcc, 0, v4
	s_andn2_b64 s[4:5], s[4:5], exec
	s_and_b64 s[10:11], vcc, exec
	s_or_b64 s[4:5], s[4:5], s[10:11]
	s_or_b64 exec, exec, s[8:9]
	v_mov_b32_e32 v6, 0
	s_and_saveexec_b64 s[8:9], s[4:5]
	s_cbranch_execnz .LBB35_2086
	s_branch .LBB35_2087
	.section	.rodata,"a",@progbits
	.p2align	6, 0x0
	.amdhsa_kernel _ZN2at6native32elementwise_kernel_manual_unrollILi128ELi4EZNS0_15gpu_kernel_implIZZZNS0_15sin_kernel_cudaERNS_18TensorIteratorBaseEENKUlvE0_clEvENKUlvE2_clEvEUlN3c108BFloat16EE_EEvS4_RKT_EUlibE0_EEviT1_
		.amdhsa_group_segment_fixed_size 0
		.amdhsa_private_segment_fixed_size 0
		.amdhsa_kernarg_size 360
		.amdhsa_user_sgpr_count 6
		.amdhsa_user_sgpr_private_segment_buffer 1
		.amdhsa_user_sgpr_dispatch_ptr 0
		.amdhsa_user_sgpr_queue_ptr 0
		.amdhsa_user_sgpr_kernarg_segment_ptr 1
		.amdhsa_user_sgpr_dispatch_id 0
		.amdhsa_user_sgpr_flat_scratch_init 0
		.amdhsa_user_sgpr_private_segment_size 0
		.amdhsa_uses_dynamic_stack 0
		.amdhsa_system_sgpr_private_segment_wavefront_offset 0
		.amdhsa_system_sgpr_workgroup_id_x 1
		.amdhsa_system_sgpr_workgroup_id_y 0
		.amdhsa_system_sgpr_workgroup_id_z 0
		.amdhsa_system_sgpr_workgroup_info 0
		.amdhsa_system_vgpr_workitem_id 0
		.amdhsa_next_free_vgpr 30
		.amdhsa_next_free_sgpr 78
		.amdhsa_reserve_vcc 1
		.amdhsa_reserve_flat_scratch 0
		.amdhsa_float_round_mode_32 0
		.amdhsa_float_round_mode_16_64 0
		.amdhsa_float_denorm_mode_32 3
		.amdhsa_float_denorm_mode_16_64 3
		.amdhsa_dx10_clamp 1
		.amdhsa_ieee_mode 1
		.amdhsa_fp16_overflow 0
		.amdhsa_exception_fp_ieee_invalid_op 0
		.amdhsa_exception_fp_denorm_src 0
		.amdhsa_exception_fp_ieee_div_zero 0
		.amdhsa_exception_fp_ieee_overflow 0
		.amdhsa_exception_fp_ieee_underflow 0
		.amdhsa_exception_fp_ieee_inexact 0
		.amdhsa_exception_int_div_zero 0
	.end_amdhsa_kernel
	.section	.text._ZN2at6native32elementwise_kernel_manual_unrollILi128ELi4EZNS0_15gpu_kernel_implIZZZNS0_15sin_kernel_cudaERNS_18TensorIteratorBaseEENKUlvE0_clEvENKUlvE2_clEvEUlN3c108BFloat16EE_EEvS4_RKT_EUlibE0_EEviT1_,"axG",@progbits,_ZN2at6native32elementwise_kernel_manual_unrollILi128ELi4EZNS0_15gpu_kernel_implIZZZNS0_15sin_kernel_cudaERNS_18TensorIteratorBaseEENKUlvE0_clEvENKUlvE2_clEvEUlN3c108BFloat16EE_EEvS4_RKT_EUlibE0_EEviT1_,comdat
.Lfunc_end35:
	.size	_ZN2at6native32elementwise_kernel_manual_unrollILi128ELi4EZNS0_15gpu_kernel_implIZZZNS0_15sin_kernel_cudaERNS_18TensorIteratorBaseEENKUlvE0_clEvENKUlvE2_clEvEUlN3c108BFloat16EE_EEvS4_RKT_EUlibE0_EEviT1_, .Lfunc_end35-_ZN2at6native32elementwise_kernel_manual_unrollILi128ELi4EZNS0_15gpu_kernel_implIZZZNS0_15sin_kernel_cudaERNS_18TensorIteratorBaseEENKUlvE0_clEvENKUlvE2_clEvEUlN3c108BFloat16EE_EEvS4_RKT_EUlibE0_EEviT1_
                                        ; -- End function
	.set _ZN2at6native32elementwise_kernel_manual_unrollILi128ELi4EZNS0_15gpu_kernel_implIZZZNS0_15sin_kernel_cudaERNS_18TensorIteratorBaseEENKUlvE0_clEvENKUlvE2_clEvEUlN3c108BFloat16EE_EEvS4_RKT_EUlibE0_EEviT1_.num_vgpr, 30
	.set _ZN2at6native32elementwise_kernel_manual_unrollILi128ELi4EZNS0_15gpu_kernel_implIZZZNS0_15sin_kernel_cudaERNS_18TensorIteratorBaseEENKUlvE0_clEvENKUlvE2_clEvEUlN3c108BFloat16EE_EEvS4_RKT_EUlibE0_EEviT1_.num_agpr, 0
	.set _ZN2at6native32elementwise_kernel_manual_unrollILi128ELi4EZNS0_15gpu_kernel_implIZZZNS0_15sin_kernel_cudaERNS_18TensorIteratorBaseEENKUlvE0_clEvENKUlvE2_clEvEUlN3c108BFloat16EE_EEvS4_RKT_EUlibE0_EEviT1_.numbered_sgpr, 78
	.set _ZN2at6native32elementwise_kernel_manual_unrollILi128ELi4EZNS0_15gpu_kernel_implIZZZNS0_15sin_kernel_cudaERNS_18TensorIteratorBaseEENKUlvE0_clEvENKUlvE2_clEvEUlN3c108BFloat16EE_EEvS4_RKT_EUlibE0_EEviT1_.num_named_barrier, 0
	.set _ZN2at6native32elementwise_kernel_manual_unrollILi128ELi4EZNS0_15gpu_kernel_implIZZZNS0_15sin_kernel_cudaERNS_18TensorIteratorBaseEENKUlvE0_clEvENKUlvE2_clEvEUlN3c108BFloat16EE_EEvS4_RKT_EUlibE0_EEviT1_.private_seg_size, 0
	.set _ZN2at6native32elementwise_kernel_manual_unrollILi128ELi4EZNS0_15gpu_kernel_implIZZZNS0_15sin_kernel_cudaERNS_18TensorIteratorBaseEENKUlvE0_clEvENKUlvE2_clEvEUlN3c108BFloat16EE_EEvS4_RKT_EUlibE0_EEviT1_.uses_vcc, 1
	.set _ZN2at6native32elementwise_kernel_manual_unrollILi128ELi4EZNS0_15gpu_kernel_implIZZZNS0_15sin_kernel_cudaERNS_18TensorIteratorBaseEENKUlvE0_clEvENKUlvE2_clEvEUlN3c108BFloat16EE_EEvS4_RKT_EUlibE0_EEviT1_.uses_flat_scratch, 0
	.set _ZN2at6native32elementwise_kernel_manual_unrollILi128ELi4EZNS0_15gpu_kernel_implIZZZNS0_15sin_kernel_cudaERNS_18TensorIteratorBaseEENKUlvE0_clEvENKUlvE2_clEvEUlN3c108BFloat16EE_EEvS4_RKT_EUlibE0_EEviT1_.has_dyn_sized_stack, 0
	.set _ZN2at6native32elementwise_kernel_manual_unrollILi128ELi4EZNS0_15gpu_kernel_implIZZZNS0_15sin_kernel_cudaERNS_18TensorIteratorBaseEENKUlvE0_clEvENKUlvE2_clEvEUlN3c108BFloat16EE_EEvS4_RKT_EUlibE0_EEviT1_.has_recursion, 0
	.set _ZN2at6native32elementwise_kernel_manual_unrollILi128ELi4EZNS0_15gpu_kernel_implIZZZNS0_15sin_kernel_cudaERNS_18TensorIteratorBaseEENKUlvE0_clEvENKUlvE2_clEvEUlN3c108BFloat16EE_EEvS4_RKT_EUlibE0_EEviT1_.has_indirect_call, 0
	.section	.AMDGPU.csdata,"",@progbits
; Kernel info:
; codeLenInByte = 49996
; TotalNumSgprs: 82
; NumVgprs: 30
; ScratchSize: 0
; MemoryBound: 0
; FloatMode: 240
; IeeeMode: 1
; LDSByteSize: 0 bytes/workgroup (compile time only)
; SGPRBlocks: 10
; VGPRBlocks: 7
; NumSGPRsForWavesPerEU: 82
; NumVGPRsForWavesPerEU: 30
; Occupancy: 8
; WaveLimiterHint : 1
; COMPUTE_PGM_RSRC2:SCRATCH_EN: 0
; COMPUTE_PGM_RSRC2:USER_SGPR: 6
; COMPUTE_PGM_RSRC2:TRAP_HANDLER: 0
; COMPUTE_PGM_RSRC2:TGID_X_EN: 1
; COMPUTE_PGM_RSRC2:TGID_Y_EN: 0
; COMPUTE_PGM_RSRC2:TGID_Z_EN: 0
; COMPUTE_PGM_RSRC2:TIDIG_COMP_CNT: 0
	.section	.AMDGPU.gpr_maximums,"",@progbits
	.set amdgpu.max_num_vgpr, 54
	.set amdgpu.max_num_agpr, 0
	.set amdgpu.max_num_sgpr, 32
	.section	.AMDGPU.csdata,"",@progbits
	.type	__hip_cuid_f581bfb3d4f80d8b,@object ; @__hip_cuid_f581bfb3d4f80d8b
	.section	.bss,"aw",@nobits
	.globl	__hip_cuid_f581bfb3d4f80d8b
__hip_cuid_f581bfb3d4f80d8b:
	.byte	0                               ; 0x0
	.size	__hip_cuid_f581bfb3d4f80d8b, 1

	.ident	"AMD clang version 22.0.0git (https://github.com/RadeonOpenCompute/llvm-project roc-7.2.4 26084 f58b06dce1f9c15707c5f808fd002e18c2accf7e)"
	.section	".note.GNU-stack","",@progbits
	.addrsig
	.addrsig_sym __hip_cuid_f581bfb3d4f80d8b
	.amdgpu_metadata
---
amdhsa.kernels:
  - .args:
      - .offset:         0
        .size:           4
        .value_kind:     by_value
      - .offset:         4
        .size:           1
        .value_kind:     by_value
      - .offset:         8
        .size:           16
        .value_kind:     by_value
    .group_segment_fixed_size: 0
    .kernarg_segment_align: 8
    .kernarg_segment_size: 24
    .language:       OpenCL C
    .language_version:
      - 2
      - 0
    .max_flat_workgroup_size: 256
    .name:           _ZN2at6native29vectorized_elementwise_kernelILi16EZZZNS0_15sin_kernel_cudaERNS_18TensorIteratorBaseEENKUlvE0_clEvENKUlvE_clEvEUldE_St5arrayIPcLm2EEEEviT0_T1_
    .private_segment_fixed_size: 0
    .sgpr_count:     33
    .sgpr_spill_count: 0
    .symbol:         _ZN2at6native29vectorized_elementwise_kernelILi16EZZZNS0_15sin_kernel_cudaERNS_18TensorIteratorBaseEENKUlvE0_clEvENKUlvE_clEvEUldE_St5arrayIPcLm2EEEEviT0_T1_.kd
    .uniform_work_group_size: 1
    .uses_dynamic_stack: false
    .vgpr_count:     57
    .vgpr_spill_count: 0
    .wavefront_size: 64
  - .args:
      - .offset:         0
        .size:           4
        .value_kind:     by_value
      - .offset:         4
        .size:           1
        .value_kind:     by_value
      - .offset:         8
        .size:           16
        .value_kind:     by_value
    .group_segment_fixed_size: 0
    .kernarg_segment_align: 8
    .kernarg_segment_size: 24
    .language:       OpenCL C
    .language_version:
      - 2
      - 0
    .max_flat_workgroup_size: 256
    .name:           _ZN2at6native29vectorized_elementwise_kernelILi8EZZZNS0_15sin_kernel_cudaERNS_18TensorIteratorBaseEENKUlvE0_clEvENKUlvE_clEvEUldE_St5arrayIPcLm2EEEEviT0_T1_
    .private_segment_fixed_size: 0
    .sgpr_count:     33
    .sgpr_spill_count: 0
    .symbol:         _ZN2at6native29vectorized_elementwise_kernelILi8EZZZNS0_15sin_kernel_cudaERNS_18TensorIteratorBaseEENKUlvE0_clEvENKUlvE_clEvEUldE_St5arrayIPcLm2EEEEviT0_T1_.kd
    .uniform_work_group_size: 1
    .uses_dynamic_stack: false
    .vgpr_count:     57
    .vgpr_spill_count: 0
    .wavefront_size: 64
  - .args:
      - .offset:         0
        .size:           4
        .value_kind:     by_value
      - .offset:         4
        .size:           1
        .value_kind:     by_value
      - .offset:         8
        .size:           16
        .value_kind:     by_value
    .group_segment_fixed_size: 0
    .kernarg_segment_align: 8
    .kernarg_segment_size: 24
    .language:       OpenCL C
    .language_version:
      - 2
      - 0
    .max_flat_workgroup_size: 256
    .name:           _ZN2at6native29vectorized_elementwise_kernelILi4EZZZNS0_15sin_kernel_cudaERNS_18TensorIteratorBaseEENKUlvE0_clEvENKUlvE_clEvEUldE_St5arrayIPcLm2EEEEviT0_T1_
    .private_segment_fixed_size: 0
    .sgpr_count:     33
    .sgpr_spill_count: 0
    .symbol:         _ZN2at6native29vectorized_elementwise_kernelILi4EZZZNS0_15sin_kernel_cudaERNS_18TensorIteratorBaseEENKUlvE0_clEvENKUlvE_clEvEUldE_St5arrayIPcLm2EEEEviT0_T1_.kd
    .uniform_work_group_size: 1
    .uses_dynamic_stack: false
    .vgpr_count:     57
    .vgpr_spill_count: 0
    .wavefront_size: 64
  - .args:
      - .offset:         0
        .size:           4
        .value_kind:     by_value
      - .offset:         4
        .size:           1
        .value_kind:     by_value
      - .offset:         8
        .size:           16
        .value_kind:     by_value
    .group_segment_fixed_size: 0
    .kernarg_segment_align: 8
    .kernarg_segment_size: 24
    .language:       OpenCL C
    .language_version:
      - 2
      - 0
    .max_flat_workgroup_size: 256
    .name:           _ZN2at6native29vectorized_elementwise_kernelILi2EZZZNS0_15sin_kernel_cudaERNS_18TensorIteratorBaseEENKUlvE0_clEvENKUlvE_clEvEUldE_St5arrayIPcLm2EEEEviT0_T1_
    .private_segment_fixed_size: 0
    .sgpr_count:     33
    .sgpr_spill_count: 0
    .symbol:         _ZN2at6native29vectorized_elementwise_kernelILi2EZZZNS0_15sin_kernel_cudaERNS_18TensorIteratorBaseEENKUlvE0_clEvENKUlvE_clEvEUldE_St5arrayIPcLm2EEEEviT0_T1_.kd
    .uniform_work_group_size: 1
    .uses_dynamic_stack: false
    .vgpr_count:     57
    .vgpr_spill_count: 0
    .wavefront_size: 64
  - .args:
      - .offset:         0
        .size:           4
        .value_kind:     by_value
      - .offset:         4
        .size:           1
        .value_kind:     by_value
      - .offset:         8
        .size:           16
        .value_kind:     by_value
      - .offset:         24
        .size:           1
        .value_kind:     by_value
      - .offset:         25
        .size:           1
        .value_kind:     by_value
      - .offset:         26
        .size:           1
        .value_kind:     by_value
      - .offset:         27
        .size:           1
        .value_kind:     by_value
    .group_segment_fixed_size: 0
    .kernarg_segment_align: 8
    .kernarg_segment_size: 28
    .language:       OpenCL C
    .language_version:
      - 2
      - 0
    .max_flat_workgroup_size: 256
    .name:           _ZN2at6native27unrolled_elementwise_kernelIZZZNS0_15sin_kernel_cudaERNS_18TensorIteratorBaseEENKUlvE0_clEvENKUlvE_clEvEUldE_St5arrayIPcLm2EELi4E23TrivialOffsetCalculatorILi1EjESB_NS0_6memory15LoadWithoutCastENSC_16StoreWithoutCastEEEviT_T0_T2_T3_T4_T5_
    .private_segment_fixed_size: 0
    .sgpr_count:     18
    .sgpr_spill_count: 0
    .symbol:         _ZN2at6native27unrolled_elementwise_kernelIZZZNS0_15sin_kernel_cudaERNS_18TensorIteratorBaseEENKUlvE0_clEvENKUlvE_clEvEUldE_St5arrayIPcLm2EELi4E23TrivialOffsetCalculatorILi1EjESB_NS0_6memory15LoadWithoutCastENSC_16StoreWithoutCastEEEviT_T0_T2_T3_T4_T5_.kd
    .uniform_work_group_size: 1
    .uses_dynamic_stack: false
    .vgpr_count:     47
    .vgpr_spill_count: 0
    .wavefront_size: 64
  - .args:
      - .offset:         0
        .size:           4
        .value_kind:     by_value
      - .offset:         8
        .size:           352
        .value_kind:     by_value
    .group_segment_fixed_size: 0
    .kernarg_segment_align: 8
    .kernarg_segment_size: 360
    .language:       OpenCL C
    .language_version:
      - 2
      - 0
    .max_flat_workgroup_size: 128
    .name:           _ZN2at6native32elementwise_kernel_manual_unrollILi128ELi4EZNS0_22gpu_kernel_impl_nocastIZZZNS0_15sin_kernel_cudaERNS_18TensorIteratorBaseEENKUlvE0_clEvENKUlvE_clEvEUldE_EEvS4_RKT_EUlibE_EEviT1_
    .private_segment_fixed_size: 0
    .sgpr_count:     64
    .sgpr_spill_count: 0
    .symbol:         _ZN2at6native32elementwise_kernel_manual_unrollILi128ELi4EZNS0_22gpu_kernel_impl_nocastIZZZNS0_15sin_kernel_cudaERNS_18TensorIteratorBaseEENKUlvE0_clEvENKUlvE_clEvEUldE_EEvS4_RKT_EUlibE_EEviT1_.kd
    .uniform_work_group_size: 1
    .uses_dynamic_stack: false
    .vgpr_count:     60
    .vgpr_spill_count: 0
    .wavefront_size: 64
  - .args:
      - .offset:         0
        .size:           4
        .value_kind:     by_value
      - .offset:         8
        .size:           32
        .value_kind:     by_value
    .group_segment_fixed_size: 0
    .kernarg_segment_align: 8
    .kernarg_segment_size: 40
    .language:       OpenCL C
    .language_version:
      - 2
      - 0
    .max_flat_workgroup_size: 128
    .name:           _ZN2at6native32elementwise_kernel_manual_unrollILi128ELi4EZNS0_15gpu_kernel_implIZZZNS0_15sin_kernel_cudaERNS_18TensorIteratorBaseEENKUlvE0_clEvENKUlvE_clEvEUldE_EEvS4_RKT_EUlibE_EEviT1_
    .private_segment_fixed_size: 0
    .sgpr_count:     48
    .sgpr_spill_count: 0
    .symbol:         _ZN2at6native32elementwise_kernel_manual_unrollILi128ELi4EZNS0_15gpu_kernel_implIZZZNS0_15sin_kernel_cudaERNS_18TensorIteratorBaseEENKUlvE0_clEvENKUlvE_clEvEUldE_EEvS4_RKT_EUlibE_EEviT1_.kd
    .uniform_work_group_size: 1
    .uses_dynamic_stack: false
    .vgpr_count:     56
    .vgpr_spill_count: 0
    .wavefront_size: 64
  - .args:
      - .offset:         0
        .size:           4
        .value_kind:     by_value
      - .offset:         8
        .size:           352
        .value_kind:     by_value
    .group_segment_fixed_size: 0
    .kernarg_segment_align: 8
    .kernarg_segment_size: 360
    .language:       OpenCL C
    .language_version:
      - 2
      - 0
    .max_flat_workgroup_size: 128
    .name:           _ZN2at6native32elementwise_kernel_manual_unrollILi128ELi4EZNS0_15gpu_kernel_implIZZZNS0_15sin_kernel_cudaERNS_18TensorIteratorBaseEENKUlvE0_clEvENKUlvE_clEvEUldE_EEvS4_RKT_EUlibE0_EEviT1_
    .private_segment_fixed_size: 0
    .sgpr_count:     82
    .sgpr_spill_count: 0
    .symbol:         _ZN2at6native32elementwise_kernel_manual_unrollILi128ELi4EZNS0_15gpu_kernel_implIZZZNS0_15sin_kernel_cudaERNS_18TensorIteratorBaseEENKUlvE0_clEvENKUlvE_clEvEUldE_EEvS4_RKT_EUlibE0_EEviT1_.kd
    .uniform_work_group_size: 1
    .uses_dynamic_stack: false
    .vgpr_count:     61
    .vgpr_spill_count: 0
    .wavefront_size: 64
  - .args:
      - .offset:         0
        .size:           4
        .value_kind:     by_value
      - .offset:         4
        .size:           1
        .value_kind:     by_value
      - .offset:         8
        .size:           16
        .value_kind:     by_value
    .group_segment_fixed_size: 0
    .kernarg_segment_align: 8
    .kernarg_segment_size: 24
    .language:       OpenCL C
    .language_version:
      - 2
      - 0
    .max_flat_workgroup_size: 256
    .name:           _ZN2at6native29vectorized_elementwise_kernelILi16EZZZNS0_15sin_kernel_cudaERNS_18TensorIteratorBaseEENKUlvE0_clEvENKUlvE0_clEvEUlfE_St5arrayIPcLm2EEEEviT0_T1_
    .private_segment_fixed_size: 0
    .sgpr_count:     21
    .sgpr_spill_count: 0
    .symbol:         _ZN2at6native29vectorized_elementwise_kernelILi16EZZZNS0_15sin_kernel_cudaERNS_18TensorIteratorBaseEENKUlvE0_clEvENKUlvE0_clEvEUlfE_St5arrayIPcLm2EEEEviT0_T1_.kd
    .uniform_work_group_size: 1
    .uses_dynamic_stack: false
    .vgpr_count:     28
    .vgpr_spill_count: 0
    .wavefront_size: 64
  - .args:
      - .offset:         0
        .size:           4
        .value_kind:     by_value
      - .offset:         4
        .size:           1
        .value_kind:     by_value
      - .offset:         8
        .size:           16
        .value_kind:     by_value
    .group_segment_fixed_size: 0
    .kernarg_segment_align: 8
    .kernarg_segment_size: 24
    .language:       OpenCL C
    .language_version:
      - 2
      - 0
    .max_flat_workgroup_size: 256
    .name:           _ZN2at6native29vectorized_elementwise_kernelILi8EZZZNS0_15sin_kernel_cudaERNS_18TensorIteratorBaseEENKUlvE0_clEvENKUlvE0_clEvEUlfE_St5arrayIPcLm2EEEEviT0_T1_
    .private_segment_fixed_size: 0
    .sgpr_count:     21
    .sgpr_spill_count: 0
    .symbol:         _ZN2at6native29vectorized_elementwise_kernelILi8EZZZNS0_15sin_kernel_cudaERNS_18TensorIteratorBaseEENKUlvE0_clEvENKUlvE0_clEvEUlfE_St5arrayIPcLm2EEEEviT0_T1_.kd
    .uniform_work_group_size: 1
    .uses_dynamic_stack: false
    .vgpr_count:     28
    .vgpr_spill_count: 0
    .wavefront_size: 64
  - .args:
      - .offset:         0
        .size:           4
        .value_kind:     by_value
      - .offset:         4
        .size:           1
        .value_kind:     by_value
      - .offset:         8
        .size:           16
        .value_kind:     by_value
    .group_segment_fixed_size: 0
    .kernarg_segment_align: 8
    .kernarg_segment_size: 24
    .language:       OpenCL C
    .language_version:
      - 2
      - 0
    .max_flat_workgroup_size: 256
    .name:           _ZN2at6native29vectorized_elementwise_kernelILi4EZZZNS0_15sin_kernel_cudaERNS_18TensorIteratorBaseEENKUlvE0_clEvENKUlvE0_clEvEUlfE_St5arrayIPcLm2EEEEviT0_T1_
    .private_segment_fixed_size: 0
    .sgpr_count:     21
    .sgpr_spill_count: 0
    .symbol:         _ZN2at6native29vectorized_elementwise_kernelILi4EZZZNS0_15sin_kernel_cudaERNS_18TensorIteratorBaseEENKUlvE0_clEvENKUlvE0_clEvEUlfE_St5arrayIPcLm2EEEEviT0_T1_.kd
    .uniform_work_group_size: 1
    .uses_dynamic_stack: false
    .vgpr_count:     28
    .vgpr_spill_count: 0
    .wavefront_size: 64
  - .args:
      - .offset:         0
        .size:           4
        .value_kind:     by_value
      - .offset:         4
        .size:           1
        .value_kind:     by_value
      - .offset:         8
        .size:           16
        .value_kind:     by_value
    .group_segment_fixed_size: 0
    .kernarg_segment_align: 8
    .kernarg_segment_size: 24
    .language:       OpenCL C
    .language_version:
      - 2
      - 0
    .max_flat_workgroup_size: 256
    .name:           _ZN2at6native29vectorized_elementwise_kernelILi2EZZZNS0_15sin_kernel_cudaERNS_18TensorIteratorBaseEENKUlvE0_clEvENKUlvE0_clEvEUlfE_St5arrayIPcLm2EEEEviT0_T1_
    .private_segment_fixed_size: 0
    .sgpr_count:     21
    .sgpr_spill_count: 0
    .symbol:         _ZN2at6native29vectorized_elementwise_kernelILi2EZZZNS0_15sin_kernel_cudaERNS_18TensorIteratorBaseEENKUlvE0_clEvENKUlvE0_clEvEUlfE_St5arrayIPcLm2EEEEviT0_T1_.kd
    .uniform_work_group_size: 1
    .uses_dynamic_stack: false
    .vgpr_count:     28
    .vgpr_spill_count: 0
    .wavefront_size: 64
  - .args:
      - .offset:         0
        .size:           4
        .value_kind:     by_value
      - .offset:         4
        .size:           1
        .value_kind:     by_value
      - .offset:         8
        .size:           16
        .value_kind:     by_value
      - .offset:         24
        .size:           1
        .value_kind:     by_value
      - .offset:         25
        .size:           1
        .value_kind:     by_value
      - .offset:         26
        .size:           1
        .value_kind:     by_value
      - .offset:         27
        .size:           1
        .value_kind:     by_value
    .group_segment_fixed_size: 0
    .kernarg_segment_align: 8
    .kernarg_segment_size: 28
    .language:       OpenCL C
    .language_version:
      - 2
      - 0
    .max_flat_workgroup_size: 256
    .name:           _ZN2at6native27unrolled_elementwise_kernelIZZZNS0_15sin_kernel_cudaERNS_18TensorIteratorBaseEENKUlvE0_clEvENKUlvE0_clEvEUlfE_St5arrayIPcLm2EELi4E23TrivialOffsetCalculatorILi1EjESB_NS0_6memory15LoadWithoutCastENSC_16StoreWithoutCastEEEviT_T0_T2_T3_T4_T5_
    .private_segment_fixed_size: 0
    .sgpr_count:     20
    .sgpr_spill_count: 0
    .symbol:         _ZN2at6native27unrolled_elementwise_kernelIZZZNS0_15sin_kernel_cudaERNS_18TensorIteratorBaseEENKUlvE0_clEvENKUlvE0_clEvEUlfE_St5arrayIPcLm2EELi4E23TrivialOffsetCalculatorILi1EjESB_NS0_6memory15LoadWithoutCastENSC_16StoreWithoutCastEEEviT_T0_T2_T3_T4_T5_.kd
    .uniform_work_group_size: 1
    .uses_dynamic_stack: false
    .vgpr_count:     22
    .vgpr_spill_count: 0
    .wavefront_size: 64
  - .args:
      - .offset:         0
        .size:           4
        .value_kind:     by_value
      - .offset:         8
        .size:           352
        .value_kind:     by_value
    .group_segment_fixed_size: 0
    .kernarg_segment_align: 8
    .kernarg_segment_size: 360
    .language:       OpenCL C
    .language_version:
      - 2
      - 0
    .max_flat_workgroup_size: 128
    .name:           _ZN2at6native32elementwise_kernel_manual_unrollILi128ELi4EZNS0_22gpu_kernel_impl_nocastIZZZNS0_15sin_kernel_cudaERNS_18TensorIteratorBaseEENKUlvE0_clEvENKUlvE0_clEvEUlfE_EEvS4_RKT_EUlibE_EEviT1_
    .private_segment_fixed_size: 0
    .sgpr_count:     64
    .sgpr_spill_count: 0
    .symbol:         _ZN2at6native32elementwise_kernel_manual_unrollILi128ELi4EZNS0_22gpu_kernel_impl_nocastIZZZNS0_15sin_kernel_cudaERNS_18TensorIteratorBaseEENKUlvE0_clEvENKUlvE0_clEvEUlfE_EEvS4_RKT_EUlibE_EEviT1_.kd
    .uniform_work_group_size: 1
    .uses_dynamic_stack: false
    .vgpr_count:     30
    .vgpr_spill_count: 0
    .wavefront_size: 64
  - .args:
      - .offset:         0
        .size:           4
        .value_kind:     by_value
      - .offset:         8
        .size:           32
        .value_kind:     by_value
    .group_segment_fixed_size: 0
    .kernarg_segment_align: 8
    .kernarg_segment_size: 40
    .language:       OpenCL C
    .language_version:
      - 2
      - 0
    .max_flat_workgroup_size: 128
    .name:           _ZN2at6native32elementwise_kernel_manual_unrollILi128ELi4EZNS0_15gpu_kernel_implIZZZNS0_15sin_kernel_cudaERNS_18TensorIteratorBaseEENKUlvE0_clEvENKUlvE0_clEvEUlfE_EEvS4_RKT_EUlibE_EEviT1_
    .private_segment_fixed_size: 0
    .sgpr_count:     48
    .sgpr_spill_count: 0
    .symbol:         _ZN2at6native32elementwise_kernel_manual_unrollILi128ELi4EZNS0_15gpu_kernel_implIZZZNS0_15sin_kernel_cudaERNS_18TensorIteratorBaseEENKUlvE0_clEvENKUlvE0_clEvEUlfE_EEvS4_RKT_EUlibE_EEviT1_.kd
    .uniform_work_group_size: 1
    .uses_dynamic_stack: false
    .vgpr_count:     27
    .vgpr_spill_count: 0
    .wavefront_size: 64
  - .args:
      - .offset:         0
        .size:           4
        .value_kind:     by_value
      - .offset:         8
        .size:           352
        .value_kind:     by_value
    .group_segment_fixed_size: 0
    .kernarg_segment_align: 8
    .kernarg_segment_size: 360
    .language:       OpenCL C
    .language_version:
      - 2
      - 0
    .max_flat_workgroup_size: 128
    .name:           _ZN2at6native32elementwise_kernel_manual_unrollILi128ELi4EZNS0_15gpu_kernel_implIZZZNS0_15sin_kernel_cudaERNS_18TensorIteratorBaseEENKUlvE0_clEvENKUlvE0_clEvEUlfE_EEvS4_RKT_EUlibE0_EEviT1_
    .private_segment_fixed_size: 0
    .sgpr_count:     82
    .sgpr_spill_count: 0
    .symbol:         _ZN2at6native32elementwise_kernel_manual_unrollILi128ELi4EZNS0_15gpu_kernel_implIZZZNS0_15sin_kernel_cudaERNS_18TensorIteratorBaseEENKUlvE0_clEvENKUlvE0_clEvEUlfE_EEvS4_RKT_EUlibE0_EEviT1_.kd
    .uniform_work_group_size: 1
    .uses_dynamic_stack: false
    .vgpr_count:     30
    .vgpr_spill_count: 0
    .wavefront_size: 64
  - .args:
      - .offset:         0
        .size:           4
        .value_kind:     by_value
      - .offset:         4
        .size:           1
        .value_kind:     by_value
      - .offset:         8
        .size:           16
        .value_kind:     by_value
    .group_segment_fixed_size: 0
    .kernarg_segment_align: 8
    .kernarg_segment_size: 24
    .language:       OpenCL C
    .language_version:
      - 2
      - 0
    .max_flat_workgroup_size: 256
    .name:           _ZN2at6native29vectorized_elementwise_kernelILi16EZZZNS0_15sin_kernel_cudaERNS_18TensorIteratorBaseEENKUlvE0_clEvENKUlvE1_clEvEUlN3c104HalfEE_St5arrayIPcLm2EEEEviT0_T1_
    .private_segment_fixed_size: 0
    .sgpr_count:     37
    .sgpr_spill_count: 0
    .symbol:         _ZN2at6native29vectorized_elementwise_kernelILi16EZZZNS0_15sin_kernel_cudaERNS_18TensorIteratorBaseEENKUlvE0_clEvENKUlvE1_clEvEUlN3c104HalfEE_St5arrayIPcLm2EEEEviT0_T1_.kd
    .uniform_work_group_size: 1
    .uses_dynamic_stack: false
    .vgpr_count:     54
    .vgpr_spill_count: 0
    .wavefront_size: 64
  - .args:
      - .offset:         0
        .size:           4
        .value_kind:     by_value
      - .offset:         4
        .size:           1
        .value_kind:     by_value
      - .offset:         8
        .size:           16
        .value_kind:     by_value
    .group_segment_fixed_size: 0
    .kernarg_segment_align: 8
    .kernarg_segment_size: 24
    .language:       OpenCL C
    .language_version:
      - 2
      - 0
    .max_flat_workgroup_size: 256
    .name:           _ZN2at6native29vectorized_elementwise_kernelILi8EZZZNS0_15sin_kernel_cudaERNS_18TensorIteratorBaseEENKUlvE0_clEvENKUlvE1_clEvEUlN3c104HalfEE_St5arrayIPcLm2EEEEviT0_T1_
    .private_segment_fixed_size: 0
    .sgpr_count:     37
    .sgpr_spill_count: 0
    .symbol:         _ZN2at6native29vectorized_elementwise_kernelILi8EZZZNS0_15sin_kernel_cudaERNS_18TensorIteratorBaseEENKUlvE0_clEvENKUlvE1_clEvEUlN3c104HalfEE_St5arrayIPcLm2EEEEviT0_T1_.kd
    .uniform_work_group_size: 1
    .uses_dynamic_stack: false
    .vgpr_count:     54
    .vgpr_spill_count: 0
    .wavefront_size: 64
  - .args:
      - .offset:         0
        .size:           4
        .value_kind:     by_value
      - .offset:         4
        .size:           1
        .value_kind:     by_value
      - .offset:         8
        .size:           16
        .value_kind:     by_value
    .group_segment_fixed_size: 0
    .kernarg_segment_align: 8
    .kernarg_segment_size: 24
    .language:       OpenCL C
    .language_version:
      - 2
      - 0
    .max_flat_workgroup_size: 256
    .name:           _ZN2at6native29vectorized_elementwise_kernelILi4EZZZNS0_15sin_kernel_cudaERNS_18TensorIteratorBaseEENKUlvE0_clEvENKUlvE1_clEvEUlN3c104HalfEE_St5arrayIPcLm2EEEEviT0_T1_
    .private_segment_fixed_size: 0
    .sgpr_count:     37
    .sgpr_spill_count: 0
    .symbol:         _ZN2at6native29vectorized_elementwise_kernelILi4EZZZNS0_15sin_kernel_cudaERNS_18TensorIteratorBaseEENKUlvE0_clEvENKUlvE1_clEvEUlN3c104HalfEE_St5arrayIPcLm2EEEEviT0_T1_.kd
    .uniform_work_group_size: 1
    .uses_dynamic_stack: false
    .vgpr_count:     45
    .vgpr_spill_count: 0
    .wavefront_size: 64
  - .args:
      - .offset:         0
        .size:           4
        .value_kind:     by_value
      - .offset:         4
        .size:           1
        .value_kind:     by_value
      - .offset:         8
        .size:           16
        .value_kind:     by_value
    .group_segment_fixed_size: 0
    .kernarg_segment_align: 8
    .kernarg_segment_size: 24
    .language:       OpenCL C
    .language_version:
      - 2
      - 0
    .max_flat_workgroup_size: 256
    .name:           _ZN2at6native29vectorized_elementwise_kernelILi2EZZZNS0_15sin_kernel_cudaERNS_18TensorIteratorBaseEENKUlvE0_clEvENKUlvE1_clEvEUlN3c104HalfEE_St5arrayIPcLm2EEEEviT0_T1_
    .private_segment_fixed_size: 0
    .sgpr_count:     37
    .sgpr_spill_count: 0
    .symbol:         _ZN2at6native29vectorized_elementwise_kernelILi2EZZZNS0_15sin_kernel_cudaERNS_18TensorIteratorBaseEENKUlvE0_clEvENKUlvE1_clEvEUlN3c104HalfEE_St5arrayIPcLm2EEEEviT0_T1_.kd
    .uniform_work_group_size: 1
    .uses_dynamic_stack: false
    .vgpr_count:     45
    .vgpr_spill_count: 0
    .wavefront_size: 64
  - .args:
      - .offset:         0
        .size:           4
        .value_kind:     by_value
      - .offset:         4
        .size:           1
        .value_kind:     by_value
      - .offset:         8
        .size:           16
        .value_kind:     by_value
      - .offset:         24
        .size:           1
        .value_kind:     by_value
      - .offset:         25
        .size:           1
        .value_kind:     by_value
      - .offset:         26
        .size:           1
        .value_kind:     by_value
      - .offset:         27
        .size:           1
        .value_kind:     by_value
    .group_segment_fixed_size: 0
    .kernarg_segment_align: 8
    .kernarg_segment_size: 28
    .language:       OpenCL C
    .language_version:
      - 2
      - 0
    .max_flat_workgroup_size: 256
    .name:           _ZN2at6native27unrolled_elementwise_kernelIZZZNS0_15sin_kernel_cudaERNS_18TensorIteratorBaseEENKUlvE0_clEvENKUlvE1_clEvEUlN3c104HalfEE_St5arrayIPcLm2EELi4E23TrivialOffsetCalculatorILi1EjESD_NS0_6memory15LoadWithoutCastENSE_16StoreWithoutCastEEEviT_T0_T2_T3_T4_T5_
    .private_segment_fixed_size: 0
    .sgpr_count:     20
    .sgpr_spill_count: 0
    .symbol:         _ZN2at6native27unrolled_elementwise_kernelIZZZNS0_15sin_kernel_cudaERNS_18TensorIteratorBaseEENKUlvE0_clEvENKUlvE1_clEvEUlN3c104HalfEE_St5arrayIPcLm2EELi4E23TrivialOffsetCalculatorILi1EjESD_NS0_6memory15LoadWithoutCastENSE_16StoreWithoutCastEEEviT_T0_T2_T3_T4_T5_.kd
    .uniform_work_group_size: 1
    .uses_dynamic_stack: false
    .vgpr_count:     20
    .vgpr_spill_count: 0
    .wavefront_size: 64
  - .args:
      - .offset:         0
        .size:           4
        .value_kind:     by_value
      - .offset:         8
        .size:           352
        .value_kind:     by_value
    .group_segment_fixed_size: 0
    .kernarg_segment_align: 8
    .kernarg_segment_size: 360
    .language:       OpenCL C
    .language_version:
      - 2
      - 0
    .max_flat_workgroup_size: 128
    .name:           _ZN2at6native32elementwise_kernel_manual_unrollILi128ELi8EZNS0_22gpu_kernel_impl_nocastIZZZNS0_15sin_kernel_cudaERNS_18TensorIteratorBaseEENKUlvE0_clEvENKUlvE1_clEvEUlN3c104HalfEE_EEvS4_RKT_EUlibE_EEviT1_
    .private_segment_fixed_size: 0
    .sgpr_count:     64
    .sgpr_spill_count: 0
    .symbol:         _ZN2at6native32elementwise_kernel_manual_unrollILi128ELi8EZNS0_22gpu_kernel_impl_nocastIZZZNS0_15sin_kernel_cudaERNS_18TensorIteratorBaseEENKUlvE0_clEvENKUlvE1_clEvEUlN3c104HalfEE_EEvS4_RKT_EUlibE_EEviT1_.kd
    .uniform_work_group_size: 1
    .uses_dynamic_stack: false
    .vgpr_count:     50
    .vgpr_spill_count: 0
    .wavefront_size: 64
  - .args:
      - .offset:         0
        .size:           4
        .value_kind:     by_value
      - .offset:         8
        .size:           32
        .value_kind:     by_value
    .group_segment_fixed_size: 0
    .kernarg_segment_align: 8
    .kernarg_segment_size: 40
    .language:       OpenCL C
    .language_version:
      - 2
      - 0
    .max_flat_workgroup_size: 128
    .name:           _ZN2at6native32elementwise_kernel_manual_unrollILi128ELi4EZNS0_15gpu_kernel_implIZZZNS0_15sin_kernel_cudaERNS_18TensorIteratorBaseEENKUlvE0_clEvENKUlvE1_clEvEUlN3c104HalfEE_EEvS4_RKT_EUlibE_EEviT1_
    .private_segment_fixed_size: 0
    .sgpr_count:     48
    .sgpr_spill_count: 0
    .symbol:         _ZN2at6native32elementwise_kernel_manual_unrollILi128ELi4EZNS0_15gpu_kernel_implIZZZNS0_15sin_kernel_cudaERNS_18TensorIteratorBaseEENKUlvE0_clEvENKUlvE1_clEvEUlN3c104HalfEE_EEvS4_RKT_EUlibE_EEviT1_.kd
    .uniform_work_group_size: 1
    .uses_dynamic_stack: false
    .vgpr_count:     27
    .vgpr_spill_count: 0
    .wavefront_size: 64
  - .args:
      - .offset:         0
        .size:           4
        .value_kind:     by_value
      - .offset:         8
        .size:           352
        .value_kind:     by_value
    .group_segment_fixed_size: 0
    .kernarg_segment_align: 8
    .kernarg_segment_size: 360
    .language:       OpenCL C
    .language_version:
      - 2
      - 0
    .max_flat_workgroup_size: 128
    .name:           _ZN2at6native32elementwise_kernel_manual_unrollILi128ELi4EZNS0_15gpu_kernel_implIZZZNS0_15sin_kernel_cudaERNS_18TensorIteratorBaseEENKUlvE0_clEvENKUlvE1_clEvEUlN3c104HalfEE_EEvS4_RKT_EUlibE0_EEviT1_
    .private_segment_fixed_size: 0
    .sgpr_count:     82
    .sgpr_spill_count: 0
    .symbol:         _ZN2at6native32elementwise_kernel_manual_unrollILi128ELi4EZNS0_15gpu_kernel_implIZZZNS0_15sin_kernel_cudaERNS_18TensorIteratorBaseEENKUlvE0_clEvENKUlvE1_clEvEUlN3c104HalfEE_EEvS4_RKT_EUlibE0_EEviT1_.kd
    .uniform_work_group_size: 1
    .uses_dynamic_stack: false
    .vgpr_count:     30
    .vgpr_spill_count: 0
    .wavefront_size: 64
  - .args:
      - .offset:         0
        .size:           4
        .value_kind:     by_value
      - .offset:         4
        .size:           1
        .value_kind:     by_value
      - .offset:         8
        .size:           16
        .value_kind:     by_value
    .group_segment_fixed_size: 0
    .kernarg_segment_align: 8
    .kernarg_segment_size: 24
    .language:       OpenCL C
    .language_version:
      - 2
      - 0
    .max_flat_workgroup_size: 256
    .name:           _ZN2at6native29vectorized_elementwise_kernelILi16EZZZNS0_15sin_kernel_cudaERNS_18TensorIteratorBaseEENKUlvE0_clEvENKUlvE2_clEvEUlN3c108BFloat16EE_St5arrayIPcLm2EEEEviT0_T1_
    .private_segment_fixed_size: 0
    .sgpr_count:     37
    .sgpr_spill_count: 0
    .symbol:         _ZN2at6native29vectorized_elementwise_kernelILi16EZZZNS0_15sin_kernel_cudaERNS_18TensorIteratorBaseEENKUlvE0_clEvENKUlvE2_clEvEUlN3c108BFloat16EE_St5arrayIPcLm2EEEEviT0_T1_.kd
    .uniform_work_group_size: 1
    .uses_dynamic_stack: false
    .vgpr_count:     54
    .vgpr_spill_count: 0
    .wavefront_size: 64
  - .args:
      - .offset:         0
        .size:           4
        .value_kind:     by_value
      - .offset:         4
        .size:           1
        .value_kind:     by_value
      - .offset:         8
        .size:           16
        .value_kind:     by_value
    .group_segment_fixed_size: 0
    .kernarg_segment_align: 8
    .kernarg_segment_size: 24
    .language:       OpenCL C
    .language_version:
      - 2
      - 0
    .max_flat_workgroup_size: 256
    .name:           _ZN2at6native29vectorized_elementwise_kernelILi8EZZZNS0_15sin_kernel_cudaERNS_18TensorIteratorBaseEENKUlvE0_clEvENKUlvE2_clEvEUlN3c108BFloat16EE_St5arrayIPcLm2EEEEviT0_T1_
    .private_segment_fixed_size: 0
    .sgpr_count:     37
    .sgpr_spill_count: 0
    .symbol:         _ZN2at6native29vectorized_elementwise_kernelILi8EZZZNS0_15sin_kernel_cudaERNS_18TensorIteratorBaseEENKUlvE0_clEvENKUlvE2_clEvEUlN3c108BFloat16EE_St5arrayIPcLm2EEEEviT0_T1_.kd
    .uniform_work_group_size: 1
    .uses_dynamic_stack: false
    .vgpr_count:     54
    .vgpr_spill_count: 0
    .wavefront_size: 64
  - .args:
      - .offset:         0
        .size:           4
        .value_kind:     by_value
      - .offset:         4
        .size:           1
        .value_kind:     by_value
      - .offset:         8
        .size:           16
        .value_kind:     by_value
    .group_segment_fixed_size: 0
    .kernarg_segment_align: 8
    .kernarg_segment_size: 24
    .language:       OpenCL C
    .language_version:
      - 2
      - 0
    .max_flat_workgroup_size: 256
    .name:           _ZN2at6native29vectorized_elementwise_kernelILi4EZZZNS0_15sin_kernel_cudaERNS_18TensorIteratorBaseEENKUlvE0_clEvENKUlvE2_clEvEUlN3c108BFloat16EE_St5arrayIPcLm2EEEEviT0_T1_
    .private_segment_fixed_size: 0
    .sgpr_count:     37
    .sgpr_spill_count: 0
    .symbol:         _ZN2at6native29vectorized_elementwise_kernelILi4EZZZNS0_15sin_kernel_cudaERNS_18TensorIteratorBaseEENKUlvE0_clEvENKUlvE2_clEvEUlN3c108BFloat16EE_St5arrayIPcLm2EEEEviT0_T1_.kd
    .uniform_work_group_size: 1
    .uses_dynamic_stack: false
    .vgpr_count:     44
    .vgpr_spill_count: 0
    .wavefront_size: 64
  - .args:
      - .offset:         0
        .size:           4
        .value_kind:     by_value
      - .offset:         4
        .size:           1
        .value_kind:     by_value
      - .offset:         8
        .size:           16
        .value_kind:     by_value
    .group_segment_fixed_size: 0
    .kernarg_segment_align: 8
    .kernarg_segment_size: 24
    .language:       OpenCL C
    .language_version:
      - 2
      - 0
    .max_flat_workgroup_size: 256
    .name:           _ZN2at6native29vectorized_elementwise_kernelILi2EZZZNS0_15sin_kernel_cudaERNS_18TensorIteratorBaseEENKUlvE0_clEvENKUlvE2_clEvEUlN3c108BFloat16EE_St5arrayIPcLm2EEEEviT0_T1_
    .private_segment_fixed_size: 0
    .sgpr_count:     37
    .sgpr_spill_count: 0
    .symbol:         _ZN2at6native29vectorized_elementwise_kernelILi2EZZZNS0_15sin_kernel_cudaERNS_18TensorIteratorBaseEENKUlvE0_clEvENKUlvE2_clEvEUlN3c108BFloat16EE_St5arrayIPcLm2EEEEviT0_T1_.kd
    .uniform_work_group_size: 1
    .uses_dynamic_stack: false
    .vgpr_count:     44
    .vgpr_spill_count: 0
    .wavefront_size: 64
  - .args:
      - .offset:         0
        .size:           4
        .value_kind:     by_value
      - .offset:         4
        .size:           1
        .value_kind:     by_value
      - .offset:         8
        .size:           16
        .value_kind:     by_value
      - .offset:         24
        .size:           1
        .value_kind:     by_value
      - .offset:         25
        .size:           1
        .value_kind:     by_value
      - .offset:         26
        .size:           1
        .value_kind:     by_value
      - .offset:         27
        .size:           1
        .value_kind:     by_value
    .group_segment_fixed_size: 0
    .kernarg_segment_align: 8
    .kernarg_segment_size: 28
    .language:       OpenCL C
    .language_version:
      - 2
      - 0
    .max_flat_workgroup_size: 256
    .name:           _ZN2at6native27unrolled_elementwise_kernelIZZZNS0_15sin_kernel_cudaERNS_18TensorIteratorBaseEENKUlvE0_clEvENKUlvE2_clEvEUlN3c108BFloat16EE_St5arrayIPcLm2EELi4E23TrivialOffsetCalculatorILi1EjESD_NS0_6memory15LoadWithoutCastENSE_16StoreWithoutCastEEEviT_T0_T2_T3_T4_T5_
    .private_segment_fixed_size: 0
    .sgpr_count:     20
    .sgpr_spill_count: 0
    .symbol:         _ZN2at6native27unrolled_elementwise_kernelIZZZNS0_15sin_kernel_cudaERNS_18TensorIteratorBaseEENKUlvE0_clEvENKUlvE2_clEvEUlN3c108BFloat16EE_St5arrayIPcLm2EELi4E23TrivialOffsetCalculatorILi1EjESD_NS0_6memory15LoadWithoutCastENSE_16StoreWithoutCastEEEviT_T0_T2_T3_T4_T5_.kd
    .uniform_work_group_size: 1
    .uses_dynamic_stack: false
    .vgpr_count:     20
    .vgpr_spill_count: 0
    .wavefront_size: 64
  - .args:
      - .offset:         0
        .size:           4
        .value_kind:     by_value
      - .offset:         8
        .size:           352
        .value_kind:     by_value
    .group_segment_fixed_size: 0
    .kernarg_segment_align: 8
    .kernarg_segment_size: 360
    .language:       OpenCL C
    .language_version:
      - 2
      - 0
    .max_flat_workgroup_size: 128
    .name:           _ZN2at6native32elementwise_kernel_manual_unrollILi128ELi8EZNS0_22gpu_kernel_impl_nocastIZZZNS0_15sin_kernel_cudaERNS_18TensorIteratorBaseEENKUlvE0_clEvENKUlvE2_clEvEUlN3c108BFloat16EE_EEvS4_RKT_EUlibE_EEviT1_
    .private_segment_fixed_size: 0
    .sgpr_count:     64
    .sgpr_spill_count: 0
    .symbol:         _ZN2at6native32elementwise_kernel_manual_unrollILi128ELi8EZNS0_22gpu_kernel_impl_nocastIZZZNS0_15sin_kernel_cudaERNS_18TensorIteratorBaseEENKUlvE0_clEvENKUlvE2_clEvEUlN3c108BFloat16EE_EEvS4_RKT_EUlibE_EEviT1_.kd
    .uniform_work_group_size: 1
    .uses_dynamic_stack: false
    .vgpr_count:     50
    .vgpr_spill_count: 0
    .wavefront_size: 64
  - .args:
      - .offset:         0
        .size:           4
        .value_kind:     by_value
      - .offset:         8
        .size:           32
        .value_kind:     by_value
    .group_segment_fixed_size: 0
    .kernarg_segment_align: 8
    .kernarg_segment_size: 40
    .language:       OpenCL C
    .language_version:
      - 2
      - 0
    .max_flat_workgroup_size: 128
    .name:           _ZN2at6native32elementwise_kernel_manual_unrollILi128ELi4EZNS0_15gpu_kernel_implIZZZNS0_15sin_kernel_cudaERNS_18TensorIteratorBaseEENKUlvE0_clEvENKUlvE2_clEvEUlN3c108BFloat16EE_EEvS4_RKT_EUlibE_EEviT1_
    .private_segment_fixed_size: 0
    .sgpr_count:     48
    .sgpr_spill_count: 0
    .symbol:         _ZN2at6native32elementwise_kernel_manual_unrollILi128ELi4EZNS0_15gpu_kernel_implIZZZNS0_15sin_kernel_cudaERNS_18TensorIteratorBaseEENKUlvE0_clEvENKUlvE2_clEvEUlN3c108BFloat16EE_EEvS4_RKT_EUlibE_EEviT1_.kd
    .uniform_work_group_size: 1
    .uses_dynamic_stack: false
    .vgpr_count:     27
    .vgpr_spill_count: 0
    .wavefront_size: 64
  - .args:
      - .offset:         0
        .size:           4
        .value_kind:     by_value
      - .offset:         8
        .size:           352
        .value_kind:     by_value
    .group_segment_fixed_size: 0
    .kernarg_segment_align: 8
    .kernarg_segment_size: 360
    .language:       OpenCL C
    .language_version:
      - 2
      - 0
    .max_flat_workgroup_size: 128
    .name:           _ZN2at6native32elementwise_kernel_manual_unrollILi128ELi4EZNS0_15gpu_kernel_implIZZZNS0_15sin_kernel_cudaERNS_18TensorIteratorBaseEENKUlvE0_clEvENKUlvE2_clEvEUlN3c108BFloat16EE_EEvS4_RKT_EUlibE0_EEviT1_
    .private_segment_fixed_size: 0
    .sgpr_count:     82
    .sgpr_spill_count: 0
    .symbol:         _ZN2at6native32elementwise_kernel_manual_unrollILi128ELi4EZNS0_15gpu_kernel_implIZZZNS0_15sin_kernel_cudaERNS_18TensorIteratorBaseEENKUlvE0_clEvENKUlvE2_clEvEUlN3c108BFloat16EE_EEvS4_RKT_EUlibE0_EEviT1_.kd
    .uniform_work_group_size: 1
    .uses_dynamic_stack: false
    .vgpr_count:     30
    .vgpr_spill_count: 0
    .wavefront_size: 64
amdhsa.target:   amdgcn-amd-amdhsa--gfx906
amdhsa.version:
  - 1
  - 2
...

	.end_amdgpu_metadata
